;; amdgpu-corpus repo=ggml-org/llama.cpp kind=compiled arch=gfx1030 opt=O3
	.amdgcn_target "amdgcn-amd-amdhsa--gfx1030"
	.amdhsa_code_object_version 6
	.section	.text._ZL15flash_attn_tileILi128ELi128ELi8ELi8ELb0EEvPKcS1_S1_S1_S1_PKiPfP15HIP_vector_typeIfLj2EEffffjfiS5_IjLj3EEiiiiiiiiiiiliiliiiiil,"axG",@progbits,_ZL15flash_attn_tileILi128ELi128ELi8ELi8ELb0EEvPKcS1_S1_S1_S1_PKiPfP15HIP_vector_typeIfLj2EEffffjfiS5_IjLj3EEiiiiiiiiiiiliiliiiiil,comdat
	.globl	_ZL15flash_attn_tileILi128ELi128ELi8ELi8ELb0EEvPKcS1_S1_S1_S1_PKiPfP15HIP_vector_typeIfLj2EEffffjfiS5_IjLj3EEiiiiiiiiiiiliiliiiiil ; -- Begin function _ZL15flash_attn_tileILi128ELi128ELi8ELi8ELb0EEvPKcS1_S1_S1_S1_PKiPfP15HIP_vector_typeIfLj2EEffffjfiS5_IjLj3EEiiiiiiiiiiiliiliiiiil
	.p2align	8
	.type	_ZL15flash_attn_tileILi128ELi128ELi8ELi8ELb0EEvPKcS1_S1_S1_S1_PKiPfP15HIP_vector_typeIfLj2EEffffjfiS5_IjLj3EEiiiiiiiiiiiliiliiiiil,@function
_ZL15flash_attn_tileILi128ELi128ELi8ELi8ELb0EEvPKcS1_S1_S1_S1_PKiPfP15HIP_vector_typeIfLj2EEffffjfiS5_IjLj3EEiiiiiiiiiiiliiliiiiil: ; @_ZL15flash_attn_tileILi128ELi128ELi8ELi8ELb0EEvPKcS1_S1_S1_S1_PKiPfP15HIP_vector_typeIfLj2EEffffjfiS5_IjLj3EEiiiiiiiiiiiliiliiiiil
; %bb.0:
	s_clause 0x1
	s_load_dwordx4 s[28:31], s[4:5], 0x5c
	s_load_dwordx2 s[38:39], s[4:5], 0x80
	s_mov_b32 s34, s7
	s_mov_b64 s[40:41], 0
	s_waitcnt lgkmcnt(0)
	s_ashr_i32 s0, s31, 31
	s_lshr_b32 s0, s0, 29
	s_add_i32 s0, s31, s0
	s_ashr_i32 s0, s0, 3
	v_cvt_f32_u32_e32 v2, s0
	s_sub_i32 s2, 0, s0
	v_rcp_iflag_f32_e32 v2, v2
	v_mul_f32_e32 v2, 0x4f7ffffe, v2
	v_cvt_u32_f32_e32 v2, v2
	v_readfirstlane_b32 s1, v2
	s_mul_i32 s2, s2, s1
	s_mul_hi_u32 s2, s1, s2
	s_add_i32 s1, s1, s2
	s_mul_hi_u32 s1, s8, s1
	s_mul_i32 s2, s1, s0
	s_add_i32 s3, s1, 1
	s_sub_i32 s2, s8, s2
	s_sub_i32 s7, s2, s0
	s_cmp_ge_u32 s2, s0
	s_cselect_b32 s1, s3, s1
	s_cselect_b32 s2, s7, s2
	s_add_i32 s3, s1, 1
	s_cmp_ge_u32 s2, s0
	s_cselect_b32 s33, s3, s1
	s_abs_i32 s0, s39
	s_lshl_b32 s3, s8, 3
	v_cvt_f32_u32_e32 v2, s0
	s_sub_i32 s2, 0, s0
	s_abs_i32 s8, s31
	s_mul_i32 s7, s33, s31
	v_rcp_iflag_f32_e32 v2, v2
	s_sub_i32 s36, s3, s7
	v_mul_f32_e32 v2, 0x4f7ffffe, v2
	v_cvt_u32_f32_e32 v2, v2
	v_readfirstlane_b32 s1, v2
	s_mul_i32 s2, s2, s1
	s_mul_hi_u32 s2, s1, s2
	s_add_i32 s1, s1, s2
	s_xor_b32 s2, s31, s39
	s_mul_hi_u32 s1, s8, s1
	s_ashr_i32 s2, s2, 31
	s_mul_i32 s3, s1, s0
	s_add_i32 s7, s1, 1
	s_sub_i32 s3, s8, s3
	s_sub_i32 s8, s3, s0
	s_cmp_ge_u32 s3, s0
	s_cselect_b32 s1, s7, s1
	s_cselect_b32 s3, s8, s3
	s_add_i32 s7, s1, 1
	s_cmp_ge_u32 s3, s0
	s_clause 0x1
	s_load_dwordx16 s[12:27], s[4:5], 0x0
	s_load_dwordx2 s[8:9], s[4:5], 0xb8
	s_cselect_b32 s0, s7, s1
	s_xor_b32 s0, s0, s2
	s_sub_i32 s10, s0, s2
	s_abs_i32 s7, s10
	v_cvt_f32_u32_e32 v2, s7
	v_rcp_iflag_f32_e32 v2, v2
	s_waitcnt lgkmcnt(0)
	s_cmp_eq_u64 s[18:19], 0
	v_mul_f32_e32 v2, 0x4f7ffffe, v2
	v_cvt_u32_f32_e32 v2, v2
	v_readfirstlane_b32 s11, v2
	s_cbranch_scc1 .LBB0_2
; %bb.1:
	s_abs_i32 s2, s8
	s_abs_i32 s3, s33
	v_cvt_f32_u32_e32 v2, s2
	s_sub_i32 s1, 0, s2
	v_rcp_iflag_f32_e32 v2, v2
	v_mul_f32_e32 v2, 0x4f7ffffe, v2
	v_cvt_u32_f32_e32 v2, v2
	v_readfirstlane_b32 s0, v2
	s_mul_i32 s1, s1, s0
	s_mul_hi_u32 s1, s0, s1
	s_add_i32 s0, s0, s1
	s_mul_hi_u32 s8, s3, s0
	s_load_dwordx2 s[0:1], s[4:5], 0xc8
	s_mul_i32 s8, s8, s2
	s_sub_i32 s3, s3, s8
	s_ashr_i32 s8, s33, 31
	s_sub_i32 s35, s3, s2
	s_cmp_ge_u32 s3, s2
	s_cselect_b32 s3, s35, s3
	s_sub_i32 s35, s3, s2
	s_cmp_ge_u32 s3, s2
	s_cselect_b32 s2, s35, s3
	s_xor_b32 s2, s2, s8
	s_sub_i32 s2, s2, s8
	s_ashr_i32 s3, s2, 31
	s_waitcnt lgkmcnt(0)
	s_mul_hi_u32 s8, s0, s2
	s_mul_i32 s3, s0, s3
	s_mul_i32 s1, s1, s2
	s_add_i32 s3, s8, s3
	s_mul_i32 s0, s0, s2
	s_add_i32 s3, s3, s1
	s_add_u32 s40, s18, s0
	s_addc_u32 s41, s19, s3
.LBB0_2:
	v_lshl_add_u32 v41, s6, 3, v1
	s_load_dwordx4 s[0:3], s[4:5], 0x70
	v_lshlrev_b32_e32 v52, 11, v1
	v_mul_hi_u32 v2, s28, v41
	v_add_nc_u32_e32 v2, v41, v2
	v_lshrrev_b32_e32 v2, s29, v2
	s_waitcnt lgkmcnt(0)
	s_mul_i32 s3, s33, s2
	s_mul_i32 s8, s36, s1
	v_mul_lo_u32 v2, v2, s30
	s_ashr_i32 s18, s3, 31
	s_add_u32 s3, s12, s3
	s_addc_u32 s12, s13, s18
	s_ashr_i32 s13, s8, 31
	s_add_u32 s8, s3, s8
	s_mov_b32 s2, s0
	s_addc_u32 s18, s12, s13
	v_sub_nc_u32_e32 v3, v41, v2
	s_ashr_i32 s3, s0, 31
	s_lshr_b64 s[12:13], s[2:3], 2
	s_lshr_b32 s0, s3, 2
	v_mad_u64_u32 v[4:5], null, s12, v3, 0
	s_mov_b32 s2, s1
	s_ashr_i32 s3, s1, 31
	s_and_b32 s12, s1, -4
	s_and_b32 s13, s3, 0x3fffffff
	s_lshl_b64 s[28:29], s[12:13], 2
	v_mov_b32_e32 v2, v5
	v_mad_u64_u32 v[5:6], null, s0, v3, v[2:3]
	v_lshlrev_b32_e32 v2, 4, v0
	s_lshr_b64 s[0:1], s[2:3], 2
	v_lshlrev_b64 v[4:5], 2, v[4:5]
	v_add_co_u32 v4, vcc_lo, s8, v4
	v_add_co_ci_u32_e64 v5, null, s18, v5, vcc_lo
	s_lshl_b64 s[18:19], s[0:1], 3
	v_add_co_u32 v21, vcc_lo, v4, v2
	v_add_co_ci_u32_e64 v22, null, 0, v5, vcc_lo
	s_lshr_b32 s1, s3, 2
	v_add_co_u32 v9, vcc_lo, v21, s12
	global_load_dwordx4 v[5:8], v[21:22], off
	v_mad_u64_u32 v[23:24], null, s0, 12, v[21:22]
	v_mad_u64_u32 v[25:26], null, s0, 20, v[21:22]
	v_add_co_ci_u32_e64 v10, null, s3, v22, vcc_lo
	v_mad_u64_u32 v[29:30], null, s0, 24, v[21:22]
	v_add_co_u32 v13, vcc_lo, v21, s18
	v_mad_u64_u32 v[33:34], null, s0, 28, v[21:22]
	v_add_co_ci_u32_e64 v14, null, s19, v22, vcc_lo
	global_load_dwordx4 v[9:12], v[9:10], off
	v_add_co_u32 v17, vcc_lo, v21, s28
	v_mov_b32_e32 v4, v24
	v_mov_b32_e32 v21, v26
	v_add_co_ci_u32_e64 v18, null, s29, v22, vcc_lo
	s_clause 0x1
	global_load_dwordx4 v[13:16], v[13:14], off
	global_load_dwordx4 v[17:20], v[17:18], off
	v_mad_u64_u32 v[21:22], null, s1, 20, v[21:22]
	v_mov_b32_e32 v22, v34
	s_load_dword s0, s[4:5], 0x40
	s_cmp_eq_u64 s[22:23], 0
	v_mad_u64_u32 v[31:32], null, s1, 28, v[22:23]
	v_mov_b32_e32 v34, v31
	s_waitcnt vmcnt(3)
	v_mad_u64_u32 v[26:27], null, s1, 12, v[4:5]
	v_mov_b32_e32 v4, v30
	s_waitcnt lgkmcnt(0)
	v_fma_mixlo_f16 v6, s0, v6, 0
	v_fma_mixlo_f16 v8, s0, v8, 0
	;; [unrolled: 1-line block ×3, first 2 shown]
	v_mad_u64_u32 v[27:28], null, s1, 24, v[4:5]
	v_mov_b32_e32 v24, v26
	v_mov_b32_e32 v26, v21
	v_fma_mixlo_f16 v5, s0, v5, 0
	v_lshlrev_b32_e32 v6, 16, v6
	v_lshlrev_b32_e32 v8, 16, v8
	global_load_dwordx4 v[21:24], v[23:24], off
	v_mov_b32_e32 v30, v27
	global_load_dwordx4 v[25:28], v[25:26], off
	v_and_b32_e32 v5, 0xffff, v5
	s_clause 0x1
	global_load_dwordx4 v[29:32], v[29:30], off
	global_load_dwordx4 v[33:36], v[33:34], off
	v_and_b32_e32 v7, 0xffff, v7
	s_waitcnt vmcnt(6)
	v_fma_mixlo_f16 v9, s0, v9, 0
	v_fma_mixlo_f16 v10, s0, v10, 0
	v_fma_mixlo_f16 v11, s0, v11, 0
	v_fma_mixlo_f16 v12, s0, v12, 0
	s_waitcnt vmcnt(5)
	v_fma_mixlo_f16 v13, s0, v13, 0
	v_fma_mixlo_f16 v14, s0, v14, 0
	v_fma_mixlo_f16 v15, s0, v15, 0
	v_fma_mixlo_f16 v16, s0, v16, 0
	;; [unrolled: 5-line block ×3, first 2 shown]
	v_or_b32_e32 v5, v6, v5
	v_or3_b32 v6, v8, v7, 0
	v_lshlrev_b32_e32 v7, 16, v10
	v_and_b32_e32 v8, 0xffff, v9
	v_lshlrev_b32_e32 v9, 16, v12
	v_and_b32_e32 v10, 0xffff, v11
	;; [unrolled: 2-line block ×6, first 2 shown]
	v_or_b32_e32 v7, v7, v8
	v_or3_b32 v8, v9, v10, 0
	v_or3_b32 v10, v13, v14, 0
	v_or_b32_e32 v9, v11, v12
	v_or_b32_e32 v11, v15, v16
	v_or3_b32 v12, v17, v18, 0
	v_lshlrev_b32_e32 v4, 3, v0
	v_or3_b32 v5, 0, 0, v5
	v_or3_b32 v7, 0, 0, v7
	;; [unrolled: 1-line block ×4, first 2 shown]
	v_or_b32_e32 v37, v52, v4
	s_waitcnt vmcnt(3)
	v_fma_mixlo_f16 v13, s0, v21, 0
	v_fma_mixlo_f16 v14, s0, v22, 0
	;; [unrolled: 1-line block ×4, first 2 shown]
	s_waitcnt vmcnt(2)
	v_fma_mixlo_f16 v17, s0, v25, 0
	v_fma_mixlo_f16 v18, s0, v26, 0
	;; [unrolled: 1-line block ×4, first 2 shown]
	s_waitcnt vmcnt(1)
	v_fma_mixlo_f16 v21, s0, v29, 0
	v_fma_mixlo_f16 v22, s0, v30, 0
	s_waitcnt vmcnt(0)
	v_fma_mixlo_f16 v25, s0, v33, 0
	v_fma_mixlo_f16 v26, s0, v34, 0
	v_lshlrev_b32_e32 v14, 16, v14
	v_and_b32_e32 v13, 0xffff, v13
	v_lshlrev_b32_e32 v16, 16, v16
	v_and_b32_e32 v15, 0xffff, v15
	;; [unrolled: 2-line block ×3, first 2 shown]
	v_fma_mixlo_f16 v23, s0, v31, 0
	v_fma_mixlo_f16 v24, s0, v32, 0
	;; [unrolled: 1-line block ×4, first 2 shown]
	v_lshlrev_b32_e32 v20, 16, v20
	v_and_b32_e32 v19, 0xffff, v19
	v_lshlrev_b32_e32 v22, 16, v22
	v_and_b32_e32 v21, 0xffff, v21
	;; [unrolled: 2-line block ×3, first 2 shown]
	v_or_b32_e32 v13, v14, v13
	v_or3_b32 v14, v16, v15, 0
	v_or_b32_e32 v15, v18, v17
	v_lshlrev_b32_e32 v24, 16, v24
	v_and_b32_e32 v23, 0xffff, v23
	v_lshlrev_b32_e32 v28, 16, v28
	v_and_b32_e32 v27, 0xffff, v27
	v_or3_b32 v16, v20, v19, 0
	v_or_b32_e32 v17, v22, v21
	v_or_b32_e32 v19, v26, v25
	v_or3_b32 v13, 0, 0, v13
	v_or3_b32 v15, 0, 0, v15
	;; [unrolled: 1-line block ×6, first 2 shown]
	ds_write2_b64 v37, v[5:6], v[7:8] offset1:32
	ds_write2_b64 v37, v[9:10], v[13:14] offset0:64 offset1:96
	ds_write2_b64 v37, v[11:12], v[15:16] offset0:128 offset1:160
	;; [unrolled: 1-line block ×3, first 2 shown]
	s_waitcnt lgkmcnt(0)
	s_barrier
	buffer_gl0_inv
	s_cbranch_scc1 .LBB0_4
; %bb.3:
	s_load_dword s0, s[4:5], 0xd0
	s_mov_b32 s1, 0
	s_waitcnt lgkmcnt(0)
	s_mul_i32 s0, s0, s33
	s_add_i32 s0, s0, s6
	s_lshl_b64 s[0:1], s[0:1], 2
	s_add_u32 s0, s22, s0
	s_addc_u32 s1, s23, s1
	s_load_dword s38, s[0:1], 0x0
.LBB0_4:
	v_mbcnt_lo_u32_b32 v57, -1, 0
	s_lshl_b32 s22, s34, 6
	s_waitcnt lgkmcnt(0)
	s_cmp_lt_i32 s22, s38
	s_cbranch_scc1 .LBB0_7
; %bb.5:
	v_mbcnt_lo_u32_b32 v10, -1, 0
	v_mov_b32_e32 v9, 32
	v_xor_b32_e32 v60, 16, v10
	v_xor_b32_e32 v56, 8, v10
	;; [unrolled: 1-line block ×5, first 2 shown]
	v_lshlrev_b32_e32 v51, 2, v0
	s_cbranch_execz .LBB0_8
; %bb.6:
	v_mov_b32_e32 v95, 0
	v_mov_b32_e32 v58, 0
	;; [unrolled: 1-line block ×32, first 2 shown]
	s_branch .LBB0_11
.LBB0_7:
                                        ; implicit-def: $vgpr10
                                        ; implicit-def: $vgpr9
                                        ; implicit-def: $vgpr60
                                        ; implicit-def: $vgpr56
                                        ; implicit-def: $vgpr55
                                        ; implicit-def: $vgpr54
                                        ; implicit-def: $vgpr53
	v_lshlrev_b32_e32 v51, 2, v0
.LBB0_8:
	s_clause 0x1
	s_load_dwordx4 s[0:3], s[4:5], 0x98
	s_load_dwordx2 s[12:13], s[4:5], 0x8c
	s_sub_i32 s6, 0, s7
	s_abs_i32 s8, s36
	s_mul_i32 s6, s6, s11
	s_ashr_i32 s29, s36, 31
	s_mul_hi_u32 s6, s11, s6
	s_ashr_i32 s10, s10, 31
	s_add_i32 s11, s11, s6
	s_ashr_i32 s6, s9, 1
	s_mul_hi_u32 s9, s8, s11
	s_ashr_i32 s11, s33, 31
	s_load_dwordx2 s[18:19], s[4:5], 0xa8
	s_mul_i32 s35, s9, s7
	v_lshrrev_b32_e32 v5, 3, v0
	v_lshrrev_b32_e32 v8, 4, v0
	v_and_b32_e32 v13, 28, v51
	v_and_b32_e32 v14, 60, v51
	v_lshl_add_u32 v70, v1, 10, 0x6400
	v_lshl_add_u32 v6, v1, 2, v5
	s_waitcnt lgkmcnt(0)
	s_ashr_i32 s23, s2, 2
	s_ashr_i32 s28, s12, 2
	s_mul_hi_u32 s2, s0, s33
	s_mul_i32 s12, s0, s11
	s_mul_i32 s1, s1, s33
	s_add_i32 s2, s2, s12
	s_mul_i32 s0, s0, s33
	s_add_i32 s2, s2, s1
	s_add_u32 s0, s14, s0
	s_addc_u32 s1, s15, s2
	s_sub_i32 s8, s8, s35
	s_xor_b32 s2, s29, s10
	s_add_i32 s10, s9, 1
	s_sub_i32 s12, s8, s7
	s_cmp_ge_u32 s8, s7
	v_lshl_add_u32 v11, v1, 1, v8
	s_cselect_b32 s9, s10, s9
	s_cselect_b32 s8, s12, s8
	s_add_i32 s10, s9, 1
	s_cmp_ge_u32 s8, s7
	v_mul_lo_u32 v5, s28, v6
	v_mul_lo_u32 v9, s23, v11
	s_cselect_b32 s7, s10, s9
	v_lshlrev_b32_e32 v7, 2, v13
	v_lshlrev_b32_e32 v12, 2, v14
	s_xor_b32 s7, s7, s2
	s_mul_hi_u32 s8, s18, s33
	s_sub_i32 s2, s7, s2
	v_mad_u32_u24 v10, 0x90, v6, v7
	s_mul_i32 s9, s2, s13
	v_lshl_add_u32 v7, s28, 5, v5
	v_lshl_or_b32 v12, v11, 8, v12
	v_lshl_add_u32 v11, s23, 4, v9
	s_mul_i32 s7, s18, s11
	s_ashr_i32 s11, s9, 31
	s_add_u32 s29, s0, s9
	s_mul_i32 s10, s19, s33
	s_addc_u32 s35, s1, s11
	s_add_i32 s0, s8, s7
	s_mul_i32 s1, s18, s33
	v_add_nc_u32_e32 v67, 0x4000, v10
	v_ashrrev_i32_e32 v6, 31, v5
	v_add_nc_u32_e32 v68, 0x5200, v10
	v_ashrrev_i32_e32 v8, 31, v7
	;; [unrolled: 2-line block ×4, first 2 shown]
	s_add_i32 s0, s0, s10
	s_mul_i32 s2, s2, s3
	v_or_b32_e32 v73, 0x4000, v4
	s_add_u32 s1, s16, s1
	s_addc_u32 s0, s17, s0
	s_ashr_i32 s3, s2, 31
	v_mad_u64_u32 v[42:43], null, v3, s6, v[0:1]
	s_add_u32 s17, s1, s2
	s_movk_i32 s1, 0x4000
	v_lshlrev_b64 v[43:44], 2, v[5:6]
	v_lshlrev_b64 v[45:46], 2, v[7:8]
	;; [unrolled: 1-line block ×4, first 2 shown]
	v_mov_b32_e32 v81, 0
	v_mad_u32_u24 v69, 0x90, v0, s1
	v_mov_b32_e32 v1, 0xfeffffff
	v_lshlrev_b32_e32 v74, 2, v13
	v_xor_b32_e32 v60, 16, v57
	v_xor_b32_e32 v56, 8, v57
	;; [unrolled: 1-line block ×5, first 2 shown]
	v_add_nc_u32_e32 v75, v70, v2
	v_lshlrev_b32_e32 v76, 2, v14
	v_mov_b32_e32 v77, 0x10001
	v_add_nc_u32_e32 v78, 0x800, v73
	v_add_nc_u32_e32 v79, 0x1000, v73
	;; [unrolled: 1-line block ×3, first 2 shown]
	v_mov_b32_e32 v82, 0
	v_mov_b32_e32 v84, 0
	;; [unrolled: 1-line block ×30, first 2 shown]
	s_addc_u32 s37, s0, s3
	s_add_u32 s18, s4, 0xd0
	s_addc_u32 s19, s5, 0
.LBB0_9:                                ; =>This Inner Loop Header: Depth=1
	v_cmp_gt_i32_e32 vcc_lo, 32, v60
	v_mov_b32_e32 v102, v3
	v_mov_b32_e32 v101, v4
	;; [unrolled: 1-line block ×3, first 2 shown]
	s_mul_hi_i32 s1, s22, s28
	v_cndmask_b32_e32 v3, v57, v60, vcc_lo
	v_cmp_gt_i32_e32 vcc_lo, 32, v56
	s_mul_i32 s0, s22, s28
	v_mov_b32_e32 v99, v6
	v_mov_b32_e32 v104, v1
	v_add_nc_u32_e32 v1, s22, v42
	v_cndmask_b32_e32 v4, v57, v56, vcc_lo
	v_cmp_gt_i32_e32 vcc_lo, 32, v55
	s_lshl_b64 s[0:1], s[0:1], 2
	s_mul_hi_i32 s3, s22, s23
	s_mul_i32 s2, s22, s23
	s_add_u32 s0, s29, s0
	v_cndmask_b32_e32 v5, v57, v55, vcc_lo
	v_cmp_gt_i32_e32 vcc_lo, 32, v54
	s_addc_u32 s1, s35, s1
	s_lshl_b64 s[2:3], s[2:3], 2
	v_mov_b32_e32 v98, v7
	v_lshlrev_b32_e32 v37, 2, v3
	v_cndmask_b32_e32 v6, v57, v54, vcc_lo
	v_cmp_gt_i32_e32 vcc_lo, 32, v53
	v_lshlrev_b32_e32 v36, 2, v4
	v_mov_b32_e32 v103, v2
	v_ashrrev_i32_e32 v2, 31, v1
	s_add_u32 s2, s17, s2
	v_cndmask_b32_e32 v7, v57, v53, vcc_lo
	v_add_co_u32 v3, vcc_lo, s0, v45
	v_add_co_u32 v4, s0, s0, v43
	v_mov_b32_e32 v97, v8
	v_add_co_ci_u32_e64 v8, null, s1, v44, s0
	v_add_co_ci_u32_e64 v11, null, s1, v46, vcc_lo
	s_addc_u32 s1, s37, s3
	v_add_co_u32 v13, s0, s2, v49
	v_add_co_u32 v12, vcc_lo, s2, v47
	v_add_co_ci_u32_e64 v14, null, s1, v50, s0
	v_add_co_u32 v9, s0, v4, v74
	v_lshlrev_b32_e32 v35, 2, v5
	v_lshlrev_b32_e32 v34, 2, v6
	;; [unrolled: 1-line block ×3, first 2 shown]
	v_lshlrev_b64 v[5:6], 1, v[1:2]
	v_add_co_ci_u32_e64 v2, null, s1, v48, vcc_lo
	v_add_co_u32 v7, vcc_lo, v3, v74
	v_add_co_ci_u32_e64 v10, null, 0, v8, s0
	v_add_co_ci_u32_e64 v8, null, 0, v11, vcc_lo
	v_add_co_u32 v1, vcc_lo, v13, v76
	v_add_co_u32 v3, s0, v12, v76
	v_add_co_ci_u32_e64 v4, null, 0, v2, s0
	v_add_co_ci_u32_e64 v2, null, 0, v14, vcc_lo
	s_clause 0x1
	global_load_dwordx4 v[11:14], v[9:10], off
	global_load_dwordx4 v[105:108], v[7:8], off
	v_mov_b32_e32 v17, 0
	v_mov_b32_e32 v18, 0
	;; [unrolled: 1-line block ×16, first 2 shown]
	v_add_co_u32 v5, vcc_lo, s40, v5
	v_add_co_ci_u32_e64 v6, null, s41, v6, vcc_lo
	s_waitcnt vmcnt(1)
	ds_write_b128 v67, v[11:14]
	s_waitcnt vmcnt(0)
	ds_write_b128 v68, v[105:108]
	s_waitcnt lgkmcnt(0)
	s_barrier
	buffer_gl0_inv
	ds_read_b128 v[11:14], v69
	ds_read_b128 v[105:108], v52
	ds_read_b128 v[109:112], v52 offset:256
	ds_read_b128 v[113:116], v52 offset:512
	;; [unrolled: 1-line block ×8, first 2 shown]
	s_waitcnt lgkmcnt(8)
	;;#ASMSTART
	v_dot2_f32_f16 v17, v11, v105, v17
	;;#ASMEND
	;;#ASMSTART
	v_dot2_f32_f16 v17, v12, v106, v17
	;;#ASMEND
	;;#ASMSTART
	v_dot2_f32_f16 v17, v13, v107, v17
	;;#ASMEND
	;;#ASMSTART
	v_dot2_f32_f16 v17, v14, v108, v17
	;;#ASMEND
	s_waitcnt lgkmcnt(7)
	;;#ASMSTART
	v_dot2_f32_f16 v18, v11, v109, v18
	;;#ASMEND
	;;#ASMSTART
	v_dot2_f32_f16 v18, v12, v110, v18
	;;#ASMEND
	;;#ASMSTART
	v_dot2_f32_f16 v18, v13, v111, v18
	;;#ASMEND
	;;#ASMSTART
	v_dot2_f32_f16 v18, v14, v112, v18
	;;#ASMEND
	;; [unrolled: 13-line block ×8, first 2 shown]
	;;#ASMSTART
	v_dot2_f32_f16 v25, v121, v105, v25
	;;#ASMEND
	;;#ASMSTART
	v_dot2_f32_f16 v25, v122, v106, v25
	;;#ASMEND
	;;#ASMSTART
	v_dot2_f32_f16 v25, v123, v107, v25
	;;#ASMEND
	;;#ASMSTART
	v_dot2_f32_f16 v25, v124, v108, v25
	;;#ASMEND
	;;#ASMSTART
	v_dot2_f32_f16 v26, v121, v109, v26
	;;#ASMEND
	;;#ASMSTART
	v_dot2_f32_f16 v26, v122, v110, v26
	;;#ASMEND
	;;#ASMSTART
	v_dot2_f32_f16 v26, v123, v111, v26
	;;#ASMEND
	;;#ASMSTART
	v_dot2_f32_f16 v26, v124, v112, v26
	;;#ASMEND
	;;#ASMSTART
	v_dot2_f32_f16 v27, v121, v113, v27
	;;#ASMEND
	;;#ASMSTART
	v_dot2_f32_f16 v27, v122, v114, v27
	;;#ASMEND
	;;#ASMSTART
	v_dot2_f32_f16 v27, v123, v115, v27
	;;#ASMEND
	;;#ASMSTART
	v_dot2_f32_f16 v27, v124, v116, v27
	;;#ASMEND
	;;#ASMSTART
	v_dot2_f32_f16 v28, v121, v117, v28
	;;#ASMEND
	;;#ASMSTART
	v_dot2_f32_f16 v28, v122, v118, v28
	;;#ASMEND
	;;#ASMSTART
	v_dot2_f32_f16 v28, v123, v119, v28
	;;#ASMEND
	;;#ASMSTART
	v_dot2_f32_f16 v28, v124, v120, v28
	;;#ASMEND
	;;#ASMSTART
	v_dot2_f32_f16 v29, v121, v125, v29
	;;#ASMEND
	;;#ASMSTART
	v_dot2_f32_f16 v29, v122, v126, v29
	;;#ASMEND
	;;#ASMSTART
	v_dot2_f32_f16 v29, v123, v127, v29
	;;#ASMEND
	;;#ASMSTART
	v_dot2_f32_f16 v29, v124, v128, v29
	;;#ASMEND
	;;#ASMSTART
	v_dot2_f32_f16 v30, v121, v129, v30
	;;#ASMEND
	;;#ASMSTART
	v_dot2_f32_f16 v30, v122, v130, v30
	;;#ASMEND
	;;#ASMSTART
	v_dot2_f32_f16 v30, v123, v131, v30
	;;#ASMEND
	;;#ASMSTART
	v_dot2_f32_f16 v30, v124, v132, v30
	;;#ASMEND
	;;#ASMSTART
	v_dot2_f32_f16 v31, v121, v133, v31
	;;#ASMEND
	;;#ASMSTART
	v_dot2_f32_f16 v31, v122, v134, v31
	;;#ASMEND
	;;#ASMSTART
	v_dot2_f32_f16 v31, v123, v135, v31
	;;#ASMEND
	;;#ASMSTART
	v_dot2_f32_f16 v31, v124, v136, v31
	;;#ASMEND
	;;#ASMSTART
	v_dot2_f32_f16 v32, v121, v137, v32
	;;#ASMEND
	;;#ASMSTART
	v_dot2_f32_f16 v32, v122, v138, v32
	;;#ASMEND
	;;#ASMSTART
	v_dot2_f32_f16 v32, v123, v139, v32
	;;#ASMEND
	;;#ASMSTART
	v_dot2_f32_f16 v32, v124, v140, v32
	;;#ASMEND
	ds_read_b128 v[11:14], v69 offset:16
	ds_read_b128 v[105:108], v52 offset:16
	;; [unrolled: 1-line block ×10, first 2 shown]
	s_waitcnt lgkmcnt(8)
	;;#ASMSTART
	v_dot2_f32_f16 v17, v11, v105, v17
	;;#ASMEND
	;;#ASMSTART
	v_dot2_f32_f16 v17, v12, v106, v17
	;;#ASMEND
	;;#ASMSTART
	v_dot2_f32_f16 v17, v13, v107, v17
	;;#ASMEND
	;;#ASMSTART
	v_dot2_f32_f16 v17, v14, v108, v17
	;;#ASMEND
	s_waitcnt lgkmcnt(7)
	;;#ASMSTART
	v_dot2_f32_f16 v18, v11, v109, v18
	;;#ASMEND
	;;#ASMSTART
	v_dot2_f32_f16 v18, v12, v110, v18
	;;#ASMEND
	;;#ASMSTART
	v_dot2_f32_f16 v18, v13, v111, v18
	;;#ASMEND
	;;#ASMSTART
	v_dot2_f32_f16 v18, v14, v112, v18
	;;#ASMEND
	;; [unrolled: 13-line block ×8, first 2 shown]
	;;#ASMSTART
	v_dot2_f32_f16 v25, v121, v105, v25
	;;#ASMEND
	;;#ASMSTART
	v_dot2_f32_f16 v25, v122, v106, v25
	;;#ASMEND
	;; [unrolled: 3-line block ×32, first 2 shown]
	ds_read_b128 v[11:14], v69 offset:32
	ds_read_b128 v[105:108], v52 offset:32
	;; [unrolled: 1-line block ×10, first 2 shown]
	s_waitcnt lgkmcnt(8)
	;;#ASMSTART
	v_dot2_f32_f16 v17, v11, v105, v17
	;;#ASMEND
	;;#ASMSTART
	v_dot2_f32_f16 v17, v12, v106, v17
	;;#ASMEND
	;;#ASMSTART
	v_dot2_f32_f16 v17, v13, v107, v17
	;;#ASMEND
	;;#ASMSTART
	v_dot2_f32_f16 v17, v14, v108, v17
	;;#ASMEND
	s_waitcnt lgkmcnt(7)
	;;#ASMSTART
	v_dot2_f32_f16 v18, v11, v109, v18
	;;#ASMEND
	;;#ASMSTART
	v_dot2_f32_f16 v18, v12, v110, v18
	;;#ASMEND
	;;#ASMSTART
	v_dot2_f32_f16 v18, v13, v111, v18
	;;#ASMEND
	;;#ASMSTART
	v_dot2_f32_f16 v18, v14, v112, v18
	;;#ASMEND
	;; [unrolled: 13-line block ×8, first 2 shown]
	;;#ASMSTART
	v_dot2_f32_f16 v25, v121, v105, v25
	;;#ASMEND
	;;#ASMSTART
	v_dot2_f32_f16 v25, v122, v106, v25
	;;#ASMEND
	;; [unrolled: 3-line block ×32, first 2 shown]
	ds_read_b128 v[11:14], v69 offset:48
	ds_read_b128 v[105:108], v52 offset:48
	;; [unrolled: 1-line block ×10, first 2 shown]
	s_waitcnt lgkmcnt(8)
	;;#ASMSTART
	v_dot2_f32_f16 v17, v11, v105, v17
	;;#ASMEND
	;;#ASMSTART
	v_dot2_f32_f16 v17, v12, v106, v17
	;;#ASMEND
	;;#ASMSTART
	v_dot2_f32_f16 v17, v13, v107, v17
	;;#ASMEND
	;;#ASMSTART
	v_dot2_f32_f16 v17, v14, v108, v17
	;;#ASMEND
	s_waitcnt lgkmcnt(7)
	;;#ASMSTART
	v_dot2_f32_f16 v18, v11, v109, v18
	;;#ASMEND
	;;#ASMSTART
	v_dot2_f32_f16 v18, v12, v110, v18
	;;#ASMEND
	;;#ASMSTART
	v_dot2_f32_f16 v18, v13, v111, v18
	;;#ASMEND
	;;#ASMSTART
	v_dot2_f32_f16 v18, v14, v112, v18
	;;#ASMEND
	;; [unrolled: 13-line block ×8, first 2 shown]
	;;#ASMSTART
	v_dot2_f32_f16 v25, v121, v105, v25
	;;#ASMEND
	;;#ASMSTART
	v_dot2_f32_f16 v25, v122, v106, v25
	;;#ASMEND
	;; [unrolled: 3-line block ×32, first 2 shown]
	ds_read_b128 v[11:14], v69 offset:64
	ds_read_b128 v[105:108], v52 offset:64
	;; [unrolled: 1-line block ×10, first 2 shown]
	s_waitcnt lgkmcnt(8)
	;;#ASMSTART
	v_dot2_f32_f16 v17, v11, v105, v17
	;;#ASMEND
	;;#ASMSTART
	v_dot2_f32_f16 v17, v12, v106, v17
	;;#ASMEND
	;;#ASMSTART
	v_dot2_f32_f16 v17, v13, v107, v17
	;;#ASMEND
	;;#ASMSTART
	v_dot2_f32_f16 v17, v14, v108, v17
	;;#ASMEND
	s_waitcnt lgkmcnt(7)
	;;#ASMSTART
	v_dot2_f32_f16 v18, v11, v109, v18
	;;#ASMEND
	;;#ASMSTART
	v_dot2_f32_f16 v18, v12, v110, v18
	;;#ASMEND
	;;#ASMSTART
	v_dot2_f32_f16 v18, v13, v111, v18
	;;#ASMEND
	;;#ASMSTART
	v_dot2_f32_f16 v18, v14, v112, v18
	;;#ASMEND
	;; [unrolled: 13-line block ×8, first 2 shown]
	;;#ASMSTART
	v_dot2_f32_f16 v25, v121, v105, v25
	;;#ASMEND
	;;#ASMSTART
	v_dot2_f32_f16 v25, v122, v106, v25
	;;#ASMEND
	;; [unrolled: 3-line block ×32, first 2 shown]
	ds_read_b128 v[11:14], v69 offset:80
	ds_read_b128 v[105:108], v52 offset:80
	;; [unrolled: 1-line block ×10, first 2 shown]
	s_waitcnt lgkmcnt(8)
	;;#ASMSTART
	v_dot2_f32_f16 v17, v11, v105, v17
	;;#ASMEND
	;;#ASMSTART
	v_dot2_f32_f16 v17, v12, v106, v17
	;;#ASMEND
	;;#ASMSTART
	v_dot2_f32_f16 v17, v13, v107, v17
	;;#ASMEND
	;;#ASMSTART
	v_dot2_f32_f16 v17, v14, v108, v17
	;;#ASMEND
	s_waitcnt lgkmcnt(7)
	;;#ASMSTART
	v_dot2_f32_f16 v18, v11, v109, v18
	;;#ASMEND
	;;#ASMSTART
	v_dot2_f32_f16 v18, v12, v110, v18
	;;#ASMEND
	;;#ASMSTART
	v_dot2_f32_f16 v18, v13, v111, v18
	;;#ASMEND
	;;#ASMSTART
	v_dot2_f32_f16 v18, v14, v112, v18
	;;#ASMEND
	;; [unrolled: 13-line block ×8, first 2 shown]
	;;#ASMSTART
	v_dot2_f32_f16 v25, v121, v105, v25
	;;#ASMEND
	;;#ASMSTART
	v_dot2_f32_f16 v25, v122, v106, v25
	;;#ASMEND
	;; [unrolled: 3-line block ×32, first 2 shown]
	ds_read_b128 v[11:14], v69 offset:96
	ds_read_b128 v[105:108], v52 offset:96
	;; [unrolled: 1-line block ×10, first 2 shown]
	s_waitcnt lgkmcnt(8)
	;;#ASMSTART
	v_dot2_f32_f16 v17, v11, v105, v17
	;;#ASMEND
	;;#ASMSTART
	v_dot2_f32_f16 v17, v12, v106, v17
	;;#ASMEND
	;;#ASMSTART
	v_dot2_f32_f16 v17, v13, v107, v17
	;;#ASMEND
	;;#ASMSTART
	v_dot2_f32_f16 v17, v14, v108, v17
	;;#ASMEND
	s_waitcnt lgkmcnt(7)
	;;#ASMSTART
	v_dot2_f32_f16 v18, v11, v109, v18
	;;#ASMEND
	;;#ASMSTART
	v_dot2_f32_f16 v18, v12, v110, v18
	;;#ASMEND
	;;#ASMSTART
	v_dot2_f32_f16 v18, v13, v111, v18
	;;#ASMEND
	;;#ASMSTART
	v_dot2_f32_f16 v18, v14, v112, v18
	;;#ASMEND
	;; [unrolled: 13-line block ×8, first 2 shown]
	;;#ASMSTART
	v_dot2_f32_f16 v25, v121, v105, v25
	;;#ASMEND
	;;#ASMSTART
	v_dot2_f32_f16 v25, v122, v106, v25
	;;#ASMEND
	;; [unrolled: 3-line block ×32, first 2 shown]
	ds_read_b128 v[11:14], v69 offset:112
	ds_read_b128 v[105:108], v52 offset:112
	;; [unrolled: 1-line block ×10, first 2 shown]
	s_waitcnt lgkmcnt(8)
	;;#ASMSTART
	v_dot2_f32_f16 v17, v11, v105, v17
	;;#ASMEND
	;;#ASMSTART
	v_dot2_f32_f16 v17, v12, v106, v17
	;;#ASMEND
	;;#ASMSTART
	v_dot2_f32_f16 v17, v13, v107, v17
	;;#ASMEND
	;;#ASMSTART
	v_dot2_f32_f16 v17, v14, v108, v17
	;;#ASMEND
	s_waitcnt lgkmcnt(7)
	;;#ASMSTART
	v_dot2_f32_f16 v18, v11, v109, v18
	;;#ASMEND
	;;#ASMSTART
	v_dot2_f32_f16 v18, v12, v110, v18
	;;#ASMEND
	;;#ASMSTART
	v_dot2_f32_f16 v18, v13, v111, v18
	;;#ASMEND
	;;#ASMSTART
	v_dot2_f32_f16 v18, v14, v112, v18
	;;#ASMEND
	;; [unrolled: 13-line block ×8, first 2 shown]
	;;#ASMSTART
	v_dot2_f32_f16 v25, v121, v105, v25
	;;#ASMEND
	;;#ASMSTART
	v_dot2_f32_f16 v25, v122, v106, v25
	;;#ASMEND
	;;#ASMSTART
	v_dot2_f32_f16 v25, v123, v107, v25
	;;#ASMEND
	;;#ASMSTART
	v_dot2_f32_f16 v25, v124, v108, v25
	;;#ASMEND
	;;#ASMSTART
	v_dot2_f32_f16 v26, v121, v109, v26
	;;#ASMEND
	;;#ASMSTART
	v_dot2_f32_f16 v26, v122, v110, v26
	;;#ASMEND
	;;#ASMSTART
	v_dot2_f32_f16 v26, v123, v111, v26
	;;#ASMEND
	;;#ASMSTART
	v_dot2_f32_f16 v26, v124, v112, v26
	;;#ASMEND
	;;#ASMSTART
	v_dot2_f32_f16 v27, v121, v113, v27
	;;#ASMEND
	;;#ASMSTART
	v_dot2_f32_f16 v27, v122, v114, v27
	;;#ASMEND
	;;#ASMSTART
	v_dot2_f32_f16 v27, v123, v115, v27
	;;#ASMEND
	;;#ASMSTART
	v_dot2_f32_f16 v27, v124, v116, v27
	;;#ASMEND
	;;#ASMSTART
	v_dot2_f32_f16 v28, v121, v117, v28
	;;#ASMEND
	;;#ASMSTART
	v_dot2_f32_f16 v28, v122, v118, v28
	;;#ASMEND
	;;#ASMSTART
	v_dot2_f32_f16 v28, v123, v119, v28
	;;#ASMEND
	;;#ASMSTART
	v_dot2_f32_f16 v28, v124, v120, v28
	;;#ASMEND
	;;#ASMSTART
	v_dot2_f32_f16 v29, v121, v125, v29
	;;#ASMEND
	;;#ASMSTART
	v_dot2_f32_f16 v29, v122, v126, v29
	;;#ASMEND
	;;#ASMSTART
	v_dot2_f32_f16 v29, v123, v127, v29
	;;#ASMEND
	;;#ASMSTART
	v_dot2_f32_f16 v29, v124, v128, v29
	;;#ASMEND
	;;#ASMSTART
	v_dot2_f32_f16 v30, v121, v129, v30
	;;#ASMEND
	;;#ASMSTART
	v_dot2_f32_f16 v30, v122, v130, v30
	;;#ASMEND
	;;#ASMSTART
	v_dot2_f32_f16 v30, v123, v131, v30
	;;#ASMEND
	;;#ASMSTART
	v_dot2_f32_f16 v30, v124, v132, v30
	;;#ASMEND
	;;#ASMSTART
	v_dot2_f32_f16 v31, v121, v133, v31
	;;#ASMEND
	;;#ASMSTART
	v_dot2_f32_f16 v31, v122, v134, v31
	;;#ASMEND
	;;#ASMSTART
	v_dot2_f32_f16 v31, v123, v135, v31
	;;#ASMEND
	;;#ASMSTART
	v_dot2_f32_f16 v31, v124, v136, v31
	;;#ASMEND
	;;#ASMSTART
	v_dot2_f32_f16 v32, v121, v137, v32
	;;#ASMEND
	;;#ASMSTART
	v_dot2_f32_f16 v32, v122, v138, v32
	;;#ASMEND
	;;#ASMSTART
	v_dot2_f32_f16 v32, v123, v139, v32
	;;#ASMEND
	;;#ASMSTART
	v_dot2_f32_f16 v32, v124, v140, v32
	;;#ASMEND
	s_barrier
	buffer_gl0_inv
	s_clause 0x1
	global_load_dwordx4 v[9:12], v[9:10], off offset:128
	global_load_dwordx4 v[13:16], v[7:8], off offset:128
	s_waitcnt vmcnt(1)
	ds_write_b128 v67, v[9:12]
	s_waitcnt vmcnt(0)
	ds_write_b128 v68, v[13:16]
	s_waitcnt lgkmcnt(0)
	s_barrier
	buffer_gl0_inv
	ds_read_b128 v[7:10], v69
	ds_read_b128 v[11:14], v52 offset:128
	ds_read_b128 v[105:108], v52 offset:384
	;; [unrolled: 1-line block ×9, first 2 shown]
	s_waitcnt lgkmcnt(8)
	;;#ASMSTART
	v_dot2_f32_f16 v17, v7, v11, v17
	;;#ASMEND
	;;#ASMSTART
	v_dot2_f32_f16 v17, v8, v12, v17
	;;#ASMEND
	;;#ASMSTART
	v_dot2_f32_f16 v17, v9, v13, v17
	;;#ASMEND
	;;#ASMSTART
	v_dot2_f32_f16 v17, v10, v14, v17
	;;#ASMEND
	s_waitcnt lgkmcnt(7)
	;;#ASMSTART
	v_dot2_f32_f16 v18, v7, v105, v18
	;;#ASMEND
	;;#ASMSTART
	v_dot2_f32_f16 v18, v8, v106, v18
	;;#ASMEND
	;;#ASMSTART
	v_dot2_f32_f16 v18, v9, v107, v18
	;;#ASMEND
	;;#ASMSTART
	v_dot2_f32_f16 v18, v10, v108, v18
	;;#ASMEND
	s_waitcnt lgkmcnt(6)
	;;#ASMSTART
	v_dot2_f32_f16 v19, v7, v109, v19
	;;#ASMEND
	;;#ASMSTART
	v_dot2_f32_f16 v19, v8, v110, v19
	;;#ASMEND
	;;#ASMSTART
	v_dot2_f32_f16 v19, v9, v111, v19
	;;#ASMEND
	;;#ASMSTART
	v_dot2_f32_f16 v19, v10, v112, v19
	;;#ASMEND
	s_waitcnt lgkmcnt(5)
	;;#ASMSTART
	v_dot2_f32_f16 v20, v7, v113, v20
	;;#ASMEND
	;;#ASMSTART
	v_dot2_f32_f16 v20, v8, v114, v20
	;;#ASMEND
	;;#ASMSTART
	v_dot2_f32_f16 v20, v9, v115, v20
	;;#ASMEND
	;;#ASMSTART
	v_dot2_f32_f16 v20, v10, v116, v20
	;;#ASMEND
	s_waitcnt lgkmcnt(3)
	;;#ASMSTART
	v_dot2_f32_f16 v21, v7, v121, v21
	;;#ASMEND
	;;#ASMSTART
	v_dot2_f32_f16 v21, v8, v122, v21
	;;#ASMEND
	;;#ASMSTART
	v_dot2_f32_f16 v21, v9, v123, v21
	;;#ASMEND
	;;#ASMSTART
	v_dot2_f32_f16 v21, v10, v124, v21
	;;#ASMEND
	s_waitcnt lgkmcnt(2)
	;;#ASMSTART
	v_dot2_f32_f16 v22, v7, v125, v22
	;;#ASMEND
	;;#ASMSTART
	v_dot2_f32_f16 v22, v8, v126, v22
	;;#ASMEND
	;;#ASMSTART
	v_dot2_f32_f16 v22, v9, v127, v22
	;;#ASMEND
	;;#ASMSTART
	v_dot2_f32_f16 v22, v10, v128, v22
	;;#ASMEND
	s_waitcnt lgkmcnt(1)
	;;#ASMSTART
	v_dot2_f32_f16 v23, v7, v129, v23
	;;#ASMEND
	;;#ASMSTART
	v_dot2_f32_f16 v23, v8, v130, v23
	;;#ASMEND
	;;#ASMSTART
	v_dot2_f32_f16 v23, v9, v131, v23
	;;#ASMEND
	;;#ASMSTART
	v_dot2_f32_f16 v23, v10, v132, v23
	;;#ASMEND
	s_waitcnt lgkmcnt(0)
	;;#ASMSTART
	v_dot2_f32_f16 v24, v7, v133, v24
	;;#ASMEND
	;;#ASMSTART
	v_dot2_f32_f16 v24, v8, v134, v24
	;;#ASMEND
	;;#ASMSTART
	v_dot2_f32_f16 v24, v9, v135, v24
	;;#ASMEND
	;;#ASMSTART
	v_dot2_f32_f16 v24, v10, v136, v24
	;;#ASMEND
	;;#ASMSTART
	v_dot2_f32_f16 v25, v117, v11, v25
	;;#ASMEND
	;;#ASMSTART
	v_dot2_f32_f16 v25, v118, v12, v25
	;;#ASMEND
	;; [unrolled: 3-line block ×32, first 2 shown]
	ds_read_b128 v[7:10], v69 offset:16
	ds_read_b128 v[11:14], v52 offset:144
	;; [unrolled: 1-line block ×10, first 2 shown]
	s_waitcnt lgkmcnt(8)
	;;#ASMSTART
	v_dot2_f32_f16 v17, v7, v11, v17
	;;#ASMEND
	;;#ASMSTART
	v_dot2_f32_f16 v17, v8, v12, v17
	;;#ASMEND
	;;#ASMSTART
	v_dot2_f32_f16 v17, v9, v13, v17
	;;#ASMEND
	;;#ASMSTART
	v_dot2_f32_f16 v17, v10, v14, v17
	;;#ASMEND
	s_waitcnt lgkmcnt(7)
	;;#ASMSTART
	v_dot2_f32_f16 v18, v7, v105, v18
	;;#ASMEND
	;;#ASMSTART
	v_dot2_f32_f16 v18, v8, v106, v18
	;;#ASMEND
	;;#ASMSTART
	v_dot2_f32_f16 v18, v9, v107, v18
	;;#ASMEND
	;;#ASMSTART
	v_dot2_f32_f16 v18, v10, v108, v18
	;;#ASMEND
	;; [unrolled: 13-line block ×8, first 2 shown]
	;;#ASMSTART
	v_dot2_f32_f16 v25, v117, v11, v25
	;;#ASMEND
	;;#ASMSTART
	v_dot2_f32_f16 v25, v118, v12, v25
	;;#ASMEND
	;; [unrolled: 3-line block ×32, first 2 shown]
	ds_read_b128 v[7:10], v69 offset:32
	ds_read_b128 v[11:14], v52 offset:160
	;; [unrolled: 1-line block ×10, first 2 shown]
	s_waitcnt lgkmcnt(8)
	;;#ASMSTART
	v_dot2_f32_f16 v17, v7, v11, v17
	;;#ASMEND
	;;#ASMSTART
	v_dot2_f32_f16 v17, v8, v12, v17
	;;#ASMEND
	;;#ASMSTART
	v_dot2_f32_f16 v17, v9, v13, v17
	;;#ASMEND
	;;#ASMSTART
	v_dot2_f32_f16 v17, v10, v14, v17
	;;#ASMEND
	s_waitcnt lgkmcnt(7)
	;;#ASMSTART
	v_dot2_f32_f16 v18, v7, v105, v18
	;;#ASMEND
	;;#ASMSTART
	v_dot2_f32_f16 v18, v8, v106, v18
	;;#ASMEND
	;;#ASMSTART
	v_dot2_f32_f16 v18, v9, v107, v18
	;;#ASMEND
	;;#ASMSTART
	v_dot2_f32_f16 v18, v10, v108, v18
	;;#ASMEND
	;; [unrolled: 13-line block ×8, first 2 shown]
	;;#ASMSTART
	v_dot2_f32_f16 v25, v117, v11, v25
	;;#ASMEND
	;;#ASMSTART
	v_dot2_f32_f16 v25, v118, v12, v25
	;;#ASMEND
	;; [unrolled: 3-line block ×32, first 2 shown]
	ds_read_b128 v[7:10], v69 offset:48
	ds_read_b128 v[11:14], v52 offset:176
	;; [unrolled: 1-line block ×10, first 2 shown]
	s_waitcnt lgkmcnt(8)
	;;#ASMSTART
	v_dot2_f32_f16 v17, v7, v11, v17
	;;#ASMEND
	;;#ASMSTART
	v_dot2_f32_f16 v17, v8, v12, v17
	;;#ASMEND
	;;#ASMSTART
	v_dot2_f32_f16 v17, v9, v13, v17
	;;#ASMEND
	;;#ASMSTART
	v_dot2_f32_f16 v17, v10, v14, v17
	;;#ASMEND
	s_waitcnt lgkmcnt(7)
	;;#ASMSTART
	v_dot2_f32_f16 v18, v7, v105, v18
	;;#ASMEND
	;;#ASMSTART
	v_dot2_f32_f16 v18, v8, v106, v18
	;;#ASMEND
	;;#ASMSTART
	v_dot2_f32_f16 v18, v9, v107, v18
	;;#ASMEND
	;;#ASMSTART
	v_dot2_f32_f16 v18, v10, v108, v18
	;;#ASMEND
	;; [unrolled: 13-line block ×8, first 2 shown]
	;;#ASMSTART
	v_dot2_f32_f16 v25, v117, v11, v25
	;;#ASMEND
	;;#ASMSTART
	v_dot2_f32_f16 v25, v118, v12, v25
	;;#ASMEND
	;;#ASMSTART
	v_dot2_f32_f16 v25, v119, v13, v25
	;;#ASMEND
	;;#ASMSTART
	v_dot2_f32_f16 v25, v120, v14, v25
	;;#ASMEND
	;;#ASMSTART
	v_dot2_f32_f16 v26, v117, v105, v26
	;;#ASMEND
	;;#ASMSTART
	v_dot2_f32_f16 v26, v118, v106, v26
	;;#ASMEND
	;;#ASMSTART
	v_dot2_f32_f16 v26, v119, v107, v26
	;;#ASMEND
	;;#ASMSTART
	v_dot2_f32_f16 v26, v120, v108, v26
	;;#ASMEND
	;;#ASMSTART
	v_dot2_f32_f16 v27, v117, v109, v27
	;;#ASMEND
	;;#ASMSTART
	v_dot2_f32_f16 v27, v118, v110, v27
	;;#ASMEND
	;;#ASMSTART
	v_dot2_f32_f16 v27, v119, v111, v27
	;;#ASMEND
	;;#ASMSTART
	v_dot2_f32_f16 v27, v120, v112, v27
	;;#ASMEND
	;;#ASMSTART
	v_dot2_f32_f16 v28, v117, v113, v28
	;;#ASMEND
	;;#ASMSTART
	v_dot2_f32_f16 v28, v118, v114, v28
	;;#ASMEND
	;;#ASMSTART
	v_dot2_f32_f16 v28, v119, v115, v28
	;;#ASMEND
	;;#ASMSTART
	v_dot2_f32_f16 v28, v120, v116, v28
	;;#ASMEND
	;;#ASMSTART
	v_dot2_f32_f16 v29, v117, v121, v29
	;;#ASMEND
	;;#ASMSTART
	v_dot2_f32_f16 v29, v118, v122, v29
	;;#ASMEND
	;;#ASMSTART
	v_dot2_f32_f16 v29, v119, v123, v29
	;;#ASMEND
	;;#ASMSTART
	v_dot2_f32_f16 v29, v120, v124, v29
	;;#ASMEND
	;;#ASMSTART
	v_dot2_f32_f16 v30, v117, v125, v30
	;;#ASMEND
	;;#ASMSTART
	v_dot2_f32_f16 v30, v118, v126, v30
	;;#ASMEND
	;;#ASMSTART
	v_dot2_f32_f16 v30, v119, v127, v30
	;;#ASMEND
	;;#ASMSTART
	v_dot2_f32_f16 v30, v120, v128, v30
	;;#ASMEND
	;;#ASMSTART
	v_dot2_f32_f16 v31, v117, v129, v31
	;;#ASMEND
	;;#ASMSTART
	v_dot2_f32_f16 v31, v118, v130, v31
	;;#ASMEND
	;;#ASMSTART
	v_dot2_f32_f16 v31, v119, v131, v31
	;;#ASMEND
	;;#ASMSTART
	v_dot2_f32_f16 v31, v120, v132, v31
	;;#ASMEND
	;;#ASMSTART
	v_dot2_f32_f16 v32, v117, v133, v32
	;;#ASMEND
	;;#ASMSTART
	v_dot2_f32_f16 v32, v118, v134, v32
	;;#ASMEND
	;;#ASMSTART
	v_dot2_f32_f16 v32, v119, v135, v32
	;;#ASMEND
	;;#ASMSTART
	v_dot2_f32_f16 v32, v120, v136, v32
	;;#ASMEND
	ds_read_b128 v[7:10], v69 offset:64
	ds_read_b128 v[11:14], v52 offset:192
	;; [unrolled: 1-line block ×10, first 2 shown]
	s_waitcnt lgkmcnt(8)
	;;#ASMSTART
	v_dot2_f32_f16 v17, v7, v11, v17
	;;#ASMEND
	;;#ASMSTART
	v_dot2_f32_f16 v17, v8, v12, v17
	;;#ASMEND
	;;#ASMSTART
	v_dot2_f32_f16 v17, v9, v13, v17
	;;#ASMEND
	;;#ASMSTART
	v_dot2_f32_f16 v17, v10, v14, v17
	;;#ASMEND
	s_waitcnt lgkmcnt(7)
	;;#ASMSTART
	v_dot2_f32_f16 v18, v7, v105, v18
	;;#ASMEND
	;;#ASMSTART
	v_dot2_f32_f16 v18, v8, v106, v18
	;;#ASMEND
	;;#ASMSTART
	v_dot2_f32_f16 v18, v9, v107, v18
	;;#ASMEND
	;;#ASMSTART
	v_dot2_f32_f16 v18, v10, v108, v18
	;;#ASMEND
	;; [unrolled: 13-line block ×8, first 2 shown]
	;;#ASMSTART
	v_dot2_f32_f16 v25, v117, v11, v25
	;;#ASMEND
	;;#ASMSTART
	v_dot2_f32_f16 v25, v118, v12, v25
	;;#ASMEND
	;; [unrolled: 3-line block ×32, first 2 shown]
	ds_read_b128 v[7:10], v69 offset:80
	ds_read_b128 v[11:14], v52 offset:208
	;; [unrolled: 1-line block ×10, first 2 shown]
	s_waitcnt lgkmcnt(8)
	;;#ASMSTART
	v_dot2_f32_f16 v17, v7, v11, v17
	;;#ASMEND
	;;#ASMSTART
	v_dot2_f32_f16 v17, v8, v12, v17
	;;#ASMEND
	;;#ASMSTART
	v_dot2_f32_f16 v17, v9, v13, v17
	;;#ASMEND
	;;#ASMSTART
	v_dot2_f32_f16 v17, v10, v14, v17
	;;#ASMEND
	s_waitcnt lgkmcnt(7)
	;;#ASMSTART
	v_dot2_f32_f16 v18, v7, v105, v18
	;;#ASMEND
	;;#ASMSTART
	v_dot2_f32_f16 v18, v8, v106, v18
	;;#ASMEND
	;;#ASMSTART
	v_dot2_f32_f16 v18, v9, v107, v18
	;;#ASMEND
	;;#ASMSTART
	v_dot2_f32_f16 v18, v10, v108, v18
	;;#ASMEND
	;; [unrolled: 13-line block ×8, first 2 shown]
	;;#ASMSTART
	v_dot2_f32_f16 v25, v117, v11, v25
	;;#ASMEND
	;;#ASMSTART
	v_dot2_f32_f16 v25, v118, v12, v25
	;;#ASMEND
	;; [unrolled: 3-line block ×32, first 2 shown]
	ds_read_b128 v[7:10], v69 offset:96
	ds_read_b128 v[11:14], v52 offset:224
	;; [unrolled: 1-line block ×10, first 2 shown]
	s_waitcnt lgkmcnt(8)
	;;#ASMSTART
	v_dot2_f32_f16 v17, v7, v11, v17
	;;#ASMEND
	;;#ASMSTART
	v_dot2_f32_f16 v17, v8, v12, v17
	;;#ASMEND
	;;#ASMSTART
	v_dot2_f32_f16 v17, v9, v13, v17
	;;#ASMEND
	;;#ASMSTART
	v_dot2_f32_f16 v17, v10, v14, v17
	;;#ASMEND
	s_waitcnt lgkmcnt(7)
	;;#ASMSTART
	v_dot2_f32_f16 v18, v7, v105, v18
	;;#ASMEND
	;;#ASMSTART
	v_dot2_f32_f16 v18, v8, v106, v18
	;;#ASMEND
	;;#ASMSTART
	v_dot2_f32_f16 v18, v9, v107, v18
	;;#ASMEND
	;;#ASMSTART
	v_dot2_f32_f16 v18, v10, v108, v18
	;;#ASMEND
	;; [unrolled: 13-line block ×8, first 2 shown]
	;;#ASMSTART
	v_dot2_f32_f16 v25, v117, v11, v25
	;;#ASMEND
	;;#ASMSTART
	v_dot2_f32_f16 v25, v118, v12, v25
	;;#ASMEND
	;; [unrolled: 3-line block ×32, first 2 shown]
	ds_read_b128 v[7:10], v69 offset:112
	ds_read_b128 v[11:14], v52 offset:240
	;; [unrolled: 1-line block ×10, first 2 shown]
	s_waitcnt lgkmcnt(8)
	;;#ASMSTART
	v_dot2_f32_f16 v17, v7, v11, v17
	;;#ASMEND
	;;#ASMSTART
	v_dot2_f32_f16 v17, v8, v12, v17
	;;#ASMEND
	;;#ASMSTART
	v_dot2_f32_f16 v17, v9, v13, v17
	;;#ASMEND
	;;#ASMSTART
	v_dot2_f32_f16 v17, v10, v14, v17
	;;#ASMEND
	s_waitcnt lgkmcnt(7)
	;;#ASMSTART
	v_dot2_f32_f16 v18, v7, v105, v18
	;;#ASMEND
	;;#ASMSTART
	v_dot2_f32_f16 v18, v8, v106, v18
	;;#ASMEND
	;;#ASMSTART
	v_dot2_f32_f16 v18, v9, v107, v18
	;;#ASMEND
	;;#ASMSTART
	v_dot2_f32_f16 v18, v10, v108, v18
	;;#ASMEND
	;; [unrolled: 13-line block ×8, first 2 shown]
	;;#ASMSTART
	v_dot2_f32_f16 v25, v117, v11, v25
	;;#ASMEND
	;;#ASMSTART
	v_dot2_f32_f16 v25, v118, v12, v25
	;;#ASMEND
	;; [unrolled: 3-line block ×32, first 2 shown]
	s_clause 0x1
	global_load_ushort v7, v[5:6], off
	global_load_ushort v5, v[5:6], off offset:64
	s_waitcnt vmcnt(0)
	s_barrier
	buffer_gl0_inv
	s_clause 0x1
	global_load_dwordx4 v[9:12], v[3:4], off
	global_load_dwordx4 v[13:16], v[1:2], off
	v_cvt_f32_f16_e32 v1, v7
	v_cvt_f32_f16_e32 v2, v5
	v_add_f32_e32 v17, v17, v1
	v_add_f32_e32 v25, v25, v2
	;; [unrolled: 1-line block ×32, first 2 shown]
	v_max3_f32 v1, v104, v1, v2
	v_max3_f32 v2, v103, v3, v4
	;; [unrolled: 1-line block ×8, first 2 shown]
	ds_bpermute_b32 v38, v37, v1
	ds_bpermute_b32 v39, v37, v2
	ds_bpermute_b32 v40, v37, v3
	ds_bpermute_b32 v105, v37, v4
	ds_bpermute_b32 v106, v37, v5
	ds_bpermute_b32 v107, v37, v6
	ds_bpermute_b32 v108, v37, v7
	ds_bpermute_b32 v37, v37, v8
	s_waitcnt lgkmcnt(7)
	v_max_f32_e32 v38, v38, v38
	s_waitcnt lgkmcnt(6)
	v_max_f32_e32 v39, v39, v39
	s_waitcnt lgkmcnt(5)
	v_max_f32_e32 v40, v40, v40
	s_waitcnt lgkmcnt(4)
	v_max_f32_e32 v105, v105, v105
	s_waitcnt lgkmcnt(3)
	v_max_f32_e32 v106, v106, v106
	s_waitcnt lgkmcnt(2)
	v_max_f32_e32 v107, v107, v107
	s_waitcnt lgkmcnt(1)
	v_max_f32_e32 v108, v108, v108
	s_waitcnt lgkmcnt(0)
	v_max_f32_e32 v37, v37, v37
	v_max_f32_e32 v1, v1, v38
	v_max_f32_e32 v2, v2, v39
	v_max_f32_e32 v3, v3, v40
	v_max_f32_e32 v4, v4, v105
	v_max_f32_e32 v5, v5, v106
	v_max_f32_e32 v6, v6, v107
	v_max_f32_e32 v7, v7, v108
	v_max_f32_e32 v8, v8, v37
	ds_bpermute_b32 v37, v36, v1
	ds_bpermute_b32 v38, v36, v2
	ds_bpermute_b32 v39, v36, v3
	ds_bpermute_b32 v40, v36, v4
	ds_bpermute_b32 v105, v36, v5
	ds_bpermute_b32 v106, v36, v6
	ds_bpermute_b32 v107, v36, v7
	ds_bpermute_b32 v36, v36, v8
	s_waitcnt lgkmcnt(7)
	v_max_f32_e32 v37, v37, v37
	s_waitcnt lgkmcnt(6)
	v_max_f32_e32 v38, v38, v38
	s_waitcnt lgkmcnt(5)
	v_max_f32_e32 v39, v39, v39
	s_waitcnt lgkmcnt(4)
	v_max_f32_e32 v40, v40, v40
	s_waitcnt lgkmcnt(3)
	v_max_f32_e32 v105, v105, v105
	s_waitcnt lgkmcnt(2)
	v_max_f32_e32 v106, v106, v106
	s_waitcnt lgkmcnt(1)
	v_max_f32_e32 v107, v107, v107
	s_waitcnt lgkmcnt(0)
	v_max_f32_e32 v36, v36, v36
	v_max_f32_e32 v1, v1, v37
	v_max_f32_e32 v2, v2, v38
	v_max_f32_e32 v3, v3, v39
	v_max_f32_e32 v4, v4, v40
	v_max_f32_e32 v5, v5, v105
	v_max_f32_e32 v6, v6, v106
	v_max_f32_e32 v7, v7, v107
	v_max_f32_e32 v8, v8, v36
	;; [unrolled: 32-line block ×5, first 2 shown]
	v_sub_f32_e32 v17, v17, v1
	v_sub_f32_e32 v25, v25, v1
	;; [unrolled: 1-line block ×16, first 2 shown]
	v_mul_f32_e32 v33, 0x3fb8aa3b, v17
	v_mul_f32_e32 v34, 0x3fb8aa3b, v25
	;; [unrolled: 1-line block ×16, first 2 shown]
	v_fma_f32 v113, 0x3fb8aa3b, v17, -v33
	v_rndne_f32_e32 v114, v33
	v_fma_f32 v115, 0x3fb8aa3b, v25, -v34
	v_rndne_f32_e32 v116, v34
	;; [unrolled: 2-line block ×16, first 2 shown]
	v_fmac_f32_e32 v113, 0x32a5705f, v17
	v_sub_f32_e32 v33, v33, v114
	v_fmac_f32_e32 v115, 0x32a5705f, v25
	v_sub_f32_e32 v34, v34, v116
	;; [unrolled: 2-line block ×16, first 2 shown]
	v_add_f32_e32 v33, v33, v113
	v_add_f32_e32 v34, v34, v115
	;; [unrolled: 1-line block ×16, first 2 shown]
	v_exp_f32_e32 v33, v33
	v_exp_f32_e32 v34, v34
	;; [unrolled: 1-line block ×16, first 2 shown]
	v_cvt_i32_f32_e32 v114, v114
	v_cvt_i32_f32_e32 v116, v116
	;; [unrolled: 1-line block ×16, first 2 shown]
	v_ldexp_f32 v35, v35, v118
	v_cmp_ngt_f32_e32 vcc_lo, 0xc2ce8ed0, v18
	v_ldexp_f32 v36, v36, v120
	v_cmp_ngt_f32_e64 s0, 0xc2ce8ed0, v26
	v_ldexp_f32 v37, v37, v122
	v_cmp_ngt_f32_e64 s1, 0xc2ce8ed0, v19
	;; [unrolled: 2-line block ×12, first 2 shown]
	v_ldexp_f32 v34, v34, v116
	v_ldexp_f32 v33, v33, v114
	v_cmp_ngt_f32_e64 s15, 0xc2ce8ed0, v17
	v_cmp_ngt_f32_e64 s16, 0xc2ce8ed0, v25
	v_ldexp_f32 v112, v112, v144
	v_cmp_ngt_f32_e64 s14, 0xc2ce8ed0, v32
	v_sub_f32_e32 v101, v101, v4
	v_sub_f32_e32 v100, v100, v5
	v_cndmask_b32_e64 v34, 0, v34, s16
	v_cmp_nlt_f32_e64 s16, 0x42b17218, v25
	v_cndmask_b32_e32 v25, 0, v35, vcc_lo
	v_cmp_nlt_f32_e32 vcc_lo, 0x42b17218, v18
	v_cndmask_b32_e64 v18, 0, v36, s0
	v_cmp_nlt_f32_e64 s0, 0x42b17218, v26
	v_cndmask_b32_e64 v26, 0, v37, s1
	v_cmp_nlt_f32_e64 s1, 0x42b17218, v19
	;; [unrolled: 2-line block ×11, first 2 shown]
	v_cndmask_b32_e64 v31, 0, v33, s15
	v_cndmask_b32_e64 v33, 0, v111, s13
	v_cmp_nlt_f32_e64 s13, 0x42b17218, v24
	v_cmp_nlt_f32_e64 s15, 0x42b17218, v17
	v_cndmask_b32_e64 v24, 0, v112, s14
	v_cmp_nlt_f32_e64 s14, 0x42b17218, v32
	v_cndmask_b32_e32 v116, 0x7f800000, v25, vcc_lo
	v_cndmask_b32_e64 v114, 0x7f800000, v26, s1
	v_cndmask_b32_e64 v118, 0x7f800000, v31, s15
	;; [unrolled: 1-line block ×15, first 2 shown]
	v_cvt_f16_f32_e32 v17, v118
	v_cvt_f16_f32_e32 v22, v116
	;; [unrolled: 1-line block ×16, first 2 shown]
	v_pack_b32_f16 v20, v20, v24
	v_pack_b32_f16 v19, v19, v29
	;; [unrolled: 1-line block ×8, first 2 shown]
	ds_write_b128 v75, v[17:20]
	ds_write_b128 v75, v[21:24] offset:512
	s_waitcnt vmcnt(1)
	ds_write_b128 v71, v[9:12]
	s_waitcnt vmcnt(0)
	ds_write_b128 v72, v[13:16]
	s_waitcnt lgkmcnt(0)
	s_barrier
	buffer_gl0_inv
	ds_read_b128 v[21:24], v70
	ds_read_b128 v[17:20], v70 offset:16
	ds_read_b128 v[13:16], v70 offset:32
	;; [unrolled: 1-line block ×11, first 2 shown]
	v_sub_f32_e32 v99, v99, v6
	v_cmp_ngt_f32_e64 s1, 0xc2ce8ed0, v101
	v_sub_f32_e32 v98, v98, v7
	v_cmp_ngt_f32_e64 s2, 0xc2ce8ed0, v100
	;; [unrolled: 2-line block ×3, first 2 shown]
	v_cmp_ngt_f32_e64 s6, 0xc2ce8ed0, v98
	s_waitcnt lgkmcnt(11)
	v_mul_u32_u24_sdwa v138, v23, v77 dst_sel:DWORD dst_unused:UNUSED_PAD src0_sel:WORD_0 src1_sel:DWORD
	v_mul_u32_u24_sdwa v140, v23, v77 dst_sel:DWORD dst_unused:UNUSED_PAD src0_sel:WORD_1 src1_sel:DWORD
	s_waitcnt lgkmcnt(9)
	v_mul_u32_u24_sdwa v161, v13, v77 dst_sel:DWORD dst_unused:UNUSED_PAD src0_sel:WORD_0 src1_sel:DWORD
	v_mul_u32_u24_sdwa v202, v13, v77 dst_sel:DWORD dst_unused:UNUSED_PAD src0_sel:WORD_1 src1_sel:DWORD
	v_mul_u32_u24_sdwa v203, v14, v77 dst_sel:DWORD dst_unused:UNUSED_PAD src0_sel:WORD_0 src1_sel:DWORD
	v_mul_u32_u24_sdwa v204, v14, v77 dst_sel:DWORD dst_unused:UNUSED_PAD src0_sel:WORD_1 src1_sel:DWORD
	;; [unrolled: 2-line block ×4, first 2 shown]
	s_waitcnt lgkmcnt(8)
	v_mul_u32_u24_sdwa v209, v9, v77 dst_sel:DWORD dst_unused:UNUSED_PAD src0_sel:WORD_0 src1_sel:DWORD
	v_mul_u32_u24_sdwa v210, v9, v77 dst_sel:DWORD dst_unused:UNUSED_PAD src0_sel:WORD_1 src1_sel:DWORD
	v_mul_u32_u24_sdwa v211, v10, v77 dst_sel:DWORD dst_unused:UNUSED_PAD src0_sel:WORD_0 src1_sel:DWORD
	v_mul_u32_u24_sdwa v212, v10, v77 dst_sel:DWORD dst_unused:UNUSED_PAD src0_sel:WORD_1 src1_sel:DWORD
	;; [unrolled: 2-line block ×4, first 2 shown]
	ds_read_b128 v[9:12], v70 offset:192
	ds_read_b128 v[13:16], v70 offset:208
	s_waitcnt lgkmcnt(8)
	v_mul_u32_u24_sdwa v189, v31, v77 dst_sel:DWORD dst_unused:UNUSED_PAD src0_sel:WORD_0 src1_sel:DWORD
	v_mul_u32_u24_sdwa v188, v31, v77 dst_sel:DWORD dst_unused:UNUSED_PAD src0_sel:WORD_1 src1_sel:DWORD
	v_mul_u32_u24_sdwa v187, v32, v77 dst_sel:DWORD dst_unused:UNUSED_PAD src0_sel:WORD_0 src1_sel:DWORD
	v_mul_u32_u24_sdwa v186, v32, v77 dst_sel:DWORD dst_unused:UNUSED_PAD src0_sel:WORD_1 src1_sel:DWORD
	;; [unrolled: 2-line block ×9, first 2 shown]
	s_waitcnt lgkmcnt(1)
	v_mul_u32_u24_sdwa v32, v9, v77 dst_sel:DWORD dst_unused:UNUSED_PAD src0_sel:WORD_0 src1_sel:DWORD
	v_mul_u32_u24_sdwa v31, v9, v77 dst_sel:DWORD dst_unused:UNUSED_PAD src0_sel:WORD_1 src1_sel:DWORD
	v_sub_f32_e32 v9, v104, v1
	v_mul_u32_u24_sdwa v30, v10, v77 dst_sel:DWORD dst_unused:UNUSED_PAD src0_sel:WORD_0 src1_sel:DWORD
	v_mul_u32_u24_sdwa v29, v10, v77 dst_sel:DWORD dst_unused:UNUSED_PAD src0_sel:WORD_1 src1_sel:DWORD
	v_mul_u32_u24_sdwa v28, v11, v77 dst_sel:DWORD dst_unused:UNUSED_PAD src0_sel:WORD_0 src1_sel:DWORD
	v_mul_u32_u24_sdwa v27, v11, v77 dst_sel:DWORD dst_unused:UNUSED_PAD src0_sel:WORD_1 src1_sel:DWORD
	v_mul_f32_e32 v10, 0x3fb8aa3b, v9
	v_mul_u32_u24_sdwa v26, v12, v77 dst_sel:DWORD dst_unused:UNUSED_PAD src0_sel:WORD_0 src1_sel:DWORD
	v_mul_u32_u24_sdwa v25, v12, v77 dst_sel:DWORD dst_unused:UNUSED_PAD src0_sel:WORD_1 src1_sel:DWORD
	s_waitcnt lgkmcnt(0)
	v_mul_u32_u24_sdwa v24, v13, v77 dst_sel:DWORD dst_unused:UNUSED_PAD src0_sel:WORD_0 src1_sel:DWORD
	v_mul_u32_u24_sdwa v23, v13, v77 dst_sel:DWORD dst_unused:UNUSED_PAD src0_sel:WORD_1 src1_sel:DWORD
	v_fma_f32 v11, 0x3fb8aa3b, v9, -v10
	v_rndne_f32_e32 v12, v10
	v_mul_u32_u24_sdwa v133, v21, v77 dst_sel:DWORD dst_unused:UNUSED_PAD src0_sel:WORD_0 src1_sel:DWORD
	v_mul_u32_u24_sdwa v134, v21, v77 dst_sel:DWORD dst_unused:UNUSED_PAD src0_sel:WORD_1 src1_sel:DWORD
	v_mul_u32_u24_sdwa v135, v22, v77 dst_sel:DWORD dst_unused:UNUSED_PAD src0_sel:WORD_0 src1_sel:DWORD
	v_fmac_f32_e32 v11, 0x32a5705f, v9
	v_sub_f32_e32 v10, v10, v12
	v_mul_u32_u24_sdwa v137, v22, v77 dst_sel:DWORD dst_unused:UNUSED_PAD src0_sel:WORD_1 src1_sel:DWORD
	v_mul_u32_u24_sdwa v155, v19, v77 dst_sel:DWORD dst_unused:UNUSED_PAD src0_sel:WORD_0 src1_sel:DWORD
	v_mul_u32_u24_sdwa v157, v19, v77 dst_sel:DWORD dst_unused:UNUSED_PAD src0_sel:WORD_1 src1_sel:DWORD
	v_mul_u32_u24_sdwa v158, v20, v77 dst_sel:DWORD dst_unused:UNUSED_PAD src0_sel:WORD_0 src1_sel:DWORD
	v_add_f32_e32 v10, v10, v11
	v_sub_f32_e32 v11, v103, v2
	v_mul_u32_u24_sdwa v160, v20, v77 dst_sel:DWORD dst_unused:UNUSED_PAD src0_sel:WORD_1 src1_sel:DWORD
	v_mul_u32_u24_sdwa v22, v14, v77 dst_sel:DWORD dst_unused:UNUSED_PAD src0_sel:WORD_0 src1_sel:DWORD
	v_mul_u32_u24_sdwa v21, v14, v77 dst_sel:DWORD dst_unused:UNUSED_PAD src0_sel:WORD_1 src1_sel:DWORD
	v_mul_u32_u24_sdwa v20, v15, v77 dst_sel:DWORD dst_unused:UNUSED_PAD src0_sel:WORD_0 src1_sel:DWORD
	v_mul_f32_e32 v13, 0x3fb8aa3b, v11
	v_mul_u32_u24_sdwa v19, v15, v77 dst_sel:DWORD dst_unused:UNUSED_PAD src0_sel:WORD_1 src1_sel:DWORD
	v_exp_f32_e32 v10, v10
	v_mul_u32_u24_sdwa v144, v17, v77 dst_sel:DWORD dst_unused:UNUSED_PAD src0_sel:WORD_0 src1_sel:DWORD
	v_mul_u32_u24_sdwa v151, v17, v77 dst_sel:DWORD dst_unused:UNUSED_PAD src0_sel:WORD_1 src1_sel:DWORD
	v_fma_f32 v14, 0x3fb8aa3b, v11, -v13
	v_rndne_f32_e32 v15, v13
	v_mul_u32_u24_sdwa v152, v18, v77 dst_sel:DWORD dst_unused:UNUSED_PAD src0_sel:WORD_0 src1_sel:DWORD
	v_mul_u32_u24_sdwa v154, v18, v77 dst_sel:DWORD dst_unused:UNUSED_PAD src0_sel:WORD_1 src1_sel:DWORD
	v_mul_u32_u24_sdwa v18, v16, v77 dst_sel:DWORD dst_unused:UNUSED_PAD src0_sel:WORD_0 src1_sel:DWORD
	v_fmac_f32_e32 v14, 0x32a5705f, v11
	v_sub_f32_e32 v13, v13, v15
	v_mul_u32_u24_sdwa v17, v16, v77 dst_sel:DWORD dst_unused:UNUSED_PAD src0_sel:WORD_1 src1_sel:DWORD
	v_cvt_i32_f32_e32 v12, v12
	v_cmp_ngt_f32_e64 s8, 0xc2ce8ed0, v9
	v_mul_u32_u24_sdwa v169, v127, v77 dst_sel:DWORD dst_unused:UNUSED_PAD src0_sel:WORD_0 src1_sel:DWORD
	v_add_f32_e32 v13, v13, v14
	v_sub_f32_e32 v14, v102, v3
	v_ldexp_f32 v10, v10, v12
	v_cvt_i32_f32_e32 v12, v15
	v_mul_u32_u24_sdwa v167, v127, v77 dst_sel:DWORD dst_unused:UNUSED_PAD src0_sel:WORD_1 src1_sel:DWORD
	v_exp_f32_e32 v13, v13
	v_mul_f32_e32 v16, 0x3fb8aa3b, v14
	v_cndmask_b32_e64 v10, 0, v10, s8
	v_cmp_nlt_f32_e64 s8, 0x42b17218, v9
	v_mul_u32_u24_sdwa v165, v128, v77 dst_sel:DWORD dst_unused:UNUSED_PAD src0_sel:WORD_0 src1_sel:DWORD
	v_mul_u32_u24_sdwa v163, v128, v77 dst_sel:DWORD dst_unused:UNUSED_PAD src0_sel:WORD_1 src1_sel:DWORD
	v_fma_f32 v102, 0x3fb8aa3b, v14, -v16
	v_rndne_f32_e32 v103, v16
	v_cndmask_b32_e64 v9, 0x7f800000, v10, s8
	v_mul_u32_u24_sdwa v128, v129, v77 dst_sel:DWORD dst_unused:UNUSED_PAD src0_sel:WORD_0 src1_sel:DWORD
	v_mul_u32_u24_sdwa v127, v129, v77 dst_sel:DWORD dst_unused:UNUSED_PAD src0_sel:WORD_1 src1_sel:DWORD
	v_fmac_f32_e32 v102, 0x32a5705f, v14
	v_sub_f32_e32 v16, v16, v103
	v_ldexp_f32 v12, v13, v12
	v_cmp_ngt_f32_e32 vcc_lo, 0xc2ce8ed0, v11
	v_cvt_f16_f32_e32 v10, v9
	v_cvt_i32_f32_e32 v13, v103
	v_add_f32_e32 v16, v16, v102
	v_mul_f32_e32 v102, 0x3fb8aa3b, v101
	v_cndmask_b32_e32 v12, 0, v12, vcc_lo
	v_cmp_nlt_f32_e32 vcc_lo, 0x42b17218, v11
	v_mul_u32_u24_sdwa v10, v10, v77 dst_sel:DWORD dst_unused:UNUSED_PAD src0_sel:WORD_0 src1_sel:DWORD
	v_exp_f32_e32 v15, v16
	v_fma_f32 v104, 0x3fb8aa3b, v101, -v102
	v_rndne_f32_e32 v129, v102
	v_cmp_ngt_f32_e64 s0, 0xc2ce8ed0, v14
	v_pk_mul_f16 v95, v95, v10
	v_pk_mul_f16 v96, v96, v10
	v_fmac_f32_e32 v104, 0x32a5705f, v101
	v_sub_f32_e32 v102, v102, v129
	v_cndmask_b32_e32 v10, 0x7f800000, v12, vcc_lo
	v_mul_u32_u24_sdwa v180, v123, v77 dst_sel:DWORD dst_unused:UNUSED_PAD src0_sel:WORD_0 src1_sel:DWORD
	v_ldexp_f32 v13, v15, v13
	v_mul_u32_u24_sdwa v179, v123, v77 dst_sel:DWORD dst_unused:UNUSED_PAD src0_sel:WORD_1 src1_sel:DWORD
	v_add_f32_e32 v102, v102, v104
	v_mul_f32_e32 v104, 0x3fb8aa3b, v100
	v_mul_u32_u24_sdwa v178, v124, v77 dst_sel:DWORD dst_unused:UNUSED_PAD src0_sel:WORD_0 src1_sel:DWORD
	v_mul_u32_u24_sdwa v177, v124, v77 dst_sel:DWORD dst_unused:UNUSED_PAD src0_sel:WORD_1 src1_sel:DWORD
	v_mul_u32_u24_sdwa v176, v125, v77 dst_sel:DWORD dst_unused:UNUSED_PAD src0_sel:WORD_0 src1_sel:DWORD
	v_mul_u32_u24_sdwa v175, v125, v77 dst_sel:DWORD dst_unused:UNUSED_PAD src0_sel:WORD_1 src1_sel:DWORD
	v_mul_u32_u24_sdwa v173, v126, v77 dst_sel:DWORD dst_unused:UNUSED_PAD src0_sel:WORD_0 src1_sel:DWORD
	v_mul_u32_u24_sdwa v171, v126, v77 dst_sel:DWORD dst_unused:UNUSED_PAD src0_sel:WORD_1 src1_sel:DWORD
	v_mul_u32_u24_sdwa v126, v130, v77 dst_sel:DWORD dst_unused:UNUSED_PAD src0_sel:WORD_0 src1_sel:DWORD
	v_mul_u32_u24_sdwa v125, v130, v77 dst_sel:DWORD dst_unused:UNUSED_PAD src0_sel:WORD_1 src1_sel:DWORD
	v_mul_u32_u24_sdwa v124, v131, v77 dst_sel:DWORD dst_unused:UNUSED_PAD src0_sel:WORD_0 src1_sel:DWORD
	v_mul_u32_u24_sdwa v123, v131, v77 dst_sel:DWORD dst_unused:UNUSED_PAD src0_sel:WORD_1 src1_sel:DWORD
	v_fma_f32 v130, 0x3fb8aa3b, v100, -v104
	v_rndne_f32_e32 v131, v104
	v_exp_f32_e32 v16, v102
	v_cndmask_b32_e64 v11, 0, v13, s0
	v_cmp_nlt_f32_e64 s0, 0x42b17218, v14
	v_cvt_f16_f32_e32 v12, v10
	v_fmac_f32_e32 v130, 0x32a5705f, v100
	v_sub_f32_e32 v104, v104, v131
	v_cvt_i32_f32_e32 v15, v129
	v_cndmask_b32_e64 v11, 0x7f800000, v11, s0
	v_mul_u32_u24_sdwa v12, v12, v77 dst_sel:DWORD dst_unused:UNUSED_PAD src0_sel:WORD_0 src1_sel:DWORD
	v_mul_u32_u24_sdwa v145, v39, v77 dst_sel:DWORD dst_unused:UNUSED_PAD src0_sel:WORD_0 src1_sel:DWORD
	v_add_f32_e32 v104, v104, v130
	v_mul_f32_e32 v130, 0x3fb8aa3b, v99
	v_ldexp_f32 v15, v16, v15
	v_pk_mul_f16 v93, v93, v12
	v_pk_mul_f16 v94, v94, v12
	v_cvt_f16_f32_e32 v12, v11
	v_mul_u32_u24_sdwa v142, v39, v77 dst_sel:DWORD dst_unused:UNUSED_PAD src0_sel:WORD_1 src1_sel:DWORD
	v_mul_u32_u24_sdwa v139, v40, v77 dst_sel:DWORD dst_unused:UNUSED_PAD src0_sel:WORD_0 src1_sel:DWORD
	v_mul_u32_u24_sdwa v136, v40, v77 dst_sel:DWORD dst_unused:UNUSED_PAD src0_sel:WORD_1 src1_sel:DWORD
	v_mul_u32_u24_sdwa v184, v121, v77 dst_sel:DWORD dst_unused:UNUSED_PAD src0_sel:WORD_0 src1_sel:DWORD
	;; [unrolled: 2-line block ×5, first 2 shown]
	v_mul_u32_u24_sdwa v39, v146, v77 dst_sel:DWORD dst_unused:UNUSED_PAD src0_sel:WORD_1 src1_sel:DWORD
	v_fma_f32 v132, 0x3fb8aa3b, v99, -v130
	v_rndne_f32_e32 v146, v130
	v_exp_f32_e32 v102, v104
	v_cndmask_b32_e64 v13, 0, v15, s1
	v_cmp_nlt_f32_e64 s1, 0x42b17218, v101
	v_mul_u32_u24_sdwa v12, v12, v77 dst_sel:DWORD dst_unused:UNUSED_PAD src0_sel:WORD_0 src1_sel:DWORD
	v_fmac_f32_e32 v132, 0x32a5705f, v99
	v_sub_f32_e32 v130, v130, v146
	v_cvt_i32_f32_e32 v16, v131
	v_mul_u32_u24_sdwa v168, v35, v77 dst_sel:DWORD dst_unused:UNUSED_PAD src0_sel:WORD_0 src1_sel:DWORD
	v_pk_mul_f16 v91, v91, v12
	v_pk_mul_f16 v92, v92, v12
	v_cndmask_b32_e64 v12, 0x7f800000, v13, s1
	v_add_f32_e32 v130, v130, v132
	v_mul_f32_e32 v132, 0x3fb8aa3b, v98
	v_ldexp_f32 v16, v102, v16
	v_mul_u32_u24_sdwa v166, v35, v77 dst_sel:DWORD dst_unused:UNUSED_PAD src0_sel:WORD_1 src1_sel:DWORD
	v_cvt_f16_f32_e32 v13, v12
	v_mul_u32_u24_sdwa v164, v36, v77 dst_sel:DWORD dst_unused:UNUSED_PAD src0_sel:WORD_0 src1_sel:DWORD
	v_mul_u32_u24_sdwa v162, v36, v77 dst_sel:DWORD dst_unused:UNUSED_PAD src0_sel:WORD_1 src1_sel:DWORD
	v_mul_u32_u24_sdwa v159, v37, v77 dst_sel:DWORD dst_unused:UNUSED_PAD src0_sel:WORD_0 src1_sel:DWORD
	v_mul_u32_u24_sdwa v156, v37, v77 dst_sel:DWORD dst_unused:UNUSED_PAD src0_sel:WORD_1 src1_sel:DWORD
	v_mul_u32_u24_sdwa v153, v38, v77 dst_sel:DWORD dst_unused:UNUSED_PAD src0_sel:WORD_0 src1_sel:DWORD
	v_mul_u32_u24_sdwa v150, v38, v77 dst_sel:DWORD dst_unused:UNUSED_PAD src0_sel:WORD_1 src1_sel:DWORD
	v_mul_u32_u24_sdwa v38, v147, v77 dst_sel:DWORD dst_unused:UNUSED_PAD src0_sel:WORD_0 src1_sel:DWORD
	v_mul_u32_u24_sdwa v37, v147, v77 dst_sel:DWORD dst_unused:UNUSED_PAD src0_sel:WORD_1 src1_sel:DWORD
	v_mul_u32_u24_sdwa v36, v148, v77 dst_sel:DWORD dst_unused:UNUSED_PAD src0_sel:WORD_0 src1_sel:DWORD
	v_mul_u32_u24_sdwa v35, v148, v77 dst_sel:DWORD dst_unused:UNUSED_PAD src0_sel:WORD_1 src1_sel:DWORD
	v_fma_f32 v147, 0x3fb8aa3b, v98, -v132
	v_rndne_f32_e32 v148, v132
	v_exp_f32_e32 v103, v130
	v_cndmask_b32_e64 v14, 0, v16, s2
	v_cmp_nlt_f32_e64 s2, 0x42b17218, v100
	v_mul_u32_u24_sdwa v13, v13, v77 dst_sel:DWORD dst_unused:UNUSED_PAD src0_sel:WORD_0 src1_sel:DWORD
	v_fmac_f32_e32 v147, 0x32a5705f, v98
	v_sub_f32_e32 v132, v132, v148
	v_cvt_i32_f32_e32 v102, v146
	v_mul_u32_u24_sdwa v185, v33, v77 dst_sel:DWORD dst_unused:UNUSED_PAD src0_sel:WORD_0 src1_sel:DWORD
	v_pk_mul_f16 v89, v89, v13
	v_pk_mul_f16 v90, v90, v13
	v_cndmask_b32_e64 v13, 0x7f800000, v14, s2
	v_add_f32_e32 v132, v132, v147
	v_mul_f32_e32 v147, 0x3fb8aa3b, v97
	v_ldexp_f32 v102, v103, v102
	v_mul_u32_u24_sdwa v174, v33, v77 dst_sel:DWORD dst_unused:UNUSED_PAD src0_sel:WORD_1 src1_sel:DWORD
	v_cvt_f16_f32_e32 v14, v13
	v_mul_u32_u24_sdwa v172, v34, v77 dst_sel:DWORD dst_unused:UNUSED_PAD src0_sel:WORD_0 src1_sel:DWORD
	v_mul_u32_u24_sdwa v170, v34, v77 dst_sel:DWORD dst_unused:UNUSED_PAD src0_sel:WORD_1 src1_sel:DWORD
	v_mul_u32_u24_sdwa v34, v149, v77 dst_sel:DWORD dst_unused:UNUSED_PAD src0_sel:WORD_0 src1_sel:DWORD
	v_mul_u32_u24_sdwa v33, v149, v77 dst_sel:DWORD dst_unused:UNUSED_PAD src0_sel:WORD_1 src1_sel:DWORD
	v_fma_f32 v149, 0x3fb8aa3b, v97, -v147
	v_rndne_f32_e32 v217, v147
	v_exp_f32_e32 v104, v132
	v_cndmask_b32_e64 v15, 0, v102, s3
	v_cmp_nlt_f32_e64 s3, 0x42b17218, v99
	v_mul_u32_u24_sdwa v14, v14, v77 dst_sel:DWORD dst_unused:UNUSED_PAD src0_sel:WORD_0 src1_sel:DWORD
	v_fmac_f32_e32 v149, 0x32a5705f, v97
	v_sub_f32_e32 v147, v147, v217
	v_cvt_i32_f32_e32 v103, v148
	v_cmp_ngt_f32_e64 s7, 0xc2ce8ed0, v97
	v_pk_mul_f16 v87, v87, v14
	v_pk_mul_f16 v88, v88, v14
	v_cndmask_b32_e64 v14, 0x7f800000, v15, s3
	v_add_f32_e32 v147, v147, v149
	v_ldexp_f32 v103, v104, v103
	v_cvt_i32_f32_e32 v104, v217
	s_or_b32 s0, s22, 32
	v_cvt_f16_f32_e32 v15, v14
	v_exp_f32_e32 v129, v147
	v_cndmask_b32_e64 v16, 0, v103, s6
	v_cmp_nlt_f32_e64 s6, 0x42b17218, v98
	s_mul_hi_i32 s1, s0, s23
	v_mul_u32_u24_sdwa v15, v15, v77 dst_sel:DWORD dst_unused:UNUSED_PAD src0_sel:WORD_0 src1_sel:DWORD
	s_mul_i32 s0, s0, s23
	s_lshl_b64 s[0:1], s[0:1], 2
	v_pk_mul_f16 v85, v85, v15
	v_pk_mul_f16 v86, v86, v15
	v_cndmask_b32_e64 v15, 0x7f800000, v16, s6
	v_ldexp_f32 v104, v129, v104
	s_add_u32 s0, s17, s0
	s_addc_u32 s1, s37, s1
	v_cvt_f16_f32_e32 v16, v15
	v_cndmask_b32_e64 v98, 0, v104, s7
	v_cmp_nlt_f32_e64 s7, 0x42b17218, v97
	v_mul_u32_u24_sdwa v16, v16, v77 dst_sel:DWORD dst_unused:UNUSED_PAD src0_sel:WORD_0 src1_sel:DWORD
	v_pk_mul_f16 v97, v83, v16
	v_pk_mul_f16 v99, v84, v16
	v_cndmask_b32_e64 v16, 0x7f800000, v98, s7
	v_cvt_f16_f32_e32 v83, v16
	v_mul_u32_u24_sdwa v83, v83, v77 dst_sel:DWORD dst_unused:UNUSED_PAD src0_sel:WORD_0 src1_sel:DWORD
	v_pk_mul_f16 v98, v82, v83
	v_pk_mul_f16 v100, v81, v83
	ds_read2_b64 v[81:84], v73 offset1:32
	s_waitcnt lgkmcnt(0)
	v_pk_fma_f16 v95, v81, v133, v95
	v_pk_fma_f16 v96, v82, v133, v96
	;; [unrolled: 1-line block ×32, first 2 shown]
	ds_read_b128 v[81:84], v70 offset:224
	ds_read_b128 v[85:88], v70 offset:240
	s_waitcnt lgkmcnt(1)
	v_mul_u32_u24_sdwa v160, v81, v77 dst_sel:DWORD dst_unused:UNUSED_PAD src0_sel:WORD_0 src1_sel:DWORD
	v_mul_u32_u24_sdwa v157, v81, v77 dst_sel:DWORD dst_unused:UNUSED_PAD src0_sel:WORD_1 src1_sel:DWORD
	v_mul_u32_u24_sdwa v154, v82, v77 dst_sel:DWORD dst_unused:UNUSED_PAD src0_sel:WORD_0 src1_sel:DWORD
	v_mul_u32_u24_sdwa v151, v82, v77 dst_sel:DWORD dst_unused:UNUSED_PAD src0_sel:WORD_1 src1_sel:DWORD
	v_mul_u32_u24_sdwa v148, v83, v77 dst_sel:DWORD dst_unused:UNUSED_PAD src0_sel:WORD_0 src1_sel:DWORD
	v_mul_u32_u24_sdwa v146, v83, v77 dst_sel:DWORD dst_unused:UNUSED_PAD src0_sel:WORD_1 src1_sel:DWORD
	v_mul_u32_u24_sdwa v143, v84, v77 dst_sel:DWORD dst_unused:UNUSED_PAD src0_sel:WORD_0 src1_sel:DWORD
	v_mul_u32_u24_sdwa v140, v84, v77 dst_sel:DWORD dst_unused:UNUSED_PAD src0_sel:WORD_1 src1_sel:DWORD
	ds_read2_b64 v[81:84], v73 offset0:64 offset1:96
	s_waitcnt lgkmcnt(1)
	v_mul_u32_u24_sdwa v137, v85, v77 dst_sel:DWORD dst_unused:UNUSED_PAD src0_sel:WORD_0 src1_sel:DWORD
	v_mul_u32_u24_sdwa v134, v85, v77 dst_sel:DWORD dst_unused:UNUSED_PAD src0_sel:WORD_1 src1_sel:DWORD
	v_mul_u32_u24_sdwa v132, v86, v77 dst_sel:DWORD dst_unused:UNUSED_PAD src0_sel:WORD_0 src1_sel:DWORD
	v_mul_u32_u24_sdwa v130, v86, v77 dst_sel:DWORD dst_unused:UNUSED_PAD src0_sel:WORD_1 src1_sel:DWORD
	;; [unrolled: 2-line block ×4, first 2 shown]
	s_waitcnt lgkmcnt(0)
	v_pk_fma_f16 v85, v81, v161, v95
	v_pk_fma_f16 v86, v82, v161, v96
	;; [unrolled: 1-line block ×32, first 2 shown]
	ds_read_b128 v[81:84], v70 offset:256
	ds_read_b128 v[85:88], v70 offset:272
	s_waitcnt lgkmcnt(1)
	v_mul_u32_u24_sdwa v161, v81, v77 dst_sel:DWORD dst_unused:UNUSED_PAD src0_sel:WORD_0 src1_sel:DWORD
	v_mul_u32_u24_sdwa v158, v81, v77 dst_sel:DWORD dst_unused:UNUSED_PAD src0_sel:WORD_1 src1_sel:DWORD
	v_mul_u32_u24_sdwa v155, v82, v77 dst_sel:DWORD dst_unused:UNUSED_PAD src0_sel:WORD_0 src1_sel:DWORD
	v_mul_u32_u24_sdwa v152, v82, v77 dst_sel:DWORD dst_unused:UNUSED_PAD src0_sel:WORD_1 src1_sel:DWORD
	v_mul_u32_u24_sdwa v149, v83, v77 dst_sel:DWORD dst_unused:UNUSED_PAD src0_sel:WORD_0 src1_sel:DWORD
	v_mul_u32_u24_sdwa v147, v83, v77 dst_sel:DWORD dst_unused:UNUSED_PAD src0_sel:WORD_1 src1_sel:DWORD
	v_mul_u32_u24_sdwa v144, v84, v77 dst_sel:DWORD dst_unused:UNUSED_PAD src0_sel:WORD_0 src1_sel:DWORD
	v_mul_u32_u24_sdwa v141, v84, v77 dst_sel:DWORD dst_unused:UNUSED_PAD src0_sel:WORD_1 src1_sel:DWORD
	ds_read2_b64 v[81:84], v73 offset0:128 offset1:160
	s_waitcnt lgkmcnt(1)
	v_mul_u32_u24_sdwa v138, v85, v77 dst_sel:DWORD dst_unused:UNUSED_PAD src0_sel:WORD_0 src1_sel:DWORD
	v_mul_u32_u24_sdwa v135, v85, v77 dst_sel:DWORD dst_unused:UNUSED_PAD src0_sel:WORD_1 src1_sel:DWORD
	v_mul_u32_u24_sdwa v133, v86, v77 dst_sel:DWORD dst_unused:UNUSED_PAD src0_sel:WORD_0 src1_sel:DWORD
	v_mul_u32_u24_sdwa v131, v86, v77 dst_sel:DWORD dst_unused:UNUSED_PAD src0_sel:WORD_1 src1_sel:DWORD
	;; [unrolled: 2-line block ×4, first 2 shown]
	s_waitcnt lgkmcnt(0)
	v_pk_fma_f16 v85, v81, v201, v202
	v_pk_fma_f16 v86, v82, v201, v203
	;; [unrolled: 1-line block ×32, first 2 shown]
	ds_read_b128 v[81:84], v70 offset:288
	ds_read_b128 v[186:189], v70 offset:304
	s_waitcnt lgkmcnt(1)
	v_mul_u32_u24_sdwa v97, v81, v77 dst_sel:DWORD dst_unused:UNUSED_PAD src0_sel:WORD_0 src1_sel:DWORD
	v_mul_u32_u24_sdwa v96, v81, v77 dst_sel:DWORD dst_unused:UNUSED_PAD src0_sel:WORD_1 src1_sel:DWORD
	v_mul_u32_u24_sdwa v95, v82, v77 dst_sel:DWORD dst_unused:UNUSED_PAD src0_sel:WORD_0 src1_sel:DWORD
	v_mul_u32_u24_sdwa v94, v82, v77 dst_sel:DWORD dst_unused:UNUSED_PAD src0_sel:WORD_1 src1_sel:DWORD
	;; [unrolled: 2-line block ×4, first 2 shown]
	s_waitcnt lgkmcnt(0)
	v_mul_u32_u24_sdwa v88, v186, v77 dst_sel:DWORD dst_unused:UNUSED_PAD src0_sel:WORD_0 src1_sel:DWORD
	v_mul_u32_u24_sdwa v87, v186, v77 dst_sel:DWORD dst_unused:UNUSED_PAD src0_sel:WORD_1 src1_sel:DWORD
	v_mul_u32_u24_sdwa v86, v187, v77 dst_sel:DWORD dst_unused:UNUSED_PAD src0_sel:WORD_0 src1_sel:DWORD
	v_mul_u32_u24_sdwa v85, v187, v77 dst_sel:DWORD dst_unused:UNUSED_PAD src0_sel:WORD_1 src1_sel:DWORD
	;; [unrolled: 2-line block ×4, first 2 shown]
	ds_read2_b64 v[186:189], v73 offset0:192 offset1:224
	s_waitcnt lgkmcnt(0)
	v_pk_fma_f16 v194, v186, v185, v194
	v_pk_fma_f16 v185, v187, v185, v193
	;; [unrolled: 1-line block ×32, first 2 shown]
	ds_read_b128 v[185:188], v70 offset:320
	ds_read_b128 v[189:192], v70 offset:336
	s_waitcnt lgkmcnt(1)
	v_mul_u32_u24_sdwa v174, v185, v77 dst_sel:DWORD dst_unused:UNUSED_PAD src0_sel:WORD_0 src1_sel:DWORD
	v_mul_u32_u24_sdwa v172, v185, v77 dst_sel:DWORD dst_unused:UNUSED_PAD src0_sel:WORD_1 src1_sel:DWORD
	v_mul_u32_u24_sdwa v170, v186, v77 dst_sel:DWORD dst_unused:UNUSED_PAD src0_sel:WORD_0 src1_sel:DWORD
	v_mul_u32_u24_sdwa v168, v186, v77 dst_sel:DWORD dst_unused:UNUSED_PAD src0_sel:WORD_1 src1_sel:DWORD
	;; [unrolled: 2-line block ×4, first 2 shown]
	ds_read2_b64 v[185:188], v78 offset1:32
	s_waitcnt lgkmcnt(1)
	v_mul_u32_u24_sdwa v156, v189, v77 dst_sel:DWORD dst_unused:UNUSED_PAD src0_sel:WORD_0 src1_sel:DWORD
	v_mul_u32_u24_sdwa v153, v189, v77 dst_sel:DWORD dst_unused:UNUSED_PAD src0_sel:WORD_1 src1_sel:DWORD
	v_mul_u32_u24_sdwa v150, v190, v77 dst_sel:DWORD dst_unused:UNUSED_PAD src0_sel:WORD_0 src1_sel:DWORD
	v_mul_u32_u24_sdwa v145, v190, v77 dst_sel:DWORD dst_unused:UNUSED_PAD src0_sel:WORD_1 src1_sel:DWORD
	;; [unrolled: 2-line block ×4, first 2 shown]
	s_waitcnt lgkmcnt(0)
	v_pk_fma_f16 v189, v185, v184, v194
	v_pk_fma_f16 v184, v186, v184, v195
	;; [unrolled: 1-line block ×32, first 2 shown]
	ds_read_b128 v[185:188], v70 offset:352
	ds_read_b128 v[189:192], v70 offset:368
	s_waitcnt lgkmcnt(1)
	v_mul_u32_u24_sdwa v184, v185, v77 dst_sel:DWORD dst_unused:UNUSED_PAD src0_sel:WORD_0 src1_sel:DWORD
	v_mul_u32_u24_sdwa v183, v185, v77 dst_sel:DWORD dst_unused:UNUSED_PAD src0_sel:WORD_1 src1_sel:DWORD
	v_mul_u32_u24_sdwa v182, v186, v77 dst_sel:DWORD dst_unused:UNUSED_PAD src0_sel:WORD_0 src1_sel:DWORD
	v_mul_u32_u24_sdwa v181, v186, v77 dst_sel:DWORD dst_unused:UNUSED_PAD src0_sel:WORD_1 src1_sel:DWORD
	;; [unrolled: 2-line block ×4, first 2 shown]
	ds_read2_b64 v[185:188], v78 offset0:64 offset1:96
	s_waitcnt lgkmcnt(1)
	v_mul_u32_u24_sdwa v176, v189, v77 dst_sel:DWORD dst_unused:UNUSED_PAD src0_sel:WORD_0 src1_sel:DWORD
	v_mul_u32_u24_sdwa v175, v189, v77 dst_sel:DWORD dst_unused:UNUSED_PAD src0_sel:WORD_1 src1_sel:DWORD
	v_mul_u32_u24_sdwa v173, v190, v77 dst_sel:DWORD dst_unused:UNUSED_PAD src0_sel:WORD_0 src1_sel:DWORD
	v_mul_u32_u24_sdwa v171, v190, v77 dst_sel:DWORD dst_unused:UNUSED_PAD src0_sel:WORD_1 src1_sel:DWORD
	;; [unrolled: 2-line block ×4, first 2 shown]
	s_waitcnt lgkmcnt(0)
	v_pk_fma_f16 v189, v185, v128, v196
	v_pk_fma_f16 v128, v186, v128, v197
	;; [unrolled: 1-line block ×32, first 2 shown]
	ds_read_b128 v[33:36], v70 offset:384
	ds_read_b128 v[185:188], v70 offset:400
	s_waitcnt lgkmcnt(1)
	v_mul_u32_u24_sdwa v128, v33, v77 dst_sel:DWORD dst_unused:UNUSED_PAD src0_sel:WORD_0 src1_sel:DWORD
	v_mul_u32_u24_sdwa v127, v33, v77 dst_sel:DWORD dst_unused:UNUSED_PAD src0_sel:WORD_1 src1_sel:DWORD
	v_mul_u32_u24_sdwa v126, v34, v77 dst_sel:DWORD dst_unused:UNUSED_PAD src0_sel:WORD_0 src1_sel:DWORD
	v_mul_u32_u24_sdwa v125, v34, v77 dst_sel:DWORD dst_unused:UNUSED_PAD src0_sel:WORD_1 src1_sel:DWORD
	v_mul_u32_u24_sdwa v124, v35, v77 dst_sel:DWORD dst_unused:UNUSED_PAD src0_sel:WORD_0 src1_sel:DWORD
	v_mul_u32_u24_sdwa v123, v35, v77 dst_sel:DWORD dst_unused:UNUSED_PAD src0_sel:WORD_1 src1_sel:DWORD
	v_mul_u32_u24_sdwa v122, v36, v77 dst_sel:DWORD dst_unused:UNUSED_PAD src0_sel:WORD_0 src1_sel:DWORD
	v_mul_u32_u24_sdwa v121, v36, v77 dst_sel:DWORD dst_unused:UNUSED_PAD src0_sel:WORD_1 src1_sel:DWORD
	s_waitcnt lgkmcnt(0)
	v_mul_u32_u24_sdwa v40, v185, v77 dst_sel:DWORD dst_unused:UNUSED_PAD src0_sel:WORD_0 src1_sel:DWORD
	v_mul_u32_u24_sdwa v39, v185, v77 dst_sel:DWORD dst_unused:UNUSED_PAD src0_sel:WORD_1 src1_sel:DWORD
	v_mul_u32_u24_sdwa v38, v186, v77 dst_sel:DWORD dst_unused:UNUSED_PAD src0_sel:WORD_0 src1_sel:DWORD
	v_mul_u32_u24_sdwa v36, v186, v77 dst_sel:DWORD dst_unused:UNUSED_PAD src0_sel:WORD_1 src1_sel:DWORD
	;; [unrolled: 2-line block ×4, first 2 shown]
	ds_read2_b64 v[185:188], v78 offset0:128 offset1:160
	s_waitcnt lgkmcnt(0)
	v_pk_fma_f16 v189, v185, v32, v189
	v_pk_fma_f16 v32, v186, v32, v196
	;; [unrolled: 1-line block ×32, first 2 shown]
	ds_read_b128 v[17:20], v70 offset:416
	ds_read_b128 v[21:24], v70 offset:432
	ds_read2_b64 v[185:188], v78 offset0:192 offset1:224
	s_waitcnt lgkmcnt(2)
	v_mul_u32_u24_sdwa v31, v17, v77 dst_sel:DWORD dst_unused:UNUSED_PAD src0_sel:WORD_0 src1_sel:DWORD
	v_mul_u32_u24_sdwa v32, v17, v77 dst_sel:DWORD dst_unused:UNUSED_PAD src0_sel:WORD_1 src1_sel:DWORD
	s_waitcnt lgkmcnt(0)
	v_pk_fma_f16 v189, v185, v160, v189
	v_pk_fma_f16 v160, v186, v160, v196
	;; [unrolled: 1-line block ×32, first 2 shown]
	ds_read_b128 v[185:188], v70 offset:448
	ds_read_b128 v[189:192], v70 offset:464
	v_mul_u32_u24_sdwa v29, v18, v77 dst_sel:DWORD dst_unused:UNUSED_PAD src0_sel:WORD_0 src1_sel:DWORD
	v_mul_u32_u24_sdwa v30, v18, v77 dst_sel:DWORD dst_unused:UNUSED_PAD src0_sel:WORD_1 src1_sel:DWORD
	v_mul_u32_u24_sdwa v27, v19, v77 dst_sel:DWORD dst_unused:UNUSED_PAD src0_sel:WORD_0 src1_sel:DWORD
	v_mul_u32_u24_sdwa v28, v19, v77 dst_sel:DWORD dst_unused:UNUSED_PAD src0_sel:WORD_1 src1_sel:DWORD
	;; [unrolled: 2-line block ×7, first 2 shown]
	s_waitcnt lgkmcnt(1)
	v_mul_u32_u24_sdwa v140, v185, v77 dst_sel:DWORD dst_unused:UNUSED_PAD src0_sel:WORD_0 src1_sel:DWORD
	v_mul_u32_u24_sdwa v193, v185, v77 dst_sel:DWORD dst_unused:UNUSED_PAD src0_sel:WORD_1 src1_sel:DWORD
	v_mul_u32_u24_sdwa v194, v186, v77 dst_sel:DWORD dst_unused:UNUSED_PAD src0_sel:WORD_0 src1_sel:DWORD
	v_mul_u32_u24_sdwa v195, v186, v77 dst_sel:DWORD dst_unused:UNUSED_PAD src0_sel:WORD_1 src1_sel:DWORD
	;; [unrolled: 2-line block ×4, first 2 shown]
	ds_read2_b64 v[185:188], v79 offset1:32
	s_waitcnt lgkmcnt(1)
	v_mul_u32_u24_sdwa v201, v189, v77 dst_sel:DWORD dst_unused:UNUSED_PAD src0_sel:WORD_0 src1_sel:DWORD
	v_mul_u32_u24_sdwa v189, v189, v77 dst_sel:DWORD dst_unused:UNUSED_PAD src0_sel:WORD_1 src1_sel:DWORD
	v_mul_u32_u24_sdwa v202, v190, v77 dst_sel:DWORD dst_unused:UNUSED_PAD src0_sel:WORD_0 src1_sel:DWORD
	v_mul_u32_u24_sdwa v190, v190, v77 dst_sel:DWORD dst_unused:UNUSED_PAD src0_sel:WORD_1 src1_sel:DWORD
	v_mul_u32_u24_sdwa v203, v191, v77 dst_sel:DWORD dst_unused:UNUSED_PAD src0_sel:WORD_0 src1_sel:DWORD
	v_mul_u32_u24_sdwa v191, v191, v77 dst_sel:DWORD dst_unused:UNUSED_PAD src0_sel:WORD_1 src1_sel:DWORD
	v_mul_u32_u24_sdwa v204, v192, v77 dst_sel:DWORD dst_unused:UNUSED_PAD src0_sel:WORD_0 src1_sel:DWORD
	v_mul_u32_u24_sdwa v192, v192, v77 dst_sel:DWORD dst_unused:UNUSED_PAD src0_sel:WORD_1 src1_sel:DWORD
	s_waitcnt lgkmcnt(0)
	v_pk_fma_f16 v196, v185, v161, v196
	v_pk_fma_f16 v137, v186, v161, v137
	;; [unrolled: 1-line block ×32, first 2 shown]
	ds_read_b128 v[98:101], v70 offset:480
	ds_read_b128 v[129:132], v70 offset:496
	s_waitcnt lgkmcnt(1)
	v_mul_u32_u24_sdwa v152, v98, v77 dst_sel:DWORD dst_unused:UNUSED_PAD src0_sel:WORD_0 src1_sel:DWORD
	v_mul_u32_u24_sdwa v154, v98, v77 dst_sel:DWORD dst_unused:UNUSED_PAD src0_sel:WORD_1 src1_sel:DWORD
	v_mul_u32_u24_sdwa v155, v99, v77 dst_sel:DWORD dst_unused:UNUSED_PAD src0_sel:WORD_0 src1_sel:DWORD
	v_mul_u32_u24_sdwa v157, v99, v77 dst_sel:DWORD dst_unused:UNUSED_PAD src0_sel:WORD_1 src1_sel:DWORD
	;; [unrolled: 2-line block ×4, first 2 shown]
	ds_read2_b64 v[98:101], v79 offset0:64 offset1:96
	s_waitcnt lgkmcnt(0)
	v_pk_fma_f16 v141, v98, v97, v141
	v_pk_fma_f16 v97, v99, v97, v137
	;; [unrolled: 1-line block ×24, first 2 shown]
	v_add_co_u32 v94, vcc_lo, s0, v47
	v_pk_fma_f16 v135, v100, v84, v135
	v_pk_fma_f16 v93, v101, v84, v93
	v_add_co_u32 v84, s0, s0, v49
	v_pk_fma_f16 v98, v100, v81, v98
	v_pk_fma_f16 v90, v101, v81, v90
	v_add_co_ci_u32_e64 v81, null, s1, v48, vcc_lo
	v_pk_fma_f16 v138, v100, v82, v102
	v_pk_fma_f16 v91, v101, v82, v91
	v_add_co_ci_u32_e64 v82, null, s1, v50, s0
	v_add_co_u32 v102, vcc_lo, v94, v76
	v_add_co_ci_u32_e64 v103, null, 0, v81, vcc_lo
	v_add_co_u32 v133, vcc_lo, v84, v76
	v_pk_fma_f16 v104, v100, v83, v104
	v_pk_fma_f16 v92, v101, v83, v92
	v_add_co_ci_u32_e64 v134, null, 0, v82, vcc_lo
	ds_read2_b64 v[81:84], v79 offset0:128 offset1:160
	v_mul_u32_u24_sdwa v137, v129, v77 dst_sel:DWORD dst_unused:UNUSED_PAD src0_sel:WORD_0 src1_sel:DWORD
	v_mul_u32_u24_sdwa v141, v129, v77 dst_sel:DWORD dst_unused:UNUSED_PAD src0_sel:WORD_1 src1_sel:DWORD
	v_mul_u32_u24_sdwa v143, v130, v77 dst_sel:DWORD dst_unused:UNUSED_PAD src0_sel:WORD_0 src1_sel:DWORD
	v_mul_u32_u24_sdwa v144, v130, v77 dst_sel:DWORD dst_unused:UNUSED_PAD src0_sel:WORD_1 src1_sel:DWORD
	;; [unrolled: 2-line block ×4, first 2 shown]
	s_waitcnt lgkmcnt(0)
	v_pk_fma_f16 v94, v81, v174, v99
	v_pk_fma_f16 v99, v82, v174, v88
	;; [unrolled: 1-line block ×5, first 2 shown]
	ds_read2_b64 v[85:88], v79 offset0:192 offset1:224
	v_pk_fma_f16 v130, v81, v166, v135
	v_pk_fma_f16 v131, v82, v166, v93
	;; [unrolled: 1-line block ×24, first 2 shown]
	ds_read2_b64 v[90:93], v80 offset1:32
	v_pk_fma_f16 v150, v83, v145, v95
	ds_read2_b64 v[94:97], v80 offset0:64 offset1:96
	v_pk_fma_f16 v138, v83, v89, v81
	v_pk_fma_f16 v89, v84, v89, v82
	ds_read2_b64 v[81:84], v80 offset0:128 offset1:160
	s_waitcnt lgkmcnt(3)
	v_pk_fma_f16 v142, v85, v184, v98
	v_pk_fma_f16 v145, v86, v184, v99
	;; [unrolled: 1-line block ×4, first 2 shown]
	ds_read2_b64 v[98:101], v80 offset0:192 offset1:224
	s_waitcnt lgkmcnt(0)
	s_barrier
	buffer_gl0_inv
	v_pk_fma_f16 v162, v86, v181, v129
	v_pk_fma_f16 v164, v85, v180, v130
	;; [unrolled: 1-line block ×3, first 2 shown]
	global_load_dwordx4 v[129:132], v[102:103], off
	v_pk_fma_f16 v102, v85, v179, v104
	v_pk_fma_f16 v103, v86, v179, v139
	;; [unrolled: 1-line block ×4, first 2 shown]
	global_load_dwordx4 v[133:136], v[133:134], off
	v_pk_fma_f16 v151, v85, v183, v151
	v_pk_fma_f16 v153, v85, v182, v153
	;; [unrolled: 1-line block ×149, first 2 shown]
	s_waitcnt vmcnt(1)
	ds_write_b128 v71, v[129:132]
	s_waitcnt vmcnt(0)
	ds_write_b128 v72, v[133:136]
	s_waitcnt lgkmcnt(0)
	s_barrier
	buffer_gl0_inv
	ds_read_b128 v[33:36], v70 offset:512
	ds_read_b128 v[37:40], v70 offset:528
	;; [unrolled: 1-line block ×12, first 2 shown]
	s_waitcnt lgkmcnt(11)
	v_mul_u32_u24_sdwa v185, v33, v77 dst_sel:DWORD dst_unused:UNUSED_PAD src0_sel:WORD_0 src1_sel:DWORD
	v_mul_u32_u24_sdwa v186, v33, v77 dst_sel:DWORD dst_unused:UNUSED_PAD src0_sel:WORD_1 src1_sel:DWORD
	v_mul_u32_u24_sdwa v187, v34, v77 dst_sel:DWORD dst_unused:UNUSED_PAD src0_sel:WORD_0 src1_sel:DWORD
	v_mul_u32_u24_sdwa v188, v34, v77 dst_sel:DWORD dst_unused:UNUSED_PAD src0_sel:WORD_1 src1_sel:DWORD
	;; [unrolled: 2-line block ×4, first 2 shown]
	s_waitcnt lgkmcnt(9)
	v_mul_u32_u24_sdwa v203, v83, v77 dst_sel:DWORD dst_unused:UNUSED_PAD src0_sel:WORD_0 src1_sel:DWORD
	v_mul_u32_u24_sdwa v204, v83, v77 dst_sel:DWORD dst_unused:UNUSED_PAD src0_sel:WORD_1 src1_sel:DWORD
	v_mul_u32_u24_sdwa v205, v84, v77 dst_sel:DWORD dst_unused:UNUSED_PAD src0_sel:WORD_0 src1_sel:DWORD
	v_mul_u32_u24_sdwa v206, v84, v77 dst_sel:DWORD dst_unused:UNUSED_PAD src0_sel:WORD_1 src1_sel:DWORD
	s_waitcnt lgkmcnt(8)
	v_mul_u32_u24_sdwa v207, v85, v77 dst_sel:DWORD dst_unused:UNUSED_PAD src0_sel:WORD_0 src1_sel:DWORD
	v_mul_u32_u24_sdwa v208, v85, v77 dst_sel:DWORD dst_unused:UNUSED_PAD src0_sel:WORD_1 src1_sel:DWORD
	v_mul_u32_u24_sdwa v209, v86, v77 dst_sel:DWORD dst_unused:UNUSED_PAD src0_sel:WORD_0 src1_sel:DWORD
	v_mul_u32_u24_sdwa v210, v86, v77 dst_sel:DWORD dst_unused:UNUSED_PAD src0_sel:WORD_1 src1_sel:DWORD
	ds_read_b128 v[33:36], v70 offset:704
	ds_read_b128 v[83:86], v70 offset:720
	s_waitcnt lgkmcnt(7)
	v_mul_u32_u24_sdwa v166, v98, v77 dst_sel:DWORD dst_unused:UNUSED_PAD src0_sel:WORD_0 src1_sel:DWORD
	v_mul_u32_u24_sdwa v165, v98, v77 dst_sel:DWORD dst_unused:UNUSED_PAD src0_sel:WORD_1 src1_sel:DWORD
	v_mul_u32_u24_sdwa v162, v100, v77 dst_sel:DWORD dst_unused:UNUSED_PAD src0_sel:WORD_0 src1_sel:DWORD
	v_mul_u32_u24_sdwa v161, v100, v77 dst_sel:DWORD dst_unused:UNUSED_PAD src0_sel:WORD_1 src1_sel:DWORD
	s_waitcnt lgkmcnt(6)
	v_mul_u32_u24_sdwa v158, v102, v77 dst_sel:DWORD dst_unused:UNUSED_PAD src0_sel:WORD_0 src1_sel:DWORD
	v_mul_u32_u24_sdwa v157, v102, v77 dst_sel:DWORD dst_unused:UNUSED_PAD src0_sel:WORD_1 src1_sel:DWORD
	v_mul_u32_u24_sdwa v154, v104, v77 dst_sel:DWORD dst_unused:UNUSED_PAD src0_sel:WORD_0 src1_sel:DWORD
	v_mul_u32_u24_sdwa v153, v104, v77 dst_sel:DWORD dst_unused:UNUSED_PAD src0_sel:WORD_1 src1_sel:DWORD
	;; [unrolled: 5-line block ×4, first 2 shown]
	v_mul_u32_u24_sdwa v193, v37, v77 dst_sel:DWORD dst_unused:UNUSED_PAD src0_sel:WORD_0 src1_sel:DWORD
	v_mul_u32_u24_sdwa v37, v37, v77 dst_sel:DWORD dst_unused:UNUSED_PAD src0_sel:WORD_1 src1_sel:DWORD
	s_waitcnt lgkmcnt(1)
	v_mul_u32_u24_sdwa v128, v33, v77 dst_sel:DWORD dst_unused:UNUSED_PAD src0_sel:WORD_0 src1_sel:DWORD
	v_mul_u32_u24_sdwa v126, v33, v77 dst_sel:DWORD dst_unused:UNUSED_PAD src0_sel:WORD_1 src1_sel:DWORD
	v_mul_u32_u24_sdwa v124, v34, v77 dst_sel:DWORD dst_unused:UNUSED_PAD src0_sel:WORD_0 src1_sel:DWORD
	v_mul_u32_u24_sdwa v122, v34, v77 dst_sel:DWORD dst_unused:UNUSED_PAD src0_sel:WORD_1 src1_sel:DWORD
	;; [unrolled: 2-line block ×4, first 2 shown]
	ds_read2_b64 v[33:36], v73 offset1:32
	v_mul_u32_u24_sdwa v194, v38, v77 dst_sel:DWORD dst_unused:UNUSED_PAD src0_sel:WORD_0 src1_sel:DWORD
	v_mul_u32_u24_sdwa v195, v38, v77 dst_sel:DWORD dst_unused:UNUSED_PAD src0_sel:WORD_1 src1_sel:DWORD
	v_mul_u32_u24_sdwa v196, v39, v77 dst_sel:DWORD dst_unused:UNUSED_PAD src0_sel:WORD_0 src1_sel:DWORD
	v_mul_u32_u24_sdwa v39, v39, v77 dst_sel:DWORD dst_unused:UNUSED_PAD src0_sel:WORD_1 src1_sel:DWORD
	;; [unrolled: 2-line block ×6, first 2 shown]
	s_waitcnt lgkmcnt(1)
	v_mul_u32_u24_sdwa v40, v86, v77 dst_sel:DWORD dst_unused:UNUSED_PAD src0_sel:WORD_0 src1_sel:DWORD
	v_mul_u32_u24_sdwa v38, v86, v77 dst_sel:DWORD dst_unused:UNUSED_PAD src0_sel:WORD_1 src1_sel:DWORD
	v_mul_u32_u24_sdwa v164, v99, v77 dst_sel:DWORD dst_unused:UNUSED_PAD src0_sel:WORD_0 src1_sel:DWORD
	v_mul_u32_u24_sdwa v163, v99, v77 dst_sel:DWORD dst_unused:UNUSED_PAD src0_sel:WORD_1 src1_sel:DWORD
	;; [unrolled: 2-line block ×3, first 2 shown]
	v_mul_u32_u24_sdwa v156, v103, v77 dst_sel:DWORD dst_unused:UNUSED_PAD src0_sel:WORD_0 src1_sel:DWORD
	s_waitcnt lgkmcnt(0)
	v_pk_fma_f16 v24, v33, v185, v24
	v_pk_fma_f16 v23, v33, v186, v23
	;; [unrolled: 1-line block ×25, first 2 shown]
	ds_read_b128 v[17:20], v70 offset:736
	ds_read_b128 v[21:24], v70 offset:752
	v_mul_u32_u24_sdwa v155, v103, v77 dst_sel:DWORD dst_unused:UNUSED_PAD src0_sel:WORD_1 src1_sel:DWORD
	v_mul_u32_u24_sdwa v184, v121, v77 dst_sel:DWORD dst_unused:UNUSED_PAD src0_sel:WORD_0 src1_sel:DWORD
	v_mul_u32_u24_sdwa v183, v121, v77 dst_sel:DWORD dst_unused:UNUSED_PAD src0_sel:WORD_1 src1_sel:DWORD
	v_mul_u32_u24_sdwa v180, v123, v77 dst_sel:DWORD dst_unused:UNUSED_PAD src0_sel:WORD_0 src1_sel:DWORD
	;; [unrolled: 2-line block ×7, first 2 shown]
	v_mul_u32_u24_sdwa v202, v82, v77 dst_sel:DWORD dst_unused:UNUSED_PAD src0_sel:WORD_1 src1_sel:DWORD
	v_pk_fma_f16 v32, v36, v193, v32
	v_pk_fma_f16 v30, v36, v194, v30
	;; [unrolled: 1-line block ×3, first 2 shown]
	s_waitcnt lgkmcnt(1)
	v_mul_u32_u24_sdwa v129, v17, v77 dst_sel:DWORD dst_unused:UNUSED_PAD src0_sel:WORD_0 src1_sel:DWORD
	v_mul_u32_u24_sdwa v127, v17, v77 dst_sel:DWORD dst_unused:UNUSED_PAD src0_sel:WORD_1 src1_sel:DWORD
	v_mul_u32_u24_sdwa v125, v18, v77 dst_sel:DWORD dst_unused:UNUSED_PAD src0_sel:WORD_0 src1_sel:DWORD
	v_mul_u32_u24_sdwa v123, v18, v77 dst_sel:DWORD dst_unused:UNUSED_PAD src0_sel:WORD_1 src1_sel:DWORD
	;; [unrolled: 2-line block ×4, first 2 shown]
	ds_read2_b64 v[17:20], v73 offset0:64 offset1:96
	v_pk_fma_f16 v28, v36, v196, v28
	v_pk_fma_f16 v27, v36, v39, v27
	;; [unrolled: 1-line block ×4, first 2 shown]
	v_mul_u32_u24_sdwa v211, v87, v77 dst_sel:DWORD dst_unused:UNUSED_PAD src0_sel:WORD_0 src1_sel:DWORD
	v_mul_u32_u24_sdwa v212, v87, v77 dst_sel:DWORD dst_unused:UNUSED_PAD src0_sel:WORD_1 src1_sel:DWORD
	v_mul_u32_u24_sdwa v213, v88, v77 dst_sel:DWORD dst_unused:UNUSED_PAD src0_sel:WORD_0 src1_sel:DWORD
	v_mul_u32_u24_sdwa v214, v88, v77 dst_sel:DWORD dst_unused:UNUSED_PAD src0_sel:WORD_1 src1_sel:DWORD
	;; [unrolled: 2-line block ×11, first 2 shown]
	s_waitcnt lgkmcnt(1)
	v_mul_u32_u24_sdwa v97, v21, v77 dst_sel:DWORD dst_unused:UNUSED_PAD src0_sel:WORD_0 src1_sel:DWORD
	v_mul_u32_u24_sdwa v94, v21, v77 dst_sel:DWORD dst_unused:UNUSED_PAD src0_sel:WORD_1 src1_sel:DWORD
	v_mul_u32_u24_sdwa v91, v22, v77 dst_sel:DWORD dst_unused:UNUSED_PAD src0_sel:WORD_0 src1_sel:DWORD
	v_mul_u32_u24_sdwa v88, v22, v77 dst_sel:DWORD dst_unused:UNUSED_PAD src0_sel:WORD_1 src1_sel:DWORD
	;; [unrolled: 2-line block ×4, first 2 shown]
	s_waitcnt lgkmcnt(0)
	v_pk_fma_f16 v21, v17, v199, v33
	v_pk_fma_f16 v22, v18, v199, v32
	;; [unrolled: 1-line block ×16, first 2 shown]
	v_mul_u32_u24_sdwa v144, v133, v77 dst_sel:DWORD dst_unused:UNUSED_PAD src0_sel:WORD_0 src1_sel:DWORD
	v_mul_u32_u24_sdwa v143, v133, v77 dst_sel:DWORD dst_unused:UNUSED_PAD src0_sel:WORD_1 src1_sel:DWORD
	v_mul_u32_u24_sdwa v142, v134, v77 dst_sel:DWORD dst_unused:UNUSED_PAD src0_sel:WORD_0 src1_sel:DWORD
	v_mul_u32_u24_sdwa v141, v134, v77 dst_sel:DWORD dst_unused:UNUSED_PAD src0_sel:WORD_1 src1_sel:DWORD
	v_mul_u32_u24_sdwa v140, v135, v77 dst_sel:DWORD dst_unused:UNUSED_PAD src0_sel:WORD_0 src1_sel:DWORD
	v_mul_u32_u24_sdwa v139, v135, v77 dst_sel:DWORD dst_unused:UNUSED_PAD src0_sel:WORD_1 src1_sel:DWORD
	v_mul_u32_u24_sdwa v138, v136, v77 dst_sel:DWORD dst_unused:UNUSED_PAD src0_sel:WORD_0 src1_sel:DWORD
	v_mul_u32_u24_sdwa v137, v136, v77 dst_sel:DWORD dst_unused:UNUSED_PAD src0_sel:WORD_1 src1_sel:DWORD
	v_pk_fma_f16 v86, v19, v207, v21
	v_pk_fma_f16 v130, v20, v207, v22
	;; [unrolled: 1-line block ×16, first 2 shown]
	ds_read_b128 v[17:20], v70 offset:768
	ds_read_b128 v[34:37], v70 offset:784
	v_mul_u32_u24_sdwa v215, v89, v77 dst_sel:DWORD dst_unused:UNUSED_PAD src0_sel:WORD_0 src1_sel:DWORD
	v_mul_u32_u24_sdwa v89, v89, v77 dst_sel:DWORD dst_unused:UNUSED_PAD src0_sel:WORD_1 src1_sel:DWORD
	v_mul_u32_u24_sdwa v220, v92, v77 dst_sel:DWORD dst_unused:UNUSED_PAD src0_sel:WORD_0 src1_sel:DWORD
	v_mul_u32_u24_sdwa v92, v92, v77 dst_sel:DWORD dst_unused:UNUSED_PAD src0_sel:WORD_1 src1_sel:DWORD
	;; [unrolled: 2-line block ×3, first 2 shown]
	s_waitcnt lgkmcnt(1)
	v_mul_u32_u24_sdwa v33, v17, v77 dst_sel:DWORD dst_unused:UNUSED_PAD src0_sel:WORD_0 src1_sel:DWORD
	v_mul_u32_u24_sdwa v32, v17, v77 dst_sel:DWORD dst_unused:UNUSED_PAD src0_sel:WORD_1 src1_sel:DWORD
	v_mul_u32_u24_sdwa v29, v19, v77 dst_sel:DWORD dst_unused:UNUSED_PAD src0_sel:WORD_0 src1_sel:DWORD
	v_mul_u32_u24_sdwa v28, v19, v77 dst_sel:DWORD dst_unused:UNUSED_PAD src0_sel:WORD_1 src1_sel:DWORD
	;; [unrolled: 2-line block ×3, first 2 shown]
	s_waitcnt lgkmcnt(0)
	v_mul_u32_u24_sdwa v25, v34, v77 dst_sel:DWORD dst_unused:UNUSED_PAD src0_sel:WORD_0 src1_sel:DWORD
	v_mul_u32_u24_sdwa v24, v34, v77 dst_sel:DWORD dst_unused:UNUSED_PAD src0_sel:WORD_1 src1_sel:DWORD
	v_mul_u32_u24_sdwa v23, v35, v77 dst_sel:DWORD dst_unused:UNUSED_PAD src0_sel:WORD_0 src1_sel:DWORD
	v_mul_u32_u24_sdwa v22, v35, v77 dst_sel:DWORD dst_unused:UNUSED_PAD src0_sel:WORD_1 src1_sel:DWORD
	;; [unrolled: 2-line block ×4, first 2 shown]
	ds_read2_b64 v[34:37], v73 offset0:128 offset1:160
	v_mul_u32_u24_sdwa v31, v18, v77 dst_sel:DWORD dst_unused:UNUSED_PAD src0_sel:WORD_0 src1_sel:DWORD
	v_mul_u32_u24_sdwa v30, v18, v77 dst_sel:DWORD dst_unused:UNUSED_PAD src0_sel:WORD_1 src1_sel:DWORD
	s_waitcnt lgkmcnt(0)
	v_pk_fma_f16 v18, v34, v215, v86
	v_pk_fma_f16 v86, v35, v215, v130
	;; [unrolled: 1-line block ×32, first 2 shown]
	ds_read_b128 v[34:37], v70 offset:800
	ds_read_b128 v[185:188], v70 offset:816
	s_waitcnt lgkmcnt(1)
	v_mul_u32_u24_sdwa v136, v34, v77 dst_sel:DWORD dst_unused:UNUSED_PAD src0_sel:WORD_0 src1_sel:DWORD
	v_mul_u32_u24_sdwa v135, v34, v77 dst_sel:DWORD dst_unused:UNUSED_PAD src0_sel:WORD_1 src1_sel:DWORD
	v_mul_u32_u24_sdwa v134, v35, v77 dst_sel:DWORD dst_unused:UNUSED_PAD src0_sel:WORD_0 src1_sel:DWORD
	v_mul_u32_u24_sdwa v133, v35, v77 dst_sel:DWORD dst_unused:UNUSED_PAD src0_sel:WORD_1 src1_sel:DWORD
	;; [unrolled: 2-line block ×4, first 2 shown]
	s_waitcnt lgkmcnt(0)
	v_mul_u32_u24_sdwa v92, v185, v77 dst_sel:DWORD dst_unused:UNUSED_PAD src0_sel:WORD_0 src1_sel:DWORD
	v_mul_u32_u24_sdwa v89, v185, v77 dst_sel:DWORD dst_unused:UNUSED_PAD src0_sel:WORD_1 src1_sel:DWORD
	v_mul_u32_u24_sdwa v86, v186, v77 dst_sel:DWORD dst_unused:UNUSED_PAD src0_sel:WORD_0 src1_sel:DWORD
	v_mul_u32_u24_sdwa v37, v186, v77 dst_sel:DWORD dst_unused:UNUSED_PAD src0_sel:WORD_1 src1_sel:DWORD
	;; [unrolled: 2-line block ×4, first 2 shown]
	ds_read2_b64 v[185:188], v73 offset0:192 offset1:224
	s_waitcnt lgkmcnt(0)
	v_pk_fma_f16 v189, v185, v168, v189
	v_pk_fma_f16 v168, v186, v168, v190
	;; [unrolled: 1-line block ×32, first 2 shown]
	ds_read_b128 v[153:156], v70 offset:832
	ds_read_b128 v[185:188], v70 offset:848
	s_waitcnt lgkmcnt(1)
	v_mul_u32_u24_sdwa v168, v153, v77 dst_sel:DWORD dst_unused:UNUSED_PAD src0_sel:WORD_0 src1_sel:DWORD
	v_mul_u32_u24_sdwa v167, v153, v77 dst_sel:DWORD dst_unused:UNUSED_PAD src0_sel:WORD_1 src1_sel:DWORD
	v_mul_u32_u24_sdwa v166, v154, v77 dst_sel:DWORD dst_unused:UNUSED_PAD src0_sel:WORD_0 src1_sel:DWORD
	v_mul_u32_u24_sdwa v165, v154, v77 dst_sel:DWORD dst_unused:UNUSED_PAD src0_sel:WORD_1 src1_sel:DWORD
	;; [unrolled: 2-line block ×4, first 2 shown]
	s_waitcnt lgkmcnt(0)
	v_mul_u32_u24_sdwa v160, v185, v77 dst_sel:DWORD dst_unused:UNUSED_PAD src0_sel:WORD_0 src1_sel:DWORD
	v_mul_u32_u24_sdwa v159, v185, v77 dst_sel:DWORD dst_unused:UNUSED_PAD src0_sel:WORD_1 src1_sel:DWORD
	v_mul_u32_u24_sdwa v158, v186, v77 dst_sel:DWORD dst_unused:UNUSED_PAD src0_sel:WORD_0 src1_sel:DWORD
	v_mul_u32_u24_sdwa v157, v186, v77 dst_sel:DWORD dst_unused:UNUSED_PAD src0_sel:WORD_1 src1_sel:DWORD
	;; [unrolled: 2-line block ×4, first 2 shown]
	ds_read2_b64 v[185:188], v78 offset1:32
	s_waitcnt lgkmcnt(0)
	v_pk_fma_f16 v189, v185, v184, v189
	v_pk_fma_f16 v184, v186, v184, v196
	;; [unrolled: 1-line block ×32, first 2 shown]
	ds_read_b128 v[169:172], v70 offset:864
	ds_read_b128 v[185:188], v70 offset:880
	s_waitcnt lgkmcnt(1)
	v_mul_u32_u24_sdwa v183, v169, v77 dst_sel:DWORD dst_unused:UNUSED_PAD src0_sel:WORD_0 src1_sel:DWORD
	v_mul_u32_u24_sdwa v184, v169, v77 dst_sel:DWORD dst_unused:UNUSED_PAD src0_sel:WORD_1 src1_sel:DWORD
	v_mul_u32_u24_sdwa v182, v170, v77 dst_sel:DWORD dst_unused:UNUSED_PAD src0_sel:WORD_0 src1_sel:DWORD
	v_mul_u32_u24_sdwa v179, v170, v77 dst_sel:DWORD dst_unused:UNUSED_PAD src0_sel:WORD_1 src1_sel:DWORD
	v_mul_u32_u24_sdwa v180, v171, v77 dst_sel:DWORD dst_unused:UNUSED_PAD src0_sel:WORD_0 src1_sel:DWORD
	v_mul_u32_u24_sdwa v181, v171, v77 dst_sel:DWORD dst_unused:UNUSED_PAD src0_sel:WORD_1 src1_sel:DWORD
	v_mul_u32_u24_sdwa v178, v172, v77 dst_sel:DWORD dst_unused:UNUSED_PAD src0_sel:WORD_0 src1_sel:DWORD
	v_mul_u32_u24_sdwa v177, v172, v77 dst_sel:DWORD dst_unused:UNUSED_PAD src0_sel:WORD_1 src1_sel:DWORD
	s_waitcnt lgkmcnt(0)
	v_mul_u32_u24_sdwa v175, v185, v77 dst_sel:DWORD dst_unused:UNUSED_PAD src0_sel:WORD_0 src1_sel:DWORD
	v_mul_u32_u24_sdwa v176, v185, v77 dst_sel:DWORD dst_unused:UNUSED_PAD src0_sel:WORD_1 src1_sel:DWORD
	v_mul_u32_u24_sdwa v171, v186, v77 dst_sel:DWORD dst_unused:UNUSED_PAD src0_sel:WORD_0 src1_sel:DWORD
	v_mul_u32_u24_sdwa v172, v186, v77 dst_sel:DWORD dst_unused:UNUSED_PAD src0_sel:WORD_1 src1_sel:DWORD
	;; [unrolled: 2-line block ×4, first 2 shown]
	ds_read2_b64 v[185:188], v78 offset0:64 offset1:96
	s_waitcnt lgkmcnt(0)
	v_pk_fma_f16 v189, v185, v152, v189
	v_pk_fma_f16 v152, v186, v152, v196
	;; [unrolled: 1-line block ×32, first 2 shown]
	ds_read_b128 v[137:140], v70 offset:896
	ds_read_b128 v[141:144], v70 offset:912
	ds_read2_b64 v[185:188], v78 offset0:128 offset1:160
	s_waitcnt lgkmcnt(2)
	v_mul_u32_u24_sdwa v145, v137, v77 dst_sel:DWORD dst_unused:UNUSED_PAD src0_sel:WORD_0 src1_sel:DWORD
	v_mul_u32_u24_sdwa v146, v137, v77 dst_sel:DWORD dst_unused:UNUSED_PAD src0_sel:WORD_1 src1_sel:DWORD
	s_waitcnt lgkmcnt(0)
	v_pk_fma_f16 v189, v185, v128, v189
	v_pk_fma_f16 v128, v186, v128, v196
	;; [unrolled: 1-line block ×32, first 2 shown]
	ds_read_b128 v[185:188], v70 offset:928
	ds_read_b128 v[189:192], v70 offset:944
	v_mul_u32_u24_sdwa v147, v138, v77 dst_sel:DWORD dst_unused:UNUSED_PAD src0_sel:WORD_0 src1_sel:DWORD
	v_mul_u32_u24_sdwa v148, v138, v77 dst_sel:DWORD dst_unused:UNUSED_PAD src0_sel:WORD_1 src1_sel:DWORD
	v_mul_u32_u24_sdwa v149, v139, v77 dst_sel:DWORD dst_unused:UNUSED_PAD src0_sel:WORD_0 src1_sel:DWORD
	v_mul_u32_u24_sdwa v150, v139, v77 dst_sel:DWORD dst_unused:UNUSED_PAD src0_sel:WORD_1 src1_sel:DWORD
	;; [unrolled: 2-line block ×7, first 2 shown]
	s_waitcnt lgkmcnt(1)
	v_mul_u32_u24_sdwa v193, v185, v77 dst_sel:DWORD dst_unused:UNUSED_PAD src0_sel:WORD_0 src1_sel:DWORD
	v_mul_u32_u24_sdwa v194, v185, v77 dst_sel:DWORD dst_unused:UNUSED_PAD src0_sel:WORD_1 src1_sel:DWORD
	v_mul_u32_u24_sdwa v195, v186, v77 dst_sel:DWORD dst_unused:UNUSED_PAD src0_sel:WORD_0 src1_sel:DWORD
	v_mul_u32_u24_sdwa v197, v186, v77 dst_sel:DWORD dst_unused:UNUSED_PAD src0_sel:WORD_1 src1_sel:DWORD
	;; [unrolled: 2-line block ×4, first 2 shown]
	ds_read2_b64 v[185:188], v78 offset0:192 offset1:224
	s_waitcnt lgkmcnt(1)
	v_mul_u32_u24_sdwa v202, v189, v77 dst_sel:DWORD dst_unused:UNUSED_PAD src0_sel:WORD_0 src1_sel:DWORD
	v_mul_u32_u24_sdwa v189, v189, v77 dst_sel:DWORD dst_unused:UNUSED_PAD src0_sel:WORD_1 src1_sel:DWORD
	v_mul_u32_u24_sdwa v203, v190, v77 dst_sel:DWORD dst_unused:UNUSED_PAD src0_sel:WORD_0 src1_sel:DWORD
	v_mul_u32_u24_sdwa v190, v190, v77 dst_sel:DWORD dst_unused:UNUSED_PAD src0_sel:WORD_1 src1_sel:DWORD
	;; [unrolled: 2-line block ×4, first 2 shown]
	s_waitcnt lgkmcnt(0)
	v_pk_fma_f16 v98, v185, v129, v196
	v_pk_fma_f16 v96, v186, v129, v96
	v_pk_fma_f16 v128, v185, v127, v128
	v_pk_fma_f16 v93, v186, v127, v93
	v_pk_fma_f16 v126, v185, v125, v126
	v_pk_fma_f16 v90, v186, v125, v90
	v_pk_fma_f16 v124, v185, v123, v124
	v_pk_fma_f16 v87, v186, v123, v87
	v_pk_fma_f16 v122, v185, v121, v122
	v_pk_fma_f16 v84, v186, v121, v84
	v_pk_fma_f16 v104, v185, v103, v104
	v_pk_fma_f16 v82, v186, v103, v82
	v_pk_fma_f16 v102, v185, v101, v102
	v_pk_fma_f16 v40, v186, v101, v40
	v_pk_fma_f16 v100, v185, v99, v100
	v_pk_fma_f16 v38, v186, v99, v38
	v_pk_fma_f16 v101, v187, v97, v98
	v_pk_fma_f16 v103, v188, v97, v96
	v_pk_fma_f16 v121, v187, v94, v128
	v_pk_fma_f16 v93, v188, v94, v93
	v_pk_fma_f16 v94, v187, v91, v126
	v_pk_fma_f16 v90, v188, v91, v90
	v_pk_fma_f16 v91, v187, v88, v124
	v_pk_fma_f16 v87, v188, v88, v87
	v_pk_fma_f16 v88, v187, v85, v122
	v_pk_fma_f16 v85, v188, v85, v84
	v_pk_fma_f16 v104, v187, v83, v104
	v_pk_fma_f16 v122, v188, v83, v82
	v_pk_fma_f16 v102, v187, v81, v102
	v_pk_fma_f16 v40, v188, v81, v40
	ds_read_b128 v[81:84], v70 offset:960
	ds_read_b128 v[96:99], v70 offset:976
	v_pk_fma_f16 v100, v187, v39, v100
	v_pk_fma_f16 v38, v188, v39, v38
	s_waitcnt lgkmcnt(1)
	v_mul_u32_u24_sdwa v39, v81, v77 dst_sel:DWORD dst_unused:UNUSED_PAD src0_sel:WORD_0 src1_sel:DWORD
	v_mul_u32_u24_sdwa v123, v81, v77 dst_sel:DWORD dst_unused:UNUSED_PAD src0_sel:WORD_1 src1_sel:DWORD
	v_mul_u32_u24_sdwa v124, v82, v77 dst_sel:DWORD dst_unused:UNUSED_PAD src0_sel:WORD_0 src1_sel:DWORD
	v_mul_u32_u24_sdwa v125, v82, v77 dst_sel:DWORD dst_unused:UNUSED_PAD src0_sel:WORD_1 src1_sel:DWORD
	v_mul_u32_u24_sdwa v126, v83, v77 dst_sel:DWORD dst_unused:UNUSED_PAD src0_sel:WORD_0 src1_sel:DWORD
	v_mul_u32_u24_sdwa v127, v83, v77 dst_sel:DWORD dst_unused:UNUSED_PAD src0_sel:WORD_1 src1_sel:DWORD
	v_mul_u32_u24_sdwa v128, v84, v77 dst_sel:DWORD dst_unused:UNUSED_PAD src0_sel:WORD_0 src1_sel:DWORD
	v_mul_u32_u24_sdwa v129, v84, v77 dst_sel:DWORD dst_unused:UNUSED_PAD src0_sel:WORD_1 src1_sel:DWORD
	s_waitcnt lgkmcnt(0)
	v_mul_u32_u24_sdwa v185, v96, v77 dst_sel:DWORD dst_unused:UNUSED_PAD src0_sel:WORD_0 src1_sel:DWORD
	v_mul_u32_u24_sdwa v186, v96, v77 dst_sel:DWORD dst_unused:UNUSED_PAD src0_sel:WORD_1 src1_sel:DWORD
	v_mul_u32_u24_sdwa v187, v97, v77 dst_sel:DWORD dst_unused:UNUSED_PAD src0_sel:WORD_0 src1_sel:DWORD
	v_mul_u32_u24_sdwa v188, v97, v77 dst_sel:DWORD dst_unused:UNUSED_PAD src0_sel:WORD_1 src1_sel:DWORD
	;; [unrolled: 2-line block ×4, first 2 shown]
	ds_read_b128 v[81:84], v70 offset:992
	ds_read_b128 v[96:99], v70 offset:1008
	s_waitcnt lgkmcnt(1)
	v_mul_u32_u24_sdwa v209, v81, v77 dst_sel:DWORD dst_unused:UNUSED_PAD src0_sel:WORD_0 src1_sel:DWORD
	v_mul_u32_u24_sdwa v210, v81, v77 dst_sel:DWORD dst_unused:UNUSED_PAD src0_sel:WORD_1 src1_sel:DWORD
	v_mov_b32_e32 v81, v66
	v_add_f32_e32 v66, v118, v120
	v_mul_u32_u24_sdwa v211, v82, v77 dst_sel:DWORD dst_unused:UNUSED_PAD src0_sel:WORD_0 src1_sel:DWORD
	v_mul_u32_u24_sdwa v212, v82, v77 dst_sel:DWORD dst_unused:UNUSED_PAD src0_sel:WORD_1 src1_sel:DWORD
	v_mul_u32_u24_sdwa v213, v83, v77 dst_sel:DWORD dst_unused:UNUSED_PAD src0_sel:WORD_0 src1_sel:DWORD
	v_mul_u32_u24_sdwa v214, v83, v77 dst_sel:DWORD dst_unused:UNUSED_PAD src0_sel:WORD_1 src1_sel:DWORD
	v_fmac_f32_e32 v66, v81, v9
	v_mov_b32_e32 v9, v65
	v_add_f32_e32 v65, v116, v119
	v_mul_u32_u24_sdwa v215, v84, v77 dst_sel:DWORD dst_unused:UNUSED_PAD src0_sel:WORD_0 src1_sel:DWORD
	v_mul_u32_u24_sdwa v216, v84, v77 dst_sel:DWORD dst_unused:UNUSED_PAD src0_sel:WORD_1 src1_sel:DWORD
	s_waitcnt lgkmcnt(0)
	v_mul_u32_u24_sdwa v217, v96, v77 dst_sel:DWORD dst_unused:UNUSED_PAD src0_sel:WORD_0 src1_sel:DWORD
	v_mul_u32_u24_sdwa v218, v96, v77 dst_sel:DWORD dst_unused:UNUSED_PAD src0_sel:WORD_1 src1_sel:DWORD
	v_fmac_f32_e32 v65, v9, v10
	v_mov_b32_e32 v9, v64
	v_add_f32_e32 v64, v114, v117
	v_mov_b32_e32 v10, v58
	v_mul_u32_u24_sdwa v219, v97, v77 dst_sel:DWORD dst_unused:UNUSED_PAD src0_sel:WORD_0 src1_sel:DWORD
	v_mul_u32_u24_sdwa v97, v97, v77 dst_sel:DWORD dst_unused:UNUSED_PAD src0_sel:WORD_1 src1_sel:DWORD
	v_mul_u32_u24_sdwa v220, v98, v77 dst_sel:DWORD dst_unused:UNUSED_PAD src0_sel:WORD_0 src1_sel:DWORD
	v_fmac_f32_e32 v64, v9, v11
	v_mov_b32_e32 v9, v63
	v_add_f32_e32 v63, v112, v115
	v_mul_u32_u24_sdwa v98, v98, v77 dst_sel:DWORD dst_unused:UNUSED_PAD src0_sel:WORD_1 src1_sel:DWORD
	v_mul_u32_u24_sdwa v221, v99, v77 dst_sel:DWORD dst_unused:UNUSED_PAD src0_sel:WORD_0 src1_sel:DWORD
	v_mul_u32_u24_sdwa v99, v99, v77 dst_sel:DWORD dst_unused:UNUSED_PAD src0_sel:WORD_1 src1_sel:DWORD
	v_fmac_f32_e32 v63, v9, v12
	v_mov_b32_e32 v9, v62
	v_add_f32_e32 v62, v110, v113
	v_fmac_f32_e32 v62, v9, v13
	v_mov_b32_e32 v9, v61
	v_add_f32_e32 v61, v107, v111
	;; [unrolled: 3-line block ×3, first 2 shown]
	v_fmac_f32_e32 v59, v9, v15
	v_add_f32_e32 v9, v106, v109
	v_mov_b32_e32 v58, v9
	v_fmac_f32_e32 v58, v10, v16
	ds_read2_b64 v[9:12], v79 offset1:32
	s_waitcnt lgkmcnt(0)
	v_pk_fma_f16 v13, v9, v33, v101
	v_pk_fma_f16 v14, v10, v33, v103
	;; [unrolled: 1-line block ×20, first 2 shown]
	ds_read2_b64 v[13:16], v79 offset0:64 offset1:96
	v_pk_fma_f16 v32, v11, v23, v32
	v_pk_fma_f16 v23, v12, v23, v31
	;; [unrolled: 1-line block ×10, first 2 shown]
	ds_read2_b64 v[19:22], v79 offset0:128 offset1:160
	v_pk_fma_f16 v82, v11, v17, v9
	v_pk_fma_f16 v17, v12, v17, v10
	ds_read2_b64 v[9:12], v79 offset0:192 offset1:224
	s_waitcnt lgkmcnt(2)
	v_pk_fma_f16 v83, v13, v136, v26
	v_pk_fma_f16 v84, v14, v136, v25
	v_pk_fma_f16 v38, v13, v135, v38
	v_pk_fma_f16 v85, v14, v135, v24
	v_pk_fma_f16 v32, v13, v134, v32
	v_pk_fma_f16 v87, v14, v134, v23
	v_pk_fma_f16 v31, v13, v133, v31
	v_pk_fma_f16 v88, v14, v133, v30
	v_pk_fma_f16 v33, v13, v132, v33
	v_pk_fma_f16 v90, v14, v132, v29
	v_pk_fma_f16 v40, v13, v131, v40
	v_pk_fma_f16 v91, v14, v131, v28
	v_pk_fma_f16 v93, v13, v130, v81
	v_pk_fma_f16 v94, v14, v130, v27
	v_pk_fma_f16 v13, v13, v95, v82
	v_pk_fma_f16 v14, v14, v95, v17
	v_pk_fma_f16 v17, v15, v92, v83
	v_pk_fma_f16 v92, v16, v92, v84
	v_pk_fma_f16 v38, v15, v89, v38
	v_pk_fma_f16 v85, v16, v89, v85
	v_pk_fma_f16 v89, v15, v86, v32
	v_pk_fma_f16 v86, v16, v86, v87
	v_pk_fma_f16 v87, v15, v37, v31
	v_pk_fma_f16 v37, v16, v37, v88
	v_pk_fma_f16 v88, v15, v36, v33
	v_pk_fma_f16 v36, v16, v36, v90
	v_pk_fma_f16 v40, v15, v35, v40
	v_pk_fma_f16 v35, v16, v35, v91
	v_pk_fma_f16 v90, v15, v34, v93
	v_pk_fma_f16 v91, v16, v34, v94
	v_pk_fma_f16 v13, v15, v18, v13
	v_pk_fma_f16 v14, v16, v18, v14
	ds_read2_b64 v[23:26], v80 offset1:32
	s_waitcnt lgkmcnt(2)
	v_pk_fma_f16 v15, v19, v168, v17
	v_pk_fma_f16 v16, v20, v168, v92
	v_pk_fma_f16 v17, v19, v167, v38
	v_pk_fma_f16 v18, v20, v167, v85
	v_pk_fma_f16 v38, v19, v166, v89
	v_pk_fma_f16 v85, v20, v166, v86
	v_pk_fma_f16 v86, v19, v165, v87
	v_pk_fma_f16 v37, v20, v165, v37
	v_pk_fma_f16 v87, v19, v164, v88
	v_pk_fma_f16 v36, v20, v164, v36
	v_pk_fma_f16 v40, v19, v163, v40
	v_pk_fma_f16 v35, v20, v163, v35
	v_pk_fma_f16 v88, v19, v162, v90
	v_pk_fma_f16 v89, v20, v162, v91
	v_pk_fma_f16 v13, v19, v161, v13
	v_pk_fma_f16 v14, v20, v161, v14
	v_pk_fma_f16 v15, v21, v160, v15
	v_pk_fma_f16 v16, v22, v160, v16
	v_pk_fma_f16 v17, v21, v159, v17
	v_pk_fma_f16 v18, v22, v159, v18
	v_pk_fma_f16 v19, v21, v158, v38
	v_pk_fma_f16 v20, v22, v158, v85
	v_pk_fma_f16 v38, v21, v157, v86
	v_pk_fma_f16 v37, v22, v157, v37
	v_pk_fma_f16 v85, v21, v156, v87
	v_pk_fma_f16 v36, v22, v156, v36
	v_pk_fma_f16 v40, v21, v155, v40
	v_pk_fma_f16 v35, v22, v155, v35
	v_pk_fma_f16 v86, v21, v154, v88
	v_pk_fma_f16 v87, v22, v154, v89
	v_pk_fma_f16 v13, v21, v153, v13
	v_pk_fma_f16 v14, v22, v153, v14
	ds_read2_b64 v[27:30], v80 offset0:64 offset1:96
	s_waitcnt lgkmcnt(2)
	v_pk_fma_f16 v15, v9, v183, v15
	v_pk_fma_f16 v17, v9, v184, v17
	v_pk_fma_f16 v16, v10, v183, v16
	v_pk_fma_f16 v18, v10, v184, v18
	v_pk_fma_f16 v19, v9, v182, v19
	v_pk_fma_f16 v20, v10, v182, v20
	v_pk_fma_f16 v21, v9, v179, v38
	v_pk_fma_f16 v22, v9, v180, v85
	v_pk_fma_f16 v38, v9, v181, v40
	v_pk_fma_f16 v37, v10, v179, v37
	v_pk_fma_f16 v36, v10, v180, v36
	v_pk_fma_f16 v35, v10, v181, v35
	v_pk_fma_f16 v40, v9, v178, v86
	v_pk_fma_f16 v85, v10, v178, v87
	v_pk_fma_f16 v9, v9, v177, v13
	v_pk_fma_f16 v10, v10, v177, v14
	v_pk_fma_f16 v13, v11, v175, v15
	v_pk_fma_f16 v14, v11, v176, v17
	v_pk_fma_f16 v15, v12, v175, v16
	v_pk_fma_f16 v16, v12, v176, v18
	v_pk_fma_f16 v17, v11, v171, v19
	v_pk_fma_f16 v18, v11, v172, v21
	v_pk_fma_f16 v19, v11, v173, v22
	v_pk_fma_f16 v21, v11, v174, v38
	v_pk_fma_f16 v20, v12, v171, v20
	v_pk_fma_f16 v22, v12, v172, v37
	v_pk_fma_f16 v36, v12, v173, v36
	v_pk_fma_f16 v35, v12, v174, v35
	v_pk_fma_f16 v37, v11, v169, v40
	v_pk_fma_f16 v9, v11, v170, v9
	v_pk_fma_f16 v11, v12, v169, v85
	v_pk_fma_f16 v10, v12, v170, v10
	ds_read2_b64 v[81:84], v80 offset0:128 offset1:160
	;; [unrolled: 34-line block ×3, first 2 shown]
	s_waitcnt lgkmcnt(2)
	v_pk_fma_f16 v12, v27, v193, v12
	v_pk_fma_f16 v13, v27, v194, v13
	;; [unrolled: 1-line block ×16, first 2 shown]
	s_waitcnt lgkmcnt(0)
	s_barrier
	buffer_gl0_inv
	s_load_dword s0, s[18:19], 0x4
	v_pk_fma_f16 v12, v29, v202, v12
	v_pk_fma_f16 v13, v29, v189, v13
	;; [unrolled: 1-line block ×64, first 2 shown]
	s_waitcnt lgkmcnt(0)
	s_lshl_b32 s0, s0, 6
	v_pk_fma_f16 v95, v33, v217, v12
	v_pk_fma_f16 v93, v33, v218, v13
	;; [unrolled: 1-line block ×16, first 2 shown]
	s_add_i32 s22, s0, s22
	s_cmp_ge_i32 s22, s38
	s_cbranch_scc0 .LBB0_9
; %bb.10:
	v_mov_b32_e32 v9, 32
	v_mov_b32_e32 v10, v57
.LBB0_11:
	v_cmp_lt_i32_e32 vcc_lo, v60, v9
	s_cmp_lg_u64 s[20:21], 0
	s_cselect_b32 s0, -1, 0
	s_cmp_eq_u32 s34, 0
	v_cndmask_b32_e32 v11, v10, v60, vcc_lo
	v_cmp_lt_i32_e32 vcc_lo, v56, v9
	s_cselect_b32 s1, -1, 0
	s_and_b32 s0, s1, s0
	v_lshlrev_b32_e32 v11, 2, v11
	v_cndmask_b32_e32 v19, v10, v56, vcc_lo
	v_cmp_lt_i32_e32 vcc_lo, v55, v9
	ds_bpermute_b32 v12, v11, v66
	ds_bpermute_b32 v13, v11, v65
	;; [unrolled: 1-line block ×8, first 2 shown]
	v_lshlrev_b32_e32 v19, 2, v19
	v_cndmask_b32_e32 v27, v10, v55, vcc_lo
	v_cmp_lt_i32_e32 vcc_lo, v54, v9
	v_lshlrev_b32_e32 v27, 2, v27
	s_waitcnt lgkmcnt(7)
	v_add_f32_e32 v12, v66, v12
	s_waitcnt lgkmcnt(6)
	v_add_f32_e32 v13, v65, v13
	;; [unrolled: 2-line block ×8, first 2 shown]
	ds_bpermute_b32 v20, v19, v12
	ds_bpermute_b32 v21, v19, v13
	;; [unrolled: 1-line block ×8, first 2 shown]
	s_waitcnt lgkmcnt(7)
	v_add_f32_e32 v12, v12, v20
	s_waitcnt lgkmcnt(6)
	v_add_f32_e32 v13, v13, v21
	s_waitcnt lgkmcnt(5)
	v_add_f32_e32 v14, v14, v22
	s_waitcnt lgkmcnt(4)
	v_add_f32_e32 v15, v15, v23
	s_waitcnt lgkmcnt(3)
	v_add_f32_e32 v16, v16, v24
	s_waitcnt lgkmcnt(2)
	v_add_f32_e32 v17, v17, v25
	s_waitcnt lgkmcnt(1)
	v_add_f32_e32 v18, v18, v26
	s_waitcnt lgkmcnt(0)
	v_add_f32_e32 v11, v11, v19
	ds_bpermute_b32 v19, v27, v12
	ds_bpermute_b32 v20, v27, v13
	;; [unrolled: 1-line block ×8, first 2 shown]
	v_cndmask_b32_e32 v27, v10, v54, vcc_lo
	v_cmp_lt_i32_e32 vcc_lo, v53, v9
	v_lshlrev_b32_e32 v27, 2, v27
	v_cndmask_b32_e32 v9, v10, v53, vcc_lo
	s_and_b32 vcc_lo, exec_lo, s0
	v_lshlrev_b32_e32 v9, 2, v9
	s_waitcnt lgkmcnt(7)
	v_add_f32_e32 v12, v12, v19
	s_waitcnt lgkmcnt(6)
	v_add_f32_e32 v13, v13, v20
	;; [unrolled: 2-line block ×8, first 2 shown]
	ds_bpermute_b32 v19, v27, v12
	ds_bpermute_b32 v20, v27, v13
	;; [unrolled: 1-line block ×8, first 2 shown]
	s_waitcnt lgkmcnt(7)
	v_add_f32_e32 v10, v12, v19
	s_waitcnt lgkmcnt(6)
	v_add_f32_e32 v12, v13, v20
	s_waitcnt lgkmcnt(5)
	v_add_f32_e32 v13, v14, v21
	s_waitcnt lgkmcnt(4)
	v_add_f32_e32 v14, v15, v22
	s_waitcnt lgkmcnt(3)
	v_add_f32_e32 v15, v16, v23
	s_waitcnt lgkmcnt(2)
	v_add_f32_e32 v16, v17, v24
	s_waitcnt lgkmcnt(1)
	v_add_f32_e32 v17, v18, v25
	s_waitcnt lgkmcnt(0)
	v_add_f32_e32 v18, v11, v26
	ds_bpermute_b32 v11, v9, v10
	ds_bpermute_b32 v19, v9, v12
	;; [unrolled: 1-line block ×8, first 2 shown]
	s_waitcnt lgkmcnt(7)
	v_add_f32_e32 v9, v10, v11
	s_waitcnt lgkmcnt(6)
	v_add_f32_e32 v10, v12, v19
	;; [unrolled: 2-line block ×8, first 2 shown]
	s_cbranch_vccz .LBB0_14
; %bb.12:
	s_ashr_i32 s37, s36, 31
	v_mov_b32_e32 v17, 0
	s_lshl_b64 s[0:1], s[36:37], 2
	v_max_f32_e32 v18, v2, v2
	s_add_u32 s0, s20, s0
	s_addc_u32 s1, s21, s1
	v_max_f32_e32 v19, v3, v3
	s_clause 0x1
	global_load_dwordx4 v[26:29], v17, s[0:1]
	global_load_dwordx4 v[30:33], v17, s[0:1] offset:16
	v_max_f32_e32 v17, v1, v1
	v_max_f32_e32 v20, v4, v4
	;; [unrolled: 1-line block ×6, first 2 shown]
	v_mov_b32_e32 v25, 0x10001
	s_waitcnt vmcnt(1)
	v_max_f32_e32 v34, v26, v26
	v_max_f32_e32 v35, v27, v27
	;; [unrolled: 1-line block ×4, first 2 shown]
	s_waitcnt vmcnt(0)
	v_max_f32_e32 v38, v30, v30
	v_max_f32_e32 v39, v31, v31
	;; [unrolled: 1-line block ×12, first 2 shown]
	v_sub_f32_e32 v34, v1, v17
	v_sub_f32_e32 v35, v2, v18
	;; [unrolled: 1-line block ×8, first 2 shown]
	v_mov_b32_e32 v1, v17
	v_sub_f32_e32 v26, v26, v17
	v_mov_b32_e32 v2, v18
	v_mov_b32_e32 v3, v19
	;; [unrolled: 1-line block ×7, first 2 shown]
	v_mul_f32_e32 v17, 0x3fb8aa3b, v34
	v_sub_f32_e32 v27, v27, v18
	v_mul_f32_e32 v18, 0x3fb8aa3b, v26
	v_sub_f32_e32 v28, v28, v19
	v_mul_f32_e32 v19, 0x3fb8aa3b, v35
	v_fma_f32 v52, 0x3fb8aa3b, v34, -v17
	v_rndne_f32_e32 v53, v17
	v_fma_f32 v54, 0x3fb8aa3b, v26, -v18
	v_rndne_f32_e32 v55, v18
	v_sub_f32_e32 v29, v29, v20
	v_fmac_f32_e32 v52, 0x32a5705f, v34
	v_sub_f32_e32 v17, v17, v53
	v_mul_f32_e32 v20, 0x3fb8aa3b, v27
	v_fma_f32 v56, 0x3fb8aa3b, v35, -v19
	v_rndne_f32_e32 v57, v19
	v_fmac_f32_e32 v54, 0x32a5705f, v26
	v_sub_f32_e32 v18, v18, v55
	v_add_f32_e32 v17, v17, v52
	v_sub_f32_e32 v30, v30, v21
	v_mul_f32_e32 v21, 0x3fb8aa3b, v36
	v_fma_f32 v58, 0x3fb8aa3b, v27, -v20
	v_rndne_f32_e32 v59, v20
	v_fmac_f32_e32 v56, 0x32a5705f, v35
	v_sub_f32_e32 v19, v19, v57
	v_add_f32_e32 v18, v18, v54
	v_exp_f32_e32 v17, v17
	v_sub_f32_e32 v31, v31, v22
	v_mul_f32_e32 v22, 0x3fb8aa3b, v28
	v_fma_f32 v60, 0x3fb8aa3b, v36, -v21
	v_rndne_f32_e32 v61, v21
	v_cvt_i32_f32_e32 v53, v53
	v_fmac_f32_e32 v58, 0x32a5705f, v27
	v_sub_f32_e32 v20, v20, v59
	v_add_f32_e32 v19, v19, v56
	v_exp_f32_e32 v18, v18
	v_sub_f32_e32 v32, v32, v23
	v_mul_f32_e32 v23, 0x3fb8aa3b, v37
	v_fma_f32 v62, 0x3fb8aa3b, v28, -v22
	v_rndne_f32_e32 v63, v22
	v_cvt_i32_f32_e32 v55, v55
	v_fmac_f32_e32 v60, 0x32a5705f, v36
	v_sub_f32_e32 v21, v21, v61
	v_add_f32_e32 v20, v20, v58
	v_exp_f32_e32 v19, v19
	v_ldexp_f32 v17, v17, v53
	v_cmp_ngt_f32_e32 vcc_lo, 0xc2ce8ed0, v34
	v_sub_f32_e32 v33, v33, v24
	v_mul_f32_e32 v24, 0x3fb8aa3b, v29
	v_fma_f32 v64, 0x3fb8aa3b, v37, -v23
	v_rndne_f32_e32 v65, v23
	v_cvt_i32_f32_e32 v57, v57
	v_fmac_f32_e32 v62, 0x32a5705f, v28
	v_sub_f32_e32 v22, v22, v63
	v_add_f32_e32 v21, v21, v60
	v_exp_f32_e32 v20, v20
	v_ldexp_f32 v18, v18, v55
	v_cndmask_b32_e32 v17, 0, v17, vcc_lo
	v_cmp_ngt_f32_e32 vcc_lo, 0xc2ce8ed0, v26
	v_mul_f32_e32 v43, 0x3fb8aa3b, v38
	v_fma_f32 v66, 0x3fb8aa3b, v29, -v24
	v_rndne_f32_e32 v67, v24
	v_cvt_i32_f32_e32 v59, v59
	v_fmac_f32_e32 v64, 0x32a5705f, v37
	v_sub_f32_e32 v23, v23, v65
	v_add_f32_e32 v22, v22, v62
	v_exp_f32_e32 v21, v21
	v_ldexp_f32 v19, v19, v57
	v_cndmask_b32_e32 v18, 0, v18, vcc_lo
	v_cmp_ngt_f32_e32 vcc_lo, 0xc2ce8ed0, v35
	;; [unrolled: 11-line block ×9, first 2 shown]
	v_fma_f32 v98, 0x3fb8aa3b, v33, -v50
	v_rndne_f32_e32 v99, v50
	v_cvt_i32_f32_e32 v75, v75
	v_fmac_f32_e32 v80, 0x32a5705f, v42
	v_sub_f32_e32 v49, v49, v97
	v_add_f32_e32 v48, v48, v78
	v_exp_f32_e32 v47, v47
	v_ldexp_f32 v45, v45, v73
	v_cndmask_b32_e32 v44, 0, v44, vcc_lo
	v_cmp_ngt_f32_e32 vcc_lo, 0xc2ce8ed0, v39
	v_cvt_i32_f32_e32 v77, v77
	v_fmac_f32_e32 v98, 0x32a5705f, v33
	v_sub_f32_e32 v50, v50, v99
	v_add_f32_e32 v49, v49, v80
	v_exp_f32_e32 v48, v48
	v_ldexp_f32 v46, v46, v75
	v_cndmask_b32_e32 v45, 0, v45, vcc_lo
	v_cmp_ngt_f32_e32 vcc_lo, 0xc2ce8ed0, v31
	v_cvt_i32_f32_e32 v79, v79
	v_add_f32_e32 v50, v50, v98
	v_exp_f32_e32 v49, v49
	v_ldexp_f32 v47, v47, v77
	v_cndmask_b32_e32 v46, 0, v46, vcc_lo
	v_cmp_ngt_f32_e32 vcc_lo, 0xc2ce8ed0, v40
	v_cvt_i32_f32_e32 v97, v97
	v_exp_f32_e32 v50, v50
	v_ldexp_f32 v48, v48, v79
	v_cvt_i32_f32_e32 v99, v99
	v_cndmask_b32_e32 v47, 0, v47, vcc_lo
	v_cmp_ngt_f32_e32 vcc_lo, 0xc2ce8ed0, v32
	v_ldexp_f32 v49, v49, v97
	v_cndmask_b32_e32 v48, 0, v48, vcc_lo
	v_cmp_ngt_f32_e32 vcc_lo, 0xc2ce8ed0, v42
	v_ldexp_f32 v50, v50, v99
	v_cndmask_b32_e32 v49, 0, v49, vcc_lo
	v_cmp_ngt_f32_e32 vcc_lo, 0xc2ce8ed0, v33
	v_cndmask_b32_e32 v50, 0, v50, vcc_lo
	v_cmp_nlt_f32_e32 vcc_lo, 0x42b17218, v34
	v_cndmask_b32_e32 v34, 0x7f800000, v17, vcc_lo
	v_cmp_nlt_f32_e32 vcc_lo, 0x42b17218, v26
	;; [unrolled: 2-line block ×3, first 2 shown]
	v_fmac_f32_e32 v17, v9, v34
	v_cndmask_b32_e32 v26, 0x7f800000, v19, vcc_lo
	v_cmp_nlt_f32_e32 vcc_lo, 0x42b17218, v27
	v_cvt_f16_f32_e32 v9, v34
	v_cndmask_b32_e32 v18, 0x7f800000, v20, vcc_lo
	v_cmp_nlt_f32_e32 vcc_lo, 0x42b17218, v36
	v_fmac_f32_e32 v18, v10, v26
	v_cndmask_b32_e32 v27, 0x7f800000, v21, vcc_lo
	v_cmp_nlt_f32_e32 vcc_lo, 0x42b17218, v28
	v_cvt_f16_f32_e32 v10, v26
	v_mul_u32_u24_sdwa v26, v9, v25 dst_sel:DWORD dst_unused:UNUSED_PAD src0_sel:WORD_0 src1_sel:DWORD
	v_mov_b32_e32 v9, v17
	v_cndmask_b32_e32 v19, 0x7f800000, v22, vcc_lo
	v_cmp_nlt_f32_e32 vcc_lo, 0x42b17218, v37
	v_pk_mul_f16 v95, v95, v26
	v_pk_mul_f16 v96, v96, v26
	v_fmac_f32_e32 v19, v11, v27
	v_cndmask_b32_e32 v28, 0x7f800000, v23, vcc_lo
	v_cmp_nlt_f32_e32 vcc_lo, 0x42b17218, v29
	v_cvt_f16_f32_e32 v11, v27
	v_mul_u32_u24_sdwa v27, v10, v25 dst_sel:DWORD dst_unused:UNUSED_PAD src0_sel:WORD_0 src1_sel:DWORD
	v_mov_b32_e32 v10, v18
	v_cndmask_b32_e32 v20, 0x7f800000, v24, vcc_lo
	v_cmp_nlt_f32_e32 vcc_lo, 0x42b17218, v38
	v_pk_mul_f16 v93, v93, v27
	v_pk_mul_f16 v94, v94, v27
	;; [unrolled: 10-line block ×5, first 2 shown]
	v_fmac_f32_e32 v23, v15, v31
	v_cndmask_b32_e32 v32, 0x7f800000, v49, vcc_lo
	v_cmp_nlt_f32_e32 vcc_lo, 0x42b17218, v33
	v_cvt_f16_f32_e32 v15, v31
	v_mul_u32_u24_sdwa v31, v14, v25 dst_sel:DWORD dst_unused:UNUSED_PAD src0_sel:WORD_0 src1_sel:DWORD
	v_mov_b32_e32 v14, v22
	v_cndmask_b32_e32 v24, 0x7f800000, v50, vcc_lo
	v_pk_mul_f16 v85, v85, v31
	v_pk_mul_f16 v86, v86, v31
	v_fmac_f32_e32 v24, v16, v32
	v_cvt_f16_f32_e32 v16, v32
	v_mul_u32_u24_sdwa v32, v15, v25 dst_sel:DWORD dst_unused:UNUSED_PAD src0_sel:WORD_0 src1_sel:DWORD
	v_mov_b32_e32 v15, v23
	v_mul_u32_u24_sdwa v16, v16, v25 dst_sel:DWORD dst_unused:UNUSED_PAD src0_sel:WORD_0 src1_sel:DWORD
	v_pk_mul_f16 v83, v83, v32
	v_pk_mul_f16 v84, v84, v32
	;; [unrolled: 1-line block ×4, first 2 shown]
	v_mov_b32_e32 v16, v24
	s_mov_b32 s0, exec_lo
	v_cmpx_gt_i32_e64 s30, v41
	s_cbranch_execnz .LBB0_15
.LBB0_13:
	s_endpgm
.LBB0_14:
	v_mov_b32_e32 v24, v16
	v_mov_b32_e32 v23, v15
	;; [unrolled: 1-line block ×8, first 2 shown]
	s_mov_b32 s0, exec_lo
	v_cmpx_gt_i32_e64 s30, v41
	s_cbranch_execz .LBB0_13
.LBB0_15:
	s_load_dword s1, s[4:5], 0xd4
	v_mov_b32_e32 v27, 1.0
	s_waitcnt lgkmcnt(0)
	s_cmp_lg_u32 s1, 1
	s_cselect_b32 s3, -1, 0
	s_cmp_eq_u32 s1, 1
	s_cselect_b32 s2, -1, 0
	s_and_b32 vcc_lo, exec_lo, s3
	s_cbranch_vccnz .LBB0_17
; %bb.16:
	v_div_scale_f32 v25, null, v9, v9, 1.0
	v_rcp_f32_e32 v26, v25
	v_fma_f32 v27, -v25, v26, 1.0
	v_fmac_f32_e32 v26, v27, v26
	v_div_scale_f32 v27, vcc_lo, 1.0, v9, 1.0
	v_mul_f32_e32 v28, v27, v26
	v_fma_f32 v29, -v25, v28, v27
	v_fmac_f32_e32 v28, v29, v26
	v_fma_f32 v25, -v25, v28, v27
	v_div_fmas_f32 v25, v25, v26, v28
	v_div_fixup_f32 v27, v25, v9, 1.0
.LBB0_17:
	v_mad_u64_u32 v[25:26], null, s33, s30, v[41:42]
	v_mov_b32_e32 v29, 0
	v_cmp_eq_u32_e32 vcc_lo, 0, v0
	v_cvt_f32_f16_e32 v0, v95
	v_cvt_f32_f16_sdwa v9, v95 dst_sel:DWORD dst_unused:UNUSED_PAD src0_sel:WORD_1
	v_cvt_f32_f16_sdwa v31, v96 dst_sel:DWORD dst_unused:UNUSED_PAD src0_sel:WORD_1
	v_mad_u64_u32 v[25:26], null, v25, s31, s[36:37]
	v_mul_f32_e32 v31, v27, v31
	v_mad_u64_u32 v[25:26], null, s1, v25, s[34:35]
	v_cvt_f32_f16_e32 v26, v96
	v_mul_f32_e32 v30, v27, v26
	v_lshl_add_u32 v28, v25, 7, v51
	v_lshlrev_b64 v[32:33], 2, v[28:29]
	v_mul_f32_e32 v28, v27, v0
	v_mul_f32_e32 v29, v27, v9
	v_add_co_u32 v26, s0, s24, v32
	v_add_co_ci_u32_e64 v27, null, s25, v33, s0
	s_and_b32 s0, vcc_lo, s3
	global_store_dwordx4 v[26:27], v[28:31], off
	s_and_saveexec_b32 s3, s0
	s_cbranch_execz .LBB0_19
; %bb.18:
	v_ashrrev_i32_e32 v26, 31, v25
	v_mov_b32_e32 v0, v1
	v_mov_b32_e32 v1, v17
	v_lshlrev_b64 v[26:27], 3, v[25:26]
	v_add_co_u32 v26, vcc_lo, s26, v26
	v_add_co_ci_u32_e64 v27, null, s27, v27, vcc_lo
	global_store_dwordx2 v[26:27], v[0:1], off
.LBB0_19:
	s_or_b32 exec_lo, exec_lo, s3
	v_cndmask_b32_e64 v9, 0, 1, s2
	v_mov_b32_e32 v1, 1.0
	s_andn2_b32 vcc_lo, exec_lo, s2
	s_cbranch_vccnz .LBB0_21
; %bb.20:
	v_div_scale_f32 v0, null, v10, v10, 1.0
	v_rcp_f32_e32 v1, v0
	v_fma_f32 v17, -v0, v1, 1.0
	v_fmac_f32_e32 v1, v17, v1
	v_div_scale_f32 v17, vcc_lo, 1.0, v10, 1.0
	v_mul_f32_e32 v26, v17, v1
	v_fma_f32 v27, -v0, v26, v17
	v_fmac_f32_e32 v26, v27, v1
	v_fma_f32 v0, -v0, v26, v17
	v_div_fmas_f32 v0, v0, v1, v26
	v_div_fixup_f32 v1, v0, v10, 1.0
.LBB0_21:
	v_add_nc_u32_e32 v0, s1, v25
	v_mov_b32_e32 v26, 0
	v_cvt_f32_f16_e32 v10, v93
	v_cvt_f32_f16_sdwa v17, v93 dst_sel:DWORD dst_unused:UNUSED_PAD src0_sel:WORD_1
	v_cvt_f32_f16_e32 v27, v94
	v_lshl_add_u32 v25, v0, 7, v51
	v_cvt_f32_f16_sdwa v28, v94 dst_sel:DWORD dst_unused:UNUSED_PAD src0_sel:WORD_1
	v_mul_f32_e32 v27, v1, v27
	v_lshlrev_b64 v[29:30], 2, v[25:26]
	v_mul_f32_e32 v25, v1, v10
	v_mul_f32_e32 v26, v1, v17
	;; [unrolled: 1-line block ×3, first 2 shown]
	v_add_co_u32 v29, vcc_lo, s24, v29
	v_add_co_ci_u32_e64 v30, null, s25, v30, vcc_lo
	global_store_dwordx4 v[29:30], v[25:28], off
	s_and_saveexec_b32 s2, s0
	s_cbranch_execz .LBB0_23
; %bb.22:
	v_ashrrev_i32_e32 v1, 31, v0
	v_mov_b32_e32 v17, v2
	v_lshlrev_b64 v[25:26], 3, v[0:1]
	v_add_co_u32 v25, vcc_lo, s26, v25
	v_add_co_ci_u32_e64 v26, null, s27, v26, vcc_lo
	global_store_dwordx2 v[25:26], v[17:18], off
.LBB0_23:
	s_or_b32 exec_lo, exec_lo, s2
	v_cmp_ne_u32_e32 vcc_lo, 1, v9
	v_mov_b32_e32 v1, 1.0
	s_cbranch_vccnz .LBB0_25
; %bb.24:
	v_div_scale_f32 v1, null, v11, v11, 1.0
	v_rcp_f32_e32 v2, v1
	v_fma_f32 v10, -v1, v2, 1.0
	v_fmac_f32_e32 v2, v10, v2
	v_div_scale_f32 v10, vcc_lo, 1.0, v11, 1.0
	v_mul_f32_e32 v17, v10, v2
	v_fma_f32 v18, -v1, v17, v10
	v_fmac_f32_e32 v17, v18, v2
	v_fma_f32 v1, -v1, v17, v10
	v_div_fmas_f32 v1, v1, v2, v17
	v_div_fixup_f32 v1, v1, v11, 1.0
.LBB0_25:
	v_add_nc_u32_e32 v0, s1, v0
	v_mov_b32_e32 v11, 0
	v_cvt_f32_f16_e32 v2, v91
	v_cvt_f32_f16_sdwa v17, v91 dst_sel:DWORD dst_unused:UNUSED_PAD src0_sel:WORD_1
	v_cvt_f32_f16_e32 v18, v92
	v_lshl_add_u32 v10, v0, 7, v51
	v_cvt_f32_f16_sdwa v28, v92 dst_sel:DWORD dst_unused:UNUSED_PAD src0_sel:WORD_1
	v_mul_f32_e32 v25, v1, v2
	v_mul_f32_e32 v26, v1, v17
	v_mul_f32_e32 v27, v1, v18
	v_lshlrev_b64 v[10:11], 2, v[10:11]
	v_mul_f32_e32 v28, v1, v28
	v_add_co_u32 v1, vcc_lo, s24, v10
	v_add_co_ci_u32_e64 v2, null, s25, v11, vcc_lo
	global_store_dwordx4 v[1:2], v[25:28], off
	s_and_saveexec_b32 s2, s0
	s_cbranch_execz .LBB0_27
; %bb.26:
	v_ashrrev_i32_e32 v1, 31, v0
	v_mov_b32_e32 v18, v3
	v_lshlrev_b64 v[1:2], 3, v[0:1]
	v_add_co_u32 v1, vcc_lo, s26, v1
	v_add_co_ci_u32_e64 v2, null, s27, v2, vcc_lo
	global_store_dwordx2 v[1:2], v[18:19], off
.LBB0_27:
	s_or_b32 exec_lo, exec_lo, s2
	v_cmp_ne_u32_e32 vcc_lo, 1, v9
	v_mov_b32_e32 v1, 1.0
	s_cbranch_vccnz .LBB0_29
; %bb.28:
	v_div_scale_f32 v1, null, v12, v12, 1.0
	v_rcp_f32_e32 v2, v1
	v_fma_f32 v3, -v1, v2, 1.0
	v_fmac_f32_e32 v2, v3, v2
	v_div_scale_f32 v3, vcc_lo, 1.0, v12, 1.0
	v_mul_f32_e32 v10, v3, v2
	v_fma_f32 v11, -v1, v10, v3
	v_fmac_f32_e32 v10, v11, v2
	v_fma_f32 v1, -v1, v10, v3
	v_div_fmas_f32 v1, v1, v2, v10
	v_div_fixup_f32 v1, v1, v12, 1.0
.LBB0_29:
	v_add_nc_u32_e32 v0, s1, v0
	v_mov_b32_e32 v3, 0
	v_cvt_f32_f16_e32 v10, v89
	v_cvt_f32_f16_sdwa v11, v89 dst_sel:DWORD dst_unused:UNUSED_PAD src0_sel:WORD_1
	v_cvt_f32_f16_e32 v12, v90
	v_lshl_add_u32 v2, v0, 7, v51
	v_cvt_f32_f16_sdwa v17, v90 dst_sel:DWORD dst_unused:UNUSED_PAD src0_sel:WORD_1
	v_mul_f32_e32 v25, v1, v10
	v_mul_f32_e32 v26, v1, v11
	v_mul_f32_e32 v27, v1, v12
	v_lshlrev_b64 v[2:3], 2, v[2:3]
	v_mul_f32_e32 v28, v1, v17
	;; [unrolled: 42-line block ×3, first 2 shown]
	v_add_co_u32 v1, vcc_lo, s24, v2
	v_add_co_ci_u32_e64 v2, null, s25, v3, vcc_lo
	global_store_dwordx4 v[1:2], v[10:13], off
	s_and_saveexec_b32 s2, s0
	s_cbranch_execz .LBB0_35
; %bb.34:
	v_ashrrev_i32_e32 v1, 31, v0
	v_mov_b32_e32 v20, v5
	v_lshlrev_b64 v[1:2], 3, v[0:1]
	v_add_co_u32 v1, vcc_lo, s26, v1
	v_add_co_ci_u32_e64 v2, null, s27, v2, vcc_lo
	global_store_dwordx2 v[1:2], v[20:21], off
.LBB0_35:
	s_or_b32 exec_lo, exec_lo, s2
	v_cmp_ne_u32_e32 vcc_lo, 1, v9
	v_mov_b32_e32 v1, 1.0
	s_cbranch_vccnz .LBB0_37
; %bb.36:
	v_div_scale_f32 v1, null, v14, v14, 1.0
	v_rcp_f32_e32 v2, v1
	v_fma_f32 v3, -v1, v2, 1.0
	v_fmac_f32_e32 v2, v3, v2
	v_div_scale_f32 v3, vcc_lo, 1.0, v14, 1.0
	v_mul_f32_e32 v4, v3, v2
	v_fma_f32 v5, -v1, v4, v3
	v_fmac_f32_e32 v4, v5, v2
	v_fma_f32 v1, -v1, v4, v3
	v_div_fmas_f32 v1, v1, v2, v4
	v_div_fixup_f32 v1, v1, v14, 1.0
.LBB0_37:
	v_add_nc_u32_e32 v0, s1, v0
	v_mov_b32_e32 v3, 0
	v_cvt_f32_f16_e32 v4, v85
	v_cvt_f32_f16_sdwa v5, v85 dst_sel:DWORD dst_unused:UNUSED_PAD src0_sel:WORD_1
	v_cvt_f32_f16_e32 v12, v86
	v_lshl_add_u32 v2, v0, 7, v51
	v_cvt_f32_f16_sdwa v13, v86 dst_sel:DWORD dst_unused:UNUSED_PAD src0_sel:WORD_1
	v_lshlrev_b64 v[10:11], 2, v[2:3]
	v_mul_f32_e32 v2, v1, v4
	v_mul_f32_e32 v3, v1, v5
	v_mul_f32_e32 v4, v1, v12
	v_mul_f32_e32 v5, v1, v13
	v_add_co_u32 v10, vcc_lo, s24, v10
	v_add_co_ci_u32_e64 v11, null, s25, v11, vcc_lo
	global_store_dwordx4 v[10:11], v[2:5], off
	s_and_saveexec_b32 s2, s0
	s_cbranch_execz .LBB0_39
; %bb.38:
	v_ashrrev_i32_e32 v1, 31, v0
	v_mov_b32_e32 v21, v6
	v_lshlrev_b64 v[1:2], 3, v[0:1]
	v_add_co_u32 v1, vcc_lo, s26, v1
	v_add_co_ci_u32_e64 v2, null, s27, v2, vcc_lo
	global_store_dwordx2 v[1:2], v[21:22], off
.LBB0_39:
	s_or_b32 exec_lo, exec_lo, s2
	v_cmp_ne_u32_e32 vcc_lo, 1, v9
	v_mov_b32_e32 v1, 1.0
	s_cbranch_vccnz .LBB0_41
; %bb.40:
	v_div_scale_f32 v1, null, v15, v15, 1.0
	v_rcp_f32_e32 v2, v1
	v_fma_f32 v3, -v1, v2, 1.0
	v_fmac_f32_e32 v2, v3, v2
	v_div_scale_f32 v3, vcc_lo, 1.0, v15, 1.0
	v_mul_f32_e32 v4, v3, v2
	v_fma_f32 v5, -v1, v4, v3
	v_fmac_f32_e32 v4, v5, v2
	v_fma_f32 v1, -v1, v4, v3
	v_div_fmas_f32 v1, v1, v2, v4
	v_div_fixup_f32 v1, v1, v15, 1.0
.LBB0_41:
	v_add_nc_u32_e32 v0, s1, v0
	v_mov_b32_e32 v3, 0
	v_cvt_f32_f16_e32 v4, v83
	v_cvt_f32_f16_sdwa v5, v83 dst_sel:DWORD dst_unused:UNUSED_PAD src0_sel:WORD_1
	v_cvt_f32_f16_e32 v6, v84
	v_lshl_add_u32 v2, v0, 7, v51
	v_cvt_f32_f16_sdwa v12, v84 dst_sel:DWORD dst_unused:UNUSED_PAD src0_sel:WORD_1
	v_lshlrev_b64 v[10:11], 2, v[2:3]
	v_mul_f32_e32 v2, v1, v4
	v_mul_f32_e32 v3, v1, v5
	v_mul_f32_e32 v4, v1, v6
	v_mul_f32_e32 v5, v1, v12
	;; [unrolled: 42-line block ×3, first 2 shown]
	v_add_co_u32 v6, vcc_lo, s24, v6
	v_add_co_ci_u32_e64 v7, null, s25, v7, vcc_lo
	global_store_dwordx4 v[6:7], v[2:5], off
	s_and_b32 exec_lo, exec_lo, s0
	s_cbranch_execz .LBB0_13
; %bb.46:
	v_ashrrev_i32_e32 v1, 31, v0
	v_mov_b32_e32 v23, v8
	v_lshlrev_b64 v[0:1], 3, v[0:1]
	v_add_co_u32 v0, vcc_lo, s26, v0
	v_add_co_ci_u32_e64 v1, null, s27, v1, vcc_lo
	global_store_dwordx2 v[0:1], v[23:24], off
	s_endpgm
	.section	.rodata,"a",@progbits
	.p2align	6, 0x0
	.amdhsa_kernel _ZL15flash_attn_tileILi128ELi128ELi8ELi8ELb0EEvPKcS1_S1_S1_S1_PKiPfP15HIP_vector_typeIfLj2EEffffjfiS5_IjLj3EEiiiiiiiiiiiliiliiiiil
		.amdhsa_group_segment_fixed_size 33792
		.amdhsa_private_segment_fixed_size 0
		.amdhsa_kernarg_size 464
		.amdhsa_user_sgpr_count 6
		.amdhsa_user_sgpr_private_segment_buffer 1
		.amdhsa_user_sgpr_dispatch_ptr 0
		.amdhsa_user_sgpr_queue_ptr 0
		.amdhsa_user_sgpr_kernarg_segment_ptr 1
		.amdhsa_user_sgpr_dispatch_id 0
		.amdhsa_user_sgpr_flat_scratch_init 0
		.amdhsa_user_sgpr_private_segment_size 0
		.amdhsa_wavefront_size32 1
		.amdhsa_uses_dynamic_stack 0
		.amdhsa_system_sgpr_private_segment_wavefront_offset 0
		.amdhsa_system_sgpr_workgroup_id_x 1
		.amdhsa_system_sgpr_workgroup_id_y 1
		.amdhsa_system_sgpr_workgroup_id_z 1
		.amdhsa_system_sgpr_workgroup_info 0
		.amdhsa_system_vgpr_workitem_id 1
		.amdhsa_next_free_vgpr 228
		.amdhsa_next_free_sgpr 42
		.amdhsa_reserve_vcc 1
		.amdhsa_reserve_flat_scratch 0
		.amdhsa_float_round_mode_32 0
		.amdhsa_float_round_mode_16_64 0
		.amdhsa_float_denorm_mode_32 3
		.amdhsa_float_denorm_mode_16_64 3
		.amdhsa_dx10_clamp 1
		.amdhsa_ieee_mode 1
		.amdhsa_fp16_overflow 0
		.amdhsa_workgroup_processor_mode 1
		.amdhsa_memory_ordered 1
		.amdhsa_forward_progress 1
		.amdhsa_shared_vgpr_count 0
		.amdhsa_exception_fp_ieee_invalid_op 0
		.amdhsa_exception_fp_denorm_src 0
		.amdhsa_exception_fp_ieee_div_zero 0
		.amdhsa_exception_fp_ieee_overflow 0
		.amdhsa_exception_fp_ieee_underflow 0
		.amdhsa_exception_fp_ieee_inexact 0
		.amdhsa_exception_int_div_zero 0
	.end_amdhsa_kernel
	.section	.text._ZL15flash_attn_tileILi128ELi128ELi8ELi8ELb0EEvPKcS1_S1_S1_S1_PKiPfP15HIP_vector_typeIfLj2EEffffjfiS5_IjLj3EEiiiiiiiiiiiliiliiiiil,"axG",@progbits,_ZL15flash_attn_tileILi128ELi128ELi8ELi8ELb0EEvPKcS1_S1_S1_S1_PKiPfP15HIP_vector_typeIfLj2EEffffjfiS5_IjLj3EEiiiiiiiiiiiliiliiiiil,comdat
.Lfunc_end0:
	.size	_ZL15flash_attn_tileILi128ELi128ELi8ELi8ELb0EEvPKcS1_S1_S1_S1_PKiPfP15HIP_vector_typeIfLj2EEffffjfiS5_IjLj3EEiiiiiiiiiiiliiliiiiil, .Lfunc_end0-_ZL15flash_attn_tileILi128ELi128ELi8ELi8ELb0EEvPKcS1_S1_S1_S1_PKiPfP15HIP_vector_typeIfLj2EEffffjfiS5_IjLj3EEiiiiiiiiiiiliiliiiiil
                                        ; -- End function
	.set _ZL15flash_attn_tileILi128ELi128ELi8ELi8ELb0EEvPKcS1_S1_S1_S1_PKiPfP15HIP_vector_typeIfLj2EEffffjfiS5_IjLj3EEiiiiiiiiiiiliiliiiiil.num_vgpr, 228
	.set _ZL15flash_attn_tileILi128ELi128ELi8ELi8ELb0EEvPKcS1_S1_S1_S1_PKiPfP15HIP_vector_typeIfLj2EEffffjfiS5_IjLj3EEiiiiiiiiiiiliiliiiiil.num_agpr, 0
	.set _ZL15flash_attn_tileILi128ELi128ELi8ELi8ELb0EEvPKcS1_S1_S1_S1_PKiPfP15HIP_vector_typeIfLj2EEffffjfiS5_IjLj3EEiiiiiiiiiiiliiliiiiil.numbered_sgpr, 42
	.set _ZL15flash_attn_tileILi128ELi128ELi8ELi8ELb0EEvPKcS1_S1_S1_S1_PKiPfP15HIP_vector_typeIfLj2EEffffjfiS5_IjLj3EEiiiiiiiiiiiliiliiiiil.num_named_barrier, 0
	.set _ZL15flash_attn_tileILi128ELi128ELi8ELi8ELb0EEvPKcS1_S1_S1_S1_PKiPfP15HIP_vector_typeIfLj2EEffffjfiS5_IjLj3EEiiiiiiiiiiiliiliiiiil.private_seg_size, 0
	.set _ZL15flash_attn_tileILi128ELi128ELi8ELi8ELb0EEvPKcS1_S1_S1_S1_PKiPfP15HIP_vector_typeIfLj2EEffffjfiS5_IjLj3EEiiiiiiiiiiiliiliiiiil.uses_vcc, 1
	.set _ZL15flash_attn_tileILi128ELi128ELi8ELi8ELb0EEvPKcS1_S1_S1_S1_PKiPfP15HIP_vector_typeIfLj2EEffffjfiS5_IjLj3EEiiiiiiiiiiiliiliiiiil.uses_flat_scratch, 0
	.set _ZL15flash_attn_tileILi128ELi128ELi8ELi8ELb0EEvPKcS1_S1_S1_S1_PKiPfP15HIP_vector_typeIfLj2EEffffjfiS5_IjLj3EEiiiiiiiiiiiliiliiiiil.has_dyn_sized_stack, 0
	.set _ZL15flash_attn_tileILi128ELi128ELi8ELi8ELb0EEvPKcS1_S1_S1_S1_PKiPfP15HIP_vector_typeIfLj2EEffffjfiS5_IjLj3EEiiiiiiiiiiiliiliiiiil.has_recursion, 0
	.set _ZL15flash_attn_tileILi128ELi128ELi8ELi8ELb0EEvPKcS1_S1_S1_S1_PKiPfP15HIP_vector_typeIfLj2EEffffjfiS5_IjLj3EEiiiiiiiiiiiliiliiiiil.has_indirect_call, 0
	.section	.AMDGPU.csdata,"",@progbits
; Kernel info:
; codeLenInByte = 47496
; TotalNumSgprs: 44
; NumVgprs: 228
; ScratchSize: 0
; MemoryBound: 0
; FloatMode: 240
; IeeeMode: 1
; LDSByteSize: 33792 bytes/workgroup (compile time only)
; SGPRBlocks: 0
; VGPRBlocks: 28
; NumSGPRsForWavesPerEU: 44
; NumVGPRsForWavesPerEU: 228
; Occupancy: 4
; WaveLimiterHint : 1
; COMPUTE_PGM_RSRC2:SCRATCH_EN: 0
; COMPUTE_PGM_RSRC2:USER_SGPR: 6
; COMPUTE_PGM_RSRC2:TRAP_HANDLER: 0
; COMPUTE_PGM_RSRC2:TGID_X_EN: 1
; COMPUTE_PGM_RSRC2:TGID_Y_EN: 1
; COMPUTE_PGM_RSRC2:TGID_Z_EN: 1
; COMPUTE_PGM_RSRC2:TIDIG_COMP_CNT: 1
	.section	.text._ZL25flash_attn_mask_to_KV_maxILi8EEvPK7__half2Piiii,"axG",@progbits,_ZL25flash_attn_mask_to_KV_maxILi8EEvPK7__half2Piiii,comdat
	.globl	_ZL25flash_attn_mask_to_KV_maxILi8EEvPK7__half2Piiii ; -- Begin function _ZL25flash_attn_mask_to_KV_maxILi8EEvPK7__half2Piiii
	.p2align	8
	.type	_ZL25flash_attn_mask_to_KV_maxILi8EEvPK7__half2Piiii,@function
_ZL25flash_attn_mask_to_KV_maxILi8EEvPK7__half2Piiii: ; @_ZL25flash_attn_mask_to_KV_maxILi8EEvPK7__half2Piiii
; %bb.0:
	s_load_dwordx4 s[8:11], s[4:5], 0x0
	s_mov_b32 s0, exec_lo
	v_cmpx_gt_u32_e32 32, v0
; %bb.1:
	v_lshlrev_b32_e32 v1, 2, v0
	v_mov_b32_e32 v2, 1
	ds_write_b32 v1, v2
; %bb.2:
	s_or_b32 exec_lo, exec_lo, s0
	s_clause 0x1
	s_load_dwordx4 s[12:15], s[4:5], 0x10
	s_load_dword s1, s[4:5], 0x20
	v_and_b32_e32 v1, 31, v0
	v_lshrrev_b32_e32 v5, 3, v0
	v_mov_b32_e32 v2, 0
	v_mov_b32_e32 v6, 0x204
	s_waitcnt lgkmcnt(0)
	v_lshlrev_b32_e32 v7, 2, v1
	s_barrier
	buffer_gl0_inv
	s_mul_i32 s0, s6, s13
	s_mul_i32 s2, s14, s7
	s_lshl_b32 s0, s0, 3
	s_add_i32 s2, s2, s0
	v_cmp_eq_u32_e64 s0, 0, v1
	s_ashr_i32 s3, s2, 31
	s_lshl_b64 s[4:5], s[2:3], 2
	s_add_u32 s3, s8, s4
	s_addc_u32 s4, s9, s5
	s_lshl_b32 s5, s12, 8
	s_branch .LBB1_4
.LBB1_3:                                ;   in Loop: Header=BB1_4 Depth=1
	s_or_b32 exec_lo, exec_lo, s8
	s_waitcnt lgkmcnt(0)
	s_barrier
	buffer_gl0_inv
	ds_read_b32 v1, v7
	s_waitcnt lgkmcnt(0)
	s_barrier
	buffer_gl0_inv
	v_cmp_ne_u32_e32 vcc_lo, 0, v1
	s_cmp_lg_u32 vcc_lo, exec_lo
	s_cselect_b32 s8, -1, 0
	s_and_b32 vcc_lo, exec_lo, s8
	s_cbranch_vccnz .LBB1_36
.LBB1_4:                                ; =>This Inner Loop Header: Depth=1
	s_mov_b32 s2, s5
	s_addk_i32 s5, 0xff00
	s_cmp_lt_i32 s5, 0
	s_cbranch_scc1 .LBB1_35
; %bb.5:                                ;   in Loop: Header=BB1_4 Depth=1
	s_lshr_b32 s8, s5, 1
	v_add_nc_u32_e32 v1, s8, v0
	v_lshlrev_b64 v[3:4], 2, v[1:2]
	v_add_co_u32 v3, vcc_lo, s3, v3
	v_add_co_ci_u32_e64 v4, null, s4, v4, vcc_lo
	global_load_dword v3, v[3:4], off
	s_waitcnt vmcnt(0)
	v_cmp_class_f16_e64 s8, v3, 0x204
	v_cmp_class_f16_sdwa s9, v3, v6 src0_sel:WORD_1 src1_sel:DWORD
	s_and_b32 s12, s8, s9
	s_mov_b32 s9, 0
	s_and_saveexec_b32 s8, s12
	s_cbranch_execz .LBB1_33
; %bb.6:                                ;   in Loop: Header=BB1_4 Depth=1
	v_add_nc_u32_e32 v3, s13, v1
	s_mov_b32 s12, 0
	v_ashrrev_i32_e32 v4, 31, v3
	v_lshlrev_b64 v[8:9], 2, v[3:4]
	v_add_co_u32 v8, vcc_lo, s3, v8
	v_add_co_ci_u32_e64 v9, null, s4, v9, vcc_lo
	global_load_dword v1, v[8:9], off
	s_waitcnt vmcnt(0)
	v_cmp_class_f16_e64 s14, v1, 0x204
	s_and_saveexec_b32 s9, s14
	s_cbranch_execz .LBB1_32
; %bb.7:                                ;   in Loop: Header=BB1_4 Depth=1
	v_cmp_class_f16_sdwa s15, v1, v6 src0_sel:WORD_1 src1_sel:DWORD
	s_mov_b32 s14, 0
	s_and_saveexec_b32 s12, s15
	s_cbranch_execz .LBB1_31
; %bb.8:                                ;   in Loop: Header=BB1_4 Depth=1
	v_add_nc_u32_e32 v3, s13, v3
	s_mov_b32 s15, 0
	v_ashrrev_i32_e32 v4, 31, v3
	v_lshlrev_b64 v[8:9], 2, v[3:4]
	v_add_co_u32 v8, vcc_lo, s3, v8
	v_add_co_ci_u32_e64 v9, null, s4, v9, vcc_lo
	global_load_dword v1, v[8:9], off
	s_waitcnt vmcnt(0)
	v_cmp_class_f16_e64 s16, v1, 0x204
	s_and_saveexec_b32 s14, s16
	s_cbranch_execz .LBB1_30
; %bb.9:                                ;   in Loop: Header=BB1_4 Depth=1
	v_cmp_class_f16_sdwa s17, v1, v6 src0_sel:WORD_1 src1_sel:DWORD
	s_mov_b32 s16, 0
	s_and_saveexec_b32 s15, s17
	s_cbranch_execz .LBB1_29
; %bb.10:                               ;   in Loop: Header=BB1_4 Depth=1
	v_add_nc_u32_e32 v3, s13, v3
	s_mov_b32 s17, 0
	v_ashrrev_i32_e32 v4, 31, v3
	v_lshlrev_b64 v[8:9], 2, v[3:4]
	v_add_co_u32 v8, vcc_lo, s3, v8
	v_add_co_ci_u32_e64 v9, null, s4, v9, vcc_lo
	global_load_dword v1, v[8:9], off
	s_waitcnt vmcnt(0)
	v_cmp_class_f16_e64 s18, v1, 0x204
	s_and_saveexec_b32 s16, s18
	s_cbranch_execz .LBB1_28
; %bb.11:                               ;   in Loop: Header=BB1_4 Depth=1
	v_cmp_class_f16_sdwa s19, v1, v6 src0_sel:WORD_1 src1_sel:DWORD
	s_mov_b32 s18, 0
	s_and_saveexec_b32 s17, s19
	s_cbranch_execz .LBB1_27
; %bb.12:                               ;   in Loop: Header=BB1_4 Depth=1
	v_add_nc_u32_e32 v3, s13, v3
	s_mov_b32 s19, 0
	v_ashrrev_i32_e32 v4, 31, v3
	v_lshlrev_b64 v[8:9], 2, v[3:4]
	v_add_co_u32 v8, vcc_lo, s3, v8
	v_add_co_ci_u32_e64 v9, null, s4, v9, vcc_lo
	global_load_dword v1, v[8:9], off
	s_waitcnt vmcnt(0)
	v_cmp_class_f16_e64 s20, v1, 0x204
	s_and_saveexec_b32 s18, s20
	s_cbranch_execz .LBB1_26
; %bb.13:                               ;   in Loop: Header=BB1_4 Depth=1
	;; [unrolled: 17-line block ×4, first 2 shown]
	v_cmp_class_f16_sdwa s25, v1, v6 src0_sel:WORD_1 src1_sel:DWORD
	s_mov_b32 s24, 0
	s_and_saveexec_b32 s23, s25
	s_cbranch_execz .LBB1_21
; %bb.18:                               ;   in Loop: Header=BB1_4 Depth=1
	v_add_nc_u32_e32 v3, s13, v3
	v_ashrrev_i32_e32 v4, 31, v3
	v_lshlrev_b64 v[3:4], 2, v[3:4]
	v_add_co_u32 v3, vcc_lo, s3, v3
	v_add_co_ci_u32_e64 v4, null, s4, v4, vcc_lo
	global_load_dword v1, v[3:4], off
	s_waitcnt vmcnt(0)
	v_cmp_class_f16_e64 s26, v1, 0x204
	s_and_saveexec_b32 s25, s26
; %bb.19:                               ;   in Loop: Header=BB1_4 Depth=1
	v_cmp_class_f16_sdwa s24, v1, v6 src0_sel:WORD_1 src1_sel:DWORD
	s_and_b32 s24, s24, exec_lo
; %bb.20:                               ;   in Loop: Header=BB1_4 Depth=1
	s_or_b32 exec_lo, exec_lo, s25
	s_and_b32 s24, s24, exec_lo
.LBB1_21:                               ;   in Loop: Header=BB1_4 Depth=1
	s_or_b32 exec_lo, exec_lo, s23
	s_and_b32 s23, s24, exec_lo
.LBB1_22:                               ;   in Loop: Header=BB1_4 Depth=1
	s_or_b32 exec_lo, exec_lo, s22
	s_and_b32 s22, s23, exec_lo
.LBB1_23:                               ;   in Loop: Header=BB1_4 Depth=1
	s_or_b32 exec_lo, exec_lo, s21
	s_and_b32 s21, s22, exec_lo
.LBB1_24:                               ;   in Loop: Header=BB1_4 Depth=1
	s_or_b32 exec_lo, exec_lo, s20
	s_and_b32 s20, s21, exec_lo
.LBB1_25:                               ;   in Loop: Header=BB1_4 Depth=1
	s_or_b32 exec_lo, exec_lo, s19
	s_and_b32 s19, s20, exec_lo
.LBB1_26:                               ;   in Loop: Header=BB1_4 Depth=1
	s_or_b32 exec_lo, exec_lo, s18
	s_and_b32 s18, s19, exec_lo
.LBB1_27:                               ;   in Loop: Header=BB1_4 Depth=1
	s_or_b32 exec_lo, exec_lo, s17
	s_and_b32 s17, s18, exec_lo
.LBB1_28:                               ;   in Loop: Header=BB1_4 Depth=1
	s_or_b32 exec_lo, exec_lo, s16
	s_and_b32 s16, s17, exec_lo
.LBB1_29:                               ;   in Loop: Header=BB1_4 Depth=1
	s_or_b32 exec_lo, exec_lo, s15
	s_and_b32 s15, s16, exec_lo
.LBB1_30:                               ;   in Loop: Header=BB1_4 Depth=1
	s_or_b32 exec_lo, exec_lo, s14
	s_and_b32 s14, s15, exec_lo
.LBB1_31:                               ;   in Loop: Header=BB1_4 Depth=1
	s_or_b32 exec_lo, exec_lo, s12
	s_and_b32 s12, s14, exec_lo
.LBB1_32:                               ;   in Loop: Header=BB1_4 Depth=1
	s_or_b32 exec_lo, exec_lo, s9
	s_and_b32 s9, s12, exec_lo
.LBB1_33:                               ;   in Loop: Header=BB1_4 Depth=1
	s_or_b32 exec_lo, exec_lo, s8
	v_cndmask_b32_e64 v1, 0, 1, s9
	s_mov_b32 s12, exec_lo
	v_cmp_ne_u32_e32 vcc_lo, 0, v1
	s_and_saveexec_b32 s8, s0
	s_cbranch_execz .LBB1_3
; %bb.34:                               ;   in Loop: Header=BB1_4 Depth=1
	s_cmp_eq_u32 vcc_lo, s12
	s_cselect_b32 s9, -1, 0
	v_cndmask_b32_e64 v1, 0, 1, s9
	ds_write_b32 v5, v1
	s_branch .LBB1_3
.LBB1_35:                               ;   in Loop: Header=BB1_4 Depth=1
	s_cbranch_execz .LBB1_4
.LBB1_36:
	s_mov_b32 s0, exec_lo
	v_cmpx_eq_u32_e32 0, v0
	s_cbranch_execz .LBB1_38
; %bb.37:
	s_mul_i32 s0, s1, s7
	v_mov_b32_e32 v0, 0
	s_add_i32 s0, s0, s6
	v_mov_b32_e32 v1, s2
	s_ashr_i32 s1, s0, 31
	s_lshl_b64 s[0:1], s[0:1], 2
	s_add_u32 s0, s10, s0
	s_addc_u32 s1, s11, s1
	global_store_dword v0, v1, s[0:1]
.LBB1_38:
	s_endpgm
	.section	.rodata,"a",@progbits
	.p2align	6, 0x0
	.amdhsa_kernel _ZL25flash_attn_mask_to_KV_maxILi8EEvPK7__half2Piiii
		.amdhsa_group_segment_fixed_size 128
		.amdhsa_private_segment_fixed_size 0
		.amdhsa_kernarg_size 288
		.amdhsa_user_sgpr_count 6
		.amdhsa_user_sgpr_private_segment_buffer 1
		.amdhsa_user_sgpr_dispatch_ptr 0
		.amdhsa_user_sgpr_queue_ptr 0
		.amdhsa_user_sgpr_kernarg_segment_ptr 1
		.amdhsa_user_sgpr_dispatch_id 0
		.amdhsa_user_sgpr_flat_scratch_init 0
		.amdhsa_user_sgpr_private_segment_size 0
		.amdhsa_wavefront_size32 1
		.amdhsa_uses_dynamic_stack 0
		.amdhsa_system_sgpr_private_segment_wavefront_offset 0
		.amdhsa_system_sgpr_workgroup_id_x 1
		.amdhsa_system_sgpr_workgroup_id_y 1
		.amdhsa_system_sgpr_workgroup_id_z 0
		.amdhsa_system_sgpr_workgroup_info 0
		.amdhsa_system_vgpr_workitem_id 0
		.amdhsa_next_free_vgpr 10
		.amdhsa_next_free_sgpr 27
		.amdhsa_reserve_vcc 1
		.amdhsa_reserve_flat_scratch 0
		.amdhsa_float_round_mode_32 0
		.amdhsa_float_round_mode_16_64 0
		.amdhsa_float_denorm_mode_32 3
		.amdhsa_float_denorm_mode_16_64 3
		.amdhsa_dx10_clamp 1
		.amdhsa_ieee_mode 1
		.amdhsa_fp16_overflow 0
		.amdhsa_workgroup_processor_mode 1
		.amdhsa_memory_ordered 1
		.amdhsa_forward_progress 1
		.amdhsa_shared_vgpr_count 0
		.amdhsa_exception_fp_ieee_invalid_op 0
		.amdhsa_exception_fp_denorm_src 0
		.amdhsa_exception_fp_ieee_div_zero 0
		.amdhsa_exception_fp_ieee_overflow 0
		.amdhsa_exception_fp_ieee_underflow 0
		.amdhsa_exception_fp_ieee_inexact 0
		.amdhsa_exception_int_div_zero 0
	.end_amdhsa_kernel
	.section	.text._ZL25flash_attn_mask_to_KV_maxILi8EEvPK7__half2Piiii,"axG",@progbits,_ZL25flash_attn_mask_to_KV_maxILi8EEvPK7__half2Piiii,comdat
.Lfunc_end1:
	.size	_ZL25flash_attn_mask_to_KV_maxILi8EEvPK7__half2Piiii, .Lfunc_end1-_ZL25flash_attn_mask_to_KV_maxILi8EEvPK7__half2Piiii
                                        ; -- End function
	.set _ZL25flash_attn_mask_to_KV_maxILi8EEvPK7__half2Piiii.num_vgpr, 10
	.set _ZL25flash_attn_mask_to_KV_maxILi8EEvPK7__half2Piiii.num_agpr, 0
	.set _ZL25flash_attn_mask_to_KV_maxILi8EEvPK7__half2Piiii.numbered_sgpr, 27
	.set _ZL25flash_attn_mask_to_KV_maxILi8EEvPK7__half2Piiii.num_named_barrier, 0
	.set _ZL25flash_attn_mask_to_KV_maxILi8EEvPK7__half2Piiii.private_seg_size, 0
	.set _ZL25flash_attn_mask_to_KV_maxILi8EEvPK7__half2Piiii.uses_vcc, 1
	.set _ZL25flash_attn_mask_to_KV_maxILi8EEvPK7__half2Piiii.uses_flat_scratch, 0
	.set _ZL25flash_attn_mask_to_KV_maxILi8EEvPK7__half2Piiii.has_dyn_sized_stack, 0
	.set _ZL25flash_attn_mask_to_KV_maxILi8EEvPK7__half2Piiii.has_recursion, 0
	.set _ZL25flash_attn_mask_to_KV_maxILi8EEvPK7__half2Piiii.has_indirect_call, 0
	.section	.AMDGPU.csdata,"",@progbits
; Kernel info:
; codeLenInByte = 1124
; TotalNumSgprs: 29
; NumVgprs: 10
; ScratchSize: 0
; MemoryBound: 0
; FloatMode: 240
; IeeeMode: 1
; LDSByteSize: 128 bytes/workgroup (compile time only)
; SGPRBlocks: 0
; VGPRBlocks: 1
; NumSGPRsForWavesPerEU: 29
; NumVGPRsForWavesPerEU: 10
; Occupancy: 16
; WaveLimiterHint : 0
; COMPUTE_PGM_RSRC2:SCRATCH_EN: 0
; COMPUTE_PGM_RSRC2:USER_SGPR: 6
; COMPUTE_PGM_RSRC2:TRAP_HANDLER: 0
; COMPUTE_PGM_RSRC2:TGID_X_EN: 1
; COMPUTE_PGM_RSRC2:TGID_Y_EN: 1
; COMPUTE_PGM_RSRC2:TGID_Z_EN: 0
; COMPUTE_PGM_RSRC2:TIDIG_COMP_CNT: 0
	.section	.text._ZL33flash_attn_stream_k_fixup_uniformILi128ELi8ELi8EEvPfPK15HIP_vector_typeIfLj2EEiiiiiiS1_IjLj3EES5_S5_,"axG",@progbits,_ZL33flash_attn_stream_k_fixup_uniformILi128ELi8ELi8EEvPfPK15HIP_vector_typeIfLj2EEiiiiiiS1_IjLj3EES5_S5_,comdat
	.globl	_ZL33flash_attn_stream_k_fixup_uniformILi128ELi8ELi8EEvPfPK15HIP_vector_typeIfLj2EEiiiiiiS1_IjLj3EES5_S5_ ; -- Begin function _ZL33flash_attn_stream_k_fixup_uniformILi128ELi8ELi8EEvPfPK15HIP_vector_typeIfLj2EEiiiiiiS1_IjLj3EES5_S5_
	.p2align	8
	.type	_ZL33flash_attn_stream_k_fixup_uniformILi128ELi8ELi8EEvPfPK15HIP_vector_typeIfLj2EEiiiiiiS1_IjLj3EES5_S5_,@function
_ZL33flash_attn_stream_k_fixup_uniformILi128ELi8ELi8EEvPfPK15HIP_vector_typeIfLj2EEiiiiiiS1_IjLj3EES5_S5_: ; @_ZL33flash_attn_stream_k_fixup_uniformILi128ELi8ELi8EEvPfPK15HIP_vector_typeIfLj2EEiiiiiiS1_IjLj3EES5_S5_
; %bb.0:
	s_clause 0x2
	s_load_dwordx8 s[12:19], s[4:5], 0x1c
	s_load_dwordx4 s[20:23], s[4:5], 0x3c
	s_load_dwordx2 s[10:11], s[4:5], 0x10
	s_waitcnt lgkmcnt(0)
	s_mul_hi_u32 s0, s15, s6
	s_add_i32 s0, s6, s0
	s_lshr_b32 s0, s0, s16
	s_mul_i32 s1, s0, s17
	s_sub_i32 s2, s6, s1
	s_mul_hi_u32 s1, s2, s18
	s_add_i32 s1, s2, s1
	s_lshr_b32 s1, s1, s19
	s_mul_i32 s3, s1, s20
	s_sub_i32 s2, s2, s3
	s_mul_hi_u32 s3, s2, s21
	s_add_i32 s3, s2, s3
	s_lshr_b32 s3, s3, s22
	s_mul_i32 s9, s3, s23
	s_lshl_b32 s15, s3, 3
	s_sub_i32 s9, s2, s9
	s_lshl_b32 s2, s9, 3
	s_add_i32 s2, s2, s7
	s_cmp_lt_i32 s2, s10
	s_cselect_b32 s2, -1, 0
	s_add_i32 s3, s15, s8
	s_cmp_lt_i32 s3, s13
	s_cselect_b32 s3, -1, 0
	s_and_b32 s2, s2, s3
	s_andn2_b32 vcc_lo, exec_lo, s2
	s_cbranch_vccnz .LBB2_6
; %bb.1:
	s_mul_i32 s0, s0, s10
	s_mul_i32 s10, s1, s13
	s_add_i32 s0, s0, s7
	s_mul_i32 s0, s0, s11
	s_add_i32 s13, s0, s8
	s_load_dwordx4 s[0:3], s[4:5], 0x0
	s_add_i32 s4, s13, s10
	s_mul_i32 s5, s11, s9
	s_add_i32 s4, s4, s15
	s_lshl_b32 s5, s5, 10
	s_lshl_b32 s4, s4, 7
	;; [unrolled: 1-line block ×3, first 2 shown]
	s_add_i32 s5, s5, s4
	s_mul_i32 s4, s14, s6
	v_or_b32_e32 v1, s5, v0
	s_add_i32 s11, s4, s14
	v_ashrrev_i32_e32 v2, 31, v1
	v_lshlrev_b64 v[1:2], 2, v[1:2]
	s_waitcnt lgkmcnt(0)
	v_add_co_u32 v1, vcc_lo, s0, v1
	v_add_co_ci_u32_e64 v2, null, s1, v2, vcc_lo
	s_add_i32 s0, s10, s8
	s_lshl_b32 s1, s11, 6
	s_add_i32 s0, s0, s1
	global_load_dword v5, v[1:2], off
	s_sub_i32 s0, s0, 64
	s_ashr_i32 s1, s0, 31
	s_lshl_b64 s[0:1], s[0:1], 3
	s_add_u32 s0, s2, s0
	s_addc_u32 s1, s3, s1
	s_add_i32 s5, s11, -2
	s_load_dword s13, s[0:1], 0x4
	s_cmp_lt_i32 s5, s4
	s_cbranch_scc1 .LBB2_4
; %bb.2:
	s_lshl_b32 s16, s12, 8
	s_load_dword s15, s[0:1], 0x0
	s_ashr_i32 s17, s16, 31
	s_waitcnt lgkmcnt(0)
	v_mov_b32_e32 v6, s13
	s_lshl_b64 s[0:1], s[16:17], 2
	s_add_u32 s5, s2, s0
	s_addc_u32 s9, s3, s1
	s_add_i32 s6, s6, 1
	s_lshl_b32 s0, s7, 10
	s_lshl_b32 s1, s8, 7
	s_mul_i32 s6, s14, s6
	s_add_i32 s0, s1, s0
	s_lshl_b32 s1, s6, 13
	s_add_i32 s0, s0, s1
	s_lshl_b32 s1, s6, 6
	v_or_b32_e32 v0, s0, v0
	s_lshl_b32 s0, s12, 6
	s_add_i32 s1, s8, s1
	s_add_i32 s6, s11, -1
	s_add_i32 s0, s1, s0
	v_add_nc_u32_e32 v3, 0xffffc000, v0
	v_mov_b32_e32 v0, s15
	s_add_i32 s0, s0, s10
	s_addk_i32 s0, 0xff80
.LBB2_3:                                ; =>This Inner Loop Header: Depth=1
	v_ashrrev_i32_e32 v4, 31, v3
	s_ashr_i32 s1, s0, 31
	s_lshl_b64 s[10:11], s[0:1], 3
	s_add_u32 s10, s2, s10
	v_lshlrev_b64 v[7:8], 2, v[3:4]
	s_addc_u32 s11, s3, s11
	v_add_nc_u32_e32 v3, 0xffffe000, v3
	s_add_i32 s6, s6, -1
	s_sub_i32 s0, s0, 64
	s_cmp_le_i32 s6, s4
	v_add_co_u32 v7, vcc_lo, s5, v7
	v_add_co_ci_u32_e64 v8, null, s9, v8, vcc_lo
	s_load_dwordx2 s[10:11], s[10:11], 0x0
	global_load_dword v4, v[7:8], off
	v_max_f32_e32 v7, v0, v0
	s_waitcnt lgkmcnt(0)
	v_max_f32_e64 v8, s10, s10
	v_max_f32_e32 v7, v7, v8
	v_sub_f32_e32 v8, s10, v7
	v_sub_f32_e32 v0, v0, v7
	v_mul_f32_e32 v9, 0x3fb8aa3b, v8
	v_mul_f32_e32 v12, 0x3fb8aa3b, v0
	v_cmp_ngt_f32_e32 vcc_lo, 0xc2ce8ed0, v8
	v_fma_f32 v10, 0x3fb8aa3b, v8, -v9
	v_rndne_f32_e32 v11, v9
	v_fma_f32 v13, 0x3fb8aa3b, v0, -v12
	v_rndne_f32_e32 v14, v12
	v_fmac_f32_e32 v10, 0x32a5705f, v8
	v_sub_f32_e32 v9, v9, v11
	v_fmac_f32_e32 v13, 0x32a5705f, v0
	v_cvt_i32_f32_e32 v11, v11
	v_add_f32_e32 v9, v9, v10
	v_sub_f32_e32 v10, v12, v14
	v_exp_f32_e32 v9, v9
	v_add_f32_e32 v10, v10, v13
	v_exp_f32_e32 v10, v10
	v_ldexp_f32 v9, v9, v11
	v_cvt_i32_f32_e32 v11, v14
	v_cndmask_b32_e32 v9, 0, v9, vcc_lo
	v_cmp_nlt_f32_e32 vcc_lo, 0x42b17218, v8
	v_ldexp_f32 v10, v10, v11
	v_mov_b32_e32 v11, v6
	v_cndmask_b32_e32 v9, 0x7f800000, v9, vcc_lo
	v_cmp_ngt_f32_e32 vcc_lo, 0xc2ce8ed0, v0
	v_cndmask_b32_e32 v10, 0, v10, vcc_lo
	v_cmp_le_f32_e32 vcc_lo, 0xc1a00000, v8
	v_cndmask_b32_e32 v8, 0, v9, vcc_lo
	v_cmp_nlt_f32_e32 vcc_lo, 0x42b17218, v0
	s_waitcnt vmcnt(1)
	v_mov_b32_e32 v9, v5
	v_cndmask_b32_e32 v5, 0x7f800000, v10, vcc_lo
	v_mul_f32_e32 v10, s11, v8
	v_cmp_le_f32_e32 vcc_lo, 0xc1a00000, v0
	v_mov_b32_e32 v0, v7
	v_mov_b32_e32 v6, v10
	v_cndmask_b32_e32 v12, 0, v5, vcc_lo
	v_fmac_f32_e32 v6, v11, v12
	s_waitcnt vmcnt(0)
	v_mul_f32_e32 v5, v4, v8
	v_fmac_f32_e32 v5, v9, v12
	s_cbranch_scc0 .LBB2_3
	s_branch .LBB2_5
.LBB2_4:
	s_waitcnt lgkmcnt(0)
	v_mov_b32_e32 v6, s13
.LBB2_5:
	s_waitcnt vmcnt(0)
	v_div_scale_f32 v0, null, v6, v6, v5
	v_rcp_f32_e32 v3, v0
	v_fma_f32 v4, -v0, v3, 1.0
	v_fmac_f32_e32 v3, v4, v3
	v_div_scale_f32 v4, vcc_lo, v5, v6, v5
	v_mul_f32_e32 v7, v4, v3
	v_fma_f32 v8, -v0, v7, v4
	v_fmac_f32_e32 v7, v8, v3
	v_fma_f32 v0, -v0, v7, v4
	v_div_fmas_f32 v0, v0, v3, v7
	v_div_fixup_f32 v0, v0, v6, v5
	global_store_dword v[1:2], v0, off
.LBB2_6:
	s_endpgm
	.section	.rodata,"a",@progbits
	.p2align	6, 0x0
	.amdhsa_kernel _ZL33flash_attn_stream_k_fixup_uniformILi128ELi8ELi8EEvPfPK15HIP_vector_typeIfLj2EEiiiiiiS1_IjLj3EES5_S5_
		.amdhsa_group_segment_fixed_size 0
		.amdhsa_private_segment_fixed_size 0
		.amdhsa_kernarg_size 76
		.amdhsa_user_sgpr_count 6
		.amdhsa_user_sgpr_private_segment_buffer 1
		.amdhsa_user_sgpr_dispatch_ptr 0
		.amdhsa_user_sgpr_queue_ptr 0
		.amdhsa_user_sgpr_kernarg_segment_ptr 1
		.amdhsa_user_sgpr_dispatch_id 0
		.amdhsa_user_sgpr_flat_scratch_init 0
		.amdhsa_user_sgpr_private_segment_size 0
		.amdhsa_wavefront_size32 1
		.amdhsa_uses_dynamic_stack 0
		.amdhsa_system_sgpr_private_segment_wavefront_offset 0
		.amdhsa_system_sgpr_workgroup_id_x 1
		.amdhsa_system_sgpr_workgroup_id_y 1
		.amdhsa_system_sgpr_workgroup_id_z 1
		.amdhsa_system_sgpr_workgroup_info 0
		.amdhsa_system_vgpr_workitem_id 0
		.amdhsa_next_free_vgpr 15
		.amdhsa_next_free_sgpr 24
		.amdhsa_reserve_vcc 1
		.amdhsa_reserve_flat_scratch 0
		.amdhsa_float_round_mode_32 0
		.amdhsa_float_round_mode_16_64 0
		.amdhsa_float_denorm_mode_32 3
		.amdhsa_float_denorm_mode_16_64 3
		.amdhsa_dx10_clamp 1
		.amdhsa_ieee_mode 1
		.amdhsa_fp16_overflow 0
		.amdhsa_workgroup_processor_mode 1
		.amdhsa_memory_ordered 1
		.amdhsa_forward_progress 1
		.amdhsa_shared_vgpr_count 0
		.amdhsa_exception_fp_ieee_invalid_op 0
		.amdhsa_exception_fp_denorm_src 0
		.amdhsa_exception_fp_ieee_div_zero 0
		.amdhsa_exception_fp_ieee_overflow 0
		.amdhsa_exception_fp_ieee_underflow 0
		.amdhsa_exception_fp_ieee_inexact 0
		.amdhsa_exception_int_div_zero 0
	.end_amdhsa_kernel
	.section	.text._ZL33flash_attn_stream_k_fixup_uniformILi128ELi8ELi8EEvPfPK15HIP_vector_typeIfLj2EEiiiiiiS1_IjLj3EES5_S5_,"axG",@progbits,_ZL33flash_attn_stream_k_fixup_uniformILi128ELi8ELi8EEvPfPK15HIP_vector_typeIfLj2EEiiiiiiS1_IjLj3EES5_S5_,comdat
.Lfunc_end2:
	.size	_ZL33flash_attn_stream_k_fixup_uniformILi128ELi8ELi8EEvPfPK15HIP_vector_typeIfLj2EEiiiiiiS1_IjLj3EES5_S5_, .Lfunc_end2-_ZL33flash_attn_stream_k_fixup_uniformILi128ELi8ELi8EEvPfPK15HIP_vector_typeIfLj2EEiiiiiiS1_IjLj3EES5_S5_
                                        ; -- End function
	.set _ZL33flash_attn_stream_k_fixup_uniformILi128ELi8ELi8EEvPfPK15HIP_vector_typeIfLj2EEiiiiiiS1_IjLj3EES5_S5_.num_vgpr, 15
	.set _ZL33flash_attn_stream_k_fixup_uniformILi128ELi8ELi8EEvPfPK15HIP_vector_typeIfLj2EEiiiiiiS1_IjLj3EES5_S5_.num_agpr, 0
	.set _ZL33flash_attn_stream_k_fixup_uniformILi128ELi8ELi8EEvPfPK15HIP_vector_typeIfLj2EEiiiiiiS1_IjLj3EES5_S5_.numbered_sgpr, 24
	.set _ZL33flash_attn_stream_k_fixup_uniformILi128ELi8ELi8EEvPfPK15HIP_vector_typeIfLj2EEiiiiiiS1_IjLj3EES5_S5_.num_named_barrier, 0
	.set _ZL33flash_attn_stream_k_fixup_uniformILi128ELi8ELi8EEvPfPK15HIP_vector_typeIfLj2EEiiiiiiS1_IjLj3EES5_S5_.private_seg_size, 0
	.set _ZL33flash_attn_stream_k_fixup_uniformILi128ELi8ELi8EEvPfPK15HIP_vector_typeIfLj2EEiiiiiiS1_IjLj3EES5_S5_.uses_vcc, 1
	.set _ZL33flash_attn_stream_k_fixup_uniformILi128ELi8ELi8EEvPfPK15HIP_vector_typeIfLj2EEiiiiiiS1_IjLj3EES5_S5_.uses_flat_scratch, 0
	.set _ZL33flash_attn_stream_k_fixup_uniformILi128ELi8ELi8EEvPfPK15HIP_vector_typeIfLj2EEiiiiiiS1_IjLj3EES5_S5_.has_dyn_sized_stack, 0
	.set _ZL33flash_attn_stream_k_fixup_uniformILi128ELi8ELi8EEvPfPK15HIP_vector_typeIfLj2EEiiiiiiS1_IjLj3EES5_S5_.has_recursion, 0
	.set _ZL33flash_attn_stream_k_fixup_uniformILi128ELi8ELi8EEvPfPK15HIP_vector_typeIfLj2EEiiiiiiS1_IjLj3EES5_S5_.has_indirect_call, 0
	.section	.AMDGPU.csdata,"",@progbits
; Kernel info:
; codeLenInByte = 848
; TotalNumSgprs: 26
; NumVgprs: 15
; ScratchSize: 0
; MemoryBound: 0
; FloatMode: 240
; IeeeMode: 1
; LDSByteSize: 0 bytes/workgroup (compile time only)
; SGPRBlocks: 0
; VGPRBlocks: 1
; NumSGPRsForWavesPerEU: 26
; NumVGPRsForWavesPerEU: 15
; Occupancy: 16
; WaveLimiterHint : 0
; COMPUTE_PGM_RSRC2:SCRATCH_EN: 0
; COMPUTE_PGM_RSRC2:USER_SGPR: 6
; COMPUTE_PGM_RSRC2:TRAP_HANDLER: 0
; COMPUTE_PGM_RSRC2:TGID_X_EN: 1
; COMPUTE_PGM_RSRC2:TGID_Y_EN: 1
; COMPUTE_PGM_RSRC2:TGID_Z_EN: 1
; COMPUTE_PGM_RSRC2:TIDIG_COMP_CNT: 0
	.section	.text._ZL33flash_attn_stream_k_fixup_generalILi128ELi8ELi8EEvPfPK15HIP_vector_typeIfLj2EEiiiiS1_IjLj3EES5_S5_S5_,"axG",@progbits,_ZL33flash_attn_stream_k_fixup_generalILi128ELi8ELi8EEvPfPK15HIP_vector_typeIfLj2EEiiiiS1_IjLj3EES5_S5_S5_,comdat
	.globl	_ZL33flash_attn_stream_k_fixup_generalILi128ELi8ELi8EEvPfPK15HIP_vector_typeIfLj2EEiiiiS1_IjLj3EES5_S5_S5_ ; -- Begin function _ZL33flash_attn_stream_k_fixup_generalILi128ELi8ELi8EEvPfPK15HIP_vector_typeIfLj2EEiiiiS1_IjLj3EES5_S5_S5_
	.p2align	8
	.type	_ZL33flash_attn_stream_k_fixup_generalILi128ELi8ELi8EEvPfPK15HIP_vector_typeIfLj2EEiiiiS1_IjLj3EES5_S5_S5_,@function
_ZL33flash_attn_stream_k_fixup_generalILi128ELi8ELi8EEvPfPK15HIP_vector_typeIfLj2EEiiiiS1_IjLj3EES5_S5_S5_: ; @_ZL33flash_attn_stream_k_fixup_generalILi128ELi8ELi8EEvPfPK15HIP_vector_typeIfLj2EEiiiiS1_IjLj3EES5_S5_S5_
; %bb.0:
	s_clause 0x1
	s_load_dwordx4 s[0:3], s[4:5], 0x10
	s_load_dword s9, s[4:5], 0x50
	s_mov_b32 s16, 0
	s_waitcnt lgkmcnt(0)
	s_mul_hi_i32 s17, s3, s6
	s_mul_i32 s18, s3, s6
	s_cmp_lg_u64 s[16:17], 0
	s_cbranch_scc0 .LBB3_21
; %bb.1:
	s_add_u32 s10, s9, 0
	s_addc_u32 s11, 0, 0
	s_xor_b64 s[10:11], s[10:11], 0
	v_cvt_f32_u32_e32 v1, s10
	v_cvt_f32_u32_e32 v2, s11
	s_sub_u32 s14, 0, s10
	s_subb_u32 s15, 0, s11
	v_fmamk_f32 v1, v2, 0x4f800000, v1
	v_rcp_f32_e32 v1, v1
	v_mul_f32_e32 v1, 0x5f7ffffc, v1
	v_mul_f32_e32 v2, 0x2f800000, v1
	v_trunc_f32_e32 v2, v2
	v_fmamk_f32 v1, v2, 0xcf800000, v1
	v_cvt_u32_f32_e32 v2, v2
	v_cvt_u32_f32_e32 v1, v1
	v_readfirstlane_b32 s12, v2
	v_readfirstlane_b32 s13, v1
	s_mul_i32 s19, s14, s12
	s_mul_hi_u32 s21, s14, s13
	s_mul_i32 s20, s15, s13
	s_add_i32 s19, s21, s19
	s_mul_i32 s22, s14, s13
	s_add_i32 s19, s19, s20
	s_mul_hi_u32 s21, s13, s22
	s_mul_i32 s24, s13, s19
	s_mul_hi_u32 s23, s12, s22
	s_mul_i32 s20, s12, s22
	s_mul_hi_u32 s22, s13, s19
	s_add_u32 s21, s21, s24
	s_addc_u32 s22, 0, s22
	s_mul_hi_u32 s25, s12, s19
	s_add_u32 s20, s21, s20
	s_mul_i32 s19, s12, s19
	s_addc_u32 s20, s22, s23
	s_addc_u32 s21, s25, 0
	s_add_u32 s19, s20, s19
	s_addc_u32 s20, 0, s21
	s_add_u32 s13, s13, s19
	s_cselect_b32 s19, -1, 0
	s_mul_hi_u32 s21, s14, s13
	s_cmp_lg_u32 s19, 0
	s_mul_i32 s19, s14, s13
	s_addc_u32 s12, s12, s20
	s_mul_i32 s15, s15, s13
	s_mul_i32 s14, s14, s12
	s_mul_hi_u32 s20, s13, s19
	s_add_i32 s14, s21, s14
	s_mul_hi_u32 s21, s12, s19
	s_add_i32 s14, s14, s15
	s_mul_i32 s15, s12, s19
	s_mul_i32 s23, s13, s14
	s_mul_hi_u32 s22, s13, s14
	s_add_u32 s20, s20, s23
	s_addc_u32 s22, 0, s22
	s_mul_hi_u32 s19, s12, s14
	s_add_u32 s15, s20, s15
	s_mul_i32 s14, s12, s14
	s_addc_u32 s15, s22, s21
	s_addc_u32 s19, s19, 0
	s_add_u32 s14, s15, s14
	s_addc_u32 s15, 0, s19
	s_add_u32 s19, s13, s14
	s_cselect_b32 s13, -1, 0
	s_cmp_lg_u32 s13, 0
	s_addc_u32 s20, s12, s15
	s_ashr_i32 s12, s17, 31
	s_add_u32 s14, s18, s12
	s_mov_b32 s13, s12
	s_addc_u32 s15, s17, s12
	s_xor_b64 s[14:15], s[14:15], s[12:13]
	s_mul_i32 s21, s14, s20
	s_mul_hi_u32 s22, s14, s19
	s_mul_hi_u32 s17, s14, s20
	;; [unrolled: 1-line block ×3, first 2 shown]
	s_mul_i32 s19, s15, s19
	s_add_u32 s21, s22, s21
	s_addc_u32 s17, 0, s17
	s_mul_hi_u32 s23, s15, s20
	s_add_u32 s19, s21, s19
	s_mul_i32 s20, s15, s20
	s_addc_u32 s17, s17, s24
	s_addc_u32 s19, s23, 0
	s_add_u32 s17, s17, s20
	s_addc_u32 s19, 0, s19
	s_mul_hi_u32 s20, s10, s17
	s_mul_i32 s21, s10, s19
	s_mul_i32 s22, s11, s17
	s_add_i32 s20, s20, s21
	s_mul_i32 s21, s10, s17
	s_add_i32 s20, s20, s22
	s_sub_i32 s22, s15, s20
	s_sub_u32 s14, s14, s21
	s_cselect_b32 s21, -1, 0
	s_cmp_lg_u32 s21, 0
	s_subb_u32 s22, s22, s11
	s_sub_u32 s23, s14, s10
	s_cselect_b32 s24, -1, 0
	s_cmp_lg_u32 s24, 0
	s_subb_u32 s22, s22, 0
	s_cmp_ge_u32 s22, s11
	s_cselect_b32 s24, -1, 0
	s_cmp_ge_u32 s23, s10
	s_cselect_b32 s23, -1, 0
	s_cmp_eq_u32 s22, s11
	s_cselect_b32 s22, s23, s24
	s_add_u32 s23, s17, 1
	s_addc_u32 s24, s19, 0
	s_add_u32 s25, s17, 2
	s_addc_u32 s26, s19, 0
	s_cmp_lg_u32 s22, 0
	s_cselect_b32 s22, s25, s23
	s_cselect_b32 s23, s26, s24
	s_cmp_lg_u32 s21, 0
	s_subb_u32 s15, s15, s20
	s_cmp_ge_u32 s15, s11
	s_cselect_b32 s20, -1, 0
	s_cmp_ge_u32 s14, s10
	s_cselect_b32 s10, -1, 0
	s_cmp_eq_u32 s15, s11
	s_cselect_b32 s10, s10, s20
	s_cmp_lg_u32 s10, 0
	s_cselect_b32 s11, s23, s19
	s_cselect_b32 s10, s22, s17
	s_xor_b64 s[12:13], s[12:13], 0
	s_xor_b64 s[10:11], s[10:11], s[12:13]
	s_sub_u32 s10, s10, s12
	s_load_dwordx4 s[12:15], s[4:5], 0x44
	s_andn2_b32 vcc_lo, exec_lo, s16
	s_cbranch_vccnz .LBB3_3
.LBB3_2:
	v_cvt_f32_u32_e32 v1, s9
	s_sub_i32 s11, 0, s9
	v_rcp_iflag_f32_e32 v1, v1
	v_mul_f32_e32 v1, 0x4f7ffffe, v1
	v_cvt_u32_f32_e32 v1, v1
	v_readfirstlane_b32 s10, v1
	s_mul_i32 s11, s11, s10
	s_mul_hi_u32 s11, s10, s11
	s_add_i32 s10, s10, s11
	s_mul_hi_u32 s10, s18, s10
	s_mul_i32 s11, s10, s9
	s_waitcnt lgkmcnt(0)
	s_add_i32 s15, s10, 1
	s_sub_i32 s11, s18, s11
	s_sub_i32 s16, s11, s9
	s_cmp_ge_u32 s11, s9
	s_cselect_b32 s10, s15, s10
	s_cselect_b32 s11, s16, s11
	s_add_i32 s15, s10, 1
	s_cmp_ge_u32 s11, s9
	s_cselect_b32 s10, s15, s10
.LBB3_3:
	s_add_i32 s11, s6, 1
	s_mov_b32 s16, 0
	s_mul_hi_i32 s17, s3, s11
	s_mul_i32 s11, s3, s11
	s_cmp_lg_u64 s[16:17], 0
	s_cbranch_scc0 .LBB3_22
; %bb.4:
	s_add_u32 s18, s9, 0
	s_addc_u32 s19, 0, 0
	s_xor_b64 s[18:19], s[18:19], 0
	v_cvt_f32_u32_e32 v1, s18
	v_cvt_f32_u32_e32 v2, s19
	s_sub_u32 s21, 0, s18
	s_subb_u32 s22, 0, s19
	v_fmamk_f32 v1, v2, 0x4f800000, v1
	v_rcp_f32_e32 v1, v1
	v_mul_f32_e32 v1, 0x5f7ffffc, v1
	v_mul_f32_e32 v2, 0x2f800000, v1
	v_trunc_f32_e32 v2, v2
	v_fmamk_f32 v1, v2, 0xcf800000, v1
	v_cvt_u32_f32_e32 v2, v2
	v_cvt_u32_f32_e32 v1, v1
	s_waitcnt lgkmcnt(0)
	v_readfirstlane_b32 s15, v2
	v_readfirstlane_b32 s20, v1
	s_mul_i32 s23, s21, s15
	s_mul_hi_u32 s25, s21, s20
	s_mul_i32 s24, s22, s20
	s_add_i32 s23, s25, s23
	s_mul_i32 s26, s21, s20
	s_add_i32 s23, s23, s24
	s_mul_hi_u32 s25, s20, s26
	s_mul_i32 s28, s20, s23
	s_mul_hi_u32 s27, s15, s26
	s_mul_i32 s24, s15, s26
	s_mul_hi_u32 s26, s20, s23
	s_add_u32 s25, s25, s28
	s_addc_u32 s26, 0, s26
	s_mul_hi_u32 s29, s15, s23
	s_add_u32 s24, s25, s24
	s_mul_i32 s23, s15, s23
	s_addc_u32 s24, s26, s27
	s_addc_u32 s25, s29, 0
	s_add_u32 s23, s24, s23
	s_addc_u32 s24, 0, s25
	s_add_u32 s20, s20, s23
	s_cselect_b32 s23, -1, 0
	s_mul_hi_u32 s25, s21, s20
	s_cmp_lg_u32 s23, 0
	s_mul_i32 s23, s21, s20
	s_addc_u32 s15, s15, s24
	s_mul_i32 s22, s22, s20
	s_mul_i32 s21, s21, s15
	s_mul_hi_u32 s24, s20, s23
	s_add_i32 s21, s25, s21
	s_mul_hi_u32 s25, s15, s23
	s_add_i32 s21, s21, s22
	s_mul_i32 s22, s15, s23
	s_mul_i32 s27, s20, s21
	s_mul_hi_u32 s26, s20, s21
	s_add_u32 s24, s24, s27
	s_addc_u32 s26, 0, s26
	s_mul_hi_u32 s23, s15, s21
	s_add_u32 s22, s24, s22
	s_mul_i32 s21, s15, s21
	s_addc_u32 s22, s26, s25
	s_addc_u32 s23, s23, 0
	s_add_u32 s21, s22, s21
	s_addc_u32 s22, 0, s23
	s_add_u32 s24, s20, s21
	s_cselect_b32 s20, -1, 0
	s_cmp_lg_u32 s20, 0
	s_addc_u32 s15, s15, s22
	s_ashr_i32 s20, s17, 31
	s_add_u32 s22, s11, s20
	s_mov_b32 s21, s20
	s_addc_u32 s23, s17, s20
	s_xor_b64 s[22:23], s[22:23], s[20:21]
	s_mul_i32 s25, s22, s15
	s_mul_hi_u32 s26, s22, s24
	s_mul_hi_u32 s17, s22, s15
	s_mul_hi_u32 s28, s23, s24
	s_mul_i32 s24, s23, s24
	s_add_u32 s25, s26, s25
	s_addc_u32 s17, 0, s17
	s_mul_hi_u32 s27, s23, s15
	s_add_u32 s24, s25, s24
	s_mul_i32 s15, s23, s15
	s_addc_u32 s17, s17, s28
	s_addc_u32 s24, s27, 0
	s_add_u32 s15, s17, s15
	s_addc_u32 s17, 0, s24
	s_mul_hi_u32 s24, s18, s15
	s_mul_i32 s25, s18, s17
	s_mul_i32 s26, s19, s15
	s_add_i32 s24, s24, s25
	s_mul_i32 s25, s18, s15
	s_add_i32 s24, s24, s26
	s_sub_i32 s26, s23, s24
	s_sub_u32 s22, s22, s25
	s_cselect_b32 s25, -1, 0
	s_cmp_lg_u32 s25, 0
	s_subb_u32 s26, s26, s19
	s_sub_u32 s27, s22, s18
	s_cselect_b32 s28, -1, 0
	s_cmp_lg_u32 s28, 0
	s_subb_u32 s26, s26, 0
	s_cmp_ge_u32 s26, s19
	s_cselect_b32 s28, -1, 0
	s_cmp_ge_u32 s27, s18
	s_cselect_b32 s27, -1, 0
	s_cmp_eq_u32 s26, s19
	s_cselect_b32 s26, s27, s28
	s_add_u32 s27, s15, 1
	s_addc_u32 s28, s17, 0
	s_add_u32 s29, s15, 2
	s_addc_u32 s30, s17, 0
	s_cmp_lg_u32 s26, 0
	s_cselect_b32 s26, s29, s27
	s_cselect_b32 s27, s30, s28
	s_cmp_lg_u32 s25, 0
	s_subb_u32 s23, s23, s24
	s_cmp_ge_u32 s23, s19
	s_cselect_b32 s24, -1, 0
	s_cmp_ge_u32 s22, s18
	s_cselect_b32 s18, -1, 0
	s_cmp_eq_u32 s23, s19
	s_cselect_b32 s18, s18, s24
	s_cmp_lg_u32 s18, 0
	s_cselect_b32 s19, s27, s17
	s_cselect_b32 s18, s26, s15
	s_xor_b64 s[20:21], s[20:21], 0
	s_xor_b64 s[18:19], s[18:19], s[20:21]
	s_sub_u32 s18, s18, s20
	s_andn2_b32 vcc_lo, exec_lo, s16
	s_cbranch_vccnz .LBB3_6
.LBB3_5:
	v_cvt_f32_u32_e32 v1, s9
	s_sub_i32 s16, 0, s9
	v_rcp_iflag_f32_e32 v1, v1
	v_mul_f32_e32 v1, 0x4f7ffffe, v1
	v_cvt_u32_f32_e32 v1, v1
	s_waitcnt lgkmcnt(0)
	v_readfirstlane_b32 s15, v1
	s_mul_i32 s16, s16, s15
	s_mul_hi_u32 s16, s15, s16
	s_add_i32 s15, s15, s16
	s_mul_hi_u32 s15, s11, s15
	s_mul_i32 s16, s15, s9
	s_sub_i32 s11, s11, s16
	s_add_i32 s16, s15, 1
	s_sub_i32 s17, s11, s9
	s_cmp_ge_u32 s11, s9
	s_cselect_b32 s15, s16, s15
	s_cselect_b32 s11, s17, s11
	s_add_i32 s16, s15, 1
	s_cmp_ge_u32 s11, s9
	s_cselect_b32 s18, s16, s15
.LBB3_6:
	s_cmp_eq_u32 s10, s18
	s_waitcnt lgkmcnt(0)
	s_mul_hi_u32 s11, s10, s12
	s_cselect_b32 s15, -1, 0
	s_add_i32 s11, s11, s10
	s_lshr_b32 s11, s11, s13
	s_mul_i32 s16, s11, s14
	s_cmp_eq_u32 s16, s10
	s_mul_hi_u32 s16, s18, s12
	s_cselect_b32 s17, -1, 0
	s_add_i32 s16, s16, s18
	s_lshr_b32 s16, s16, s13
	s_cmp_eq_u32 s11, s16
	s_mul_i32 s16, s16, s14
	s_cselect_b32 s19, -1, 0
	s_cmp_lg_u32 s16, s18
	s_cselect_b32 s16, -1, 0
	s_or_b32 s15, s15, s17
	s_and_b32 s16, s19, s16
	s_or_b32 s15, s15, s16
	s_and_b32 vcc_lo, exec_lo, s15
	s_cbranch_vccnz .LBB3_24
; %bb.7:
	s_clause 0x1
	s_load_dwordx8 s[20:27], s[4:5], 0x20
	s_load_dword s16, s[4:5], 0x40
	s_waitcnt lgkmcnt(0)
	s_mul_hi_u32 s15, s10, s20
	s_add_i32 s15, s15, s10
	s_lshr_b32 s15, s15, s21
	s_mul_i32 s17, s15, s22
	s_sub_i32 s17, s10, s17
	s_mul_hi_u32 s18, s17, s23
	s_add_i32 s18, s17, s18
	s_lshr_b32 s22, s18, s24
	s_mul_i32 s18, s22, s25
	s_sub_i32 s17, s17, s18
	s_mul_hi_u32 s18, s17, s26
	s_add_i32 s18, s17, s18
	s_lshr_b32 s18, s18, s27
	s_mul_i32 s16, s18, s16
	s_lshl_b32 s24, s18, 3
	s_sub_i32 s16, s17, s16
	s_mul_hi_u32 s17, s16, s12
	s_add_i32 s16, s16, s17
	s_lshr_b32 s23, s16, s13
	s_lshl_b32 s16, s23, 3
	s_add_i32 s16, s16, s7
	s_cmp_lt_i32 s16, s0
	s_cselect_b32 s16, -1, 0
	s_add_i32 s17, s24, s8
	s_cmp_lt_i32 s17, s2
	s_cselect_b32 s17, -1, 0
	s_and_b32 s16, s16, s17
	s_andn2_b32 vcc_lo, exec_lo, s16
	s_cbranch_vccnz .LBB3_24
; %bb.8:
	s_load_dwordx4 s[16:19], s[4:5], 0x0
	s_mov_b32 s4, 0
	s_lshl_b32 s20, s9, 8
	s_mov_b32 s21, s4
	s_lshl_b32 s5, s7, 3
	s_lshl_b64 s[20:21], s[20:21], 2
	s_mul_i32 s0, s15, s0
	s_add_i32 s15, s5, s8
	s_mul_i32 s22, s22, s2
	v_cvt_f32_u32_e32 v4, s9
	v_rcp_iflag_f32_e32 v4, v4
	s_waitcnt lgkmcnt(0)
	s_add_u32 s20, s18, s20
	s_addc_u32 s21, s19, s21
	s_add_i32 s0, s0, s7
	s_mul_i32 s0, s0, s1
	s_mul_i32 s1, s1, s23
	s_add_i32 s0, s0, s8
	s_lshl_b32 s1, s1, 10
	s_add_i32 s0, s0, s22
	v_mul_f32_e32 v4, 0x4f7ffffe, v4
	s_add_i32 s0, s0, s24
	s_lshl_b32 s0, s0, 7
	s_add_i32 s1, s1, s0
	s_lshl_b32 s0, s6, 6
	v_or_b32_e32 v1, s1, v0
	s_add_i32 s0, s15, s0
	v_lshl_or_b32 v0, s15, 7, v0
	s_ashr_i32 s1, s0, 31
	v_cvt_u32_f32_e32 v4, v4
	v_ashrrev_i32_e32 v2, 31, v1
	s_lshl_b64 s[0:1], s[0:1], 3
	s_add_u32 s0, s18, s0
	s_addc_u32 s1, s19, s1
	v_lshlrev_b64 v[1:2], 2, v[1:2]
	s_load_dwordx2 s[0:1], s[0:1], 0x0
	s_add_i32 s8, s6, -1
	s_sub_i32 s2, 0, s9
	v_add_co_u32 v1, vcc_lo, s16, v1
	v_add_co_ci_u32_e64 v2, null, s17, v2, vcc_lo
	global_load_dword v3, v[1:2], off
	s_waitcnt lgkmcnt(0)
	v_mov_b32_e32 v5, s1
	v_mov_b32_e32 v6, s0
.LBB3_9:                                ; =>This Inner Loop Header: Depth=1
	s_mul_hi_i32 s5, s8, s3
	s_mul_i32 s6, s8, s3
	s_cmp_lg_u64 s[4:5], 0
	s_mov_b32 s7, -1
                                        ; implicit-def: $sgpr0_sgpr1
	s_cbranch_scc0 .LBB3_11
; %bb.10:                               ;   in Loop: Header=BB3_9 Depth=1
	s_add_u32 s0, s9, 0
	s_addc_u32 s1, 0, 0
	s_xor_b64 s[0:1], s[0:1], 0
	v_cvt_f32_u32_e32 v7, s0
	v_cvt_f32_u32_e32 v8, s1
	s_sub_u32 s17, 0, s0
	s_subb_u32 s22, 0, s1
	v_fmac_f32_e32 v7, 0x4f800000, v8
	v_rcp_f32_e32 v7, v7
	v_mul_f32_e32 v7, 0x5f7ffffc, v7
	v_mul_f32_e32 v8, 0x2f800000, v7
	v_trunc_f32_e32 v8, v8
	v_fmac_f32_e32 v7, 0xcf800000, v8
	v_cvt_u32_f32_e32 v8, v8
	v_cvt_u32_f32_e32 v7, v7
	v_readfirstlane_b32 s7, v8
	v_readfirstlane_b32 s16, v7
	s_mul_i32 s23, s17, s7
	s_mul_hi_u32 s25, s17, s16
	s_mul_i32 s24, s22, s16
	s_add_i32 s23, s25, s23
	s_mul_i32 s26, s17, s16
	s_add_i32 s23, s23, s24
	s_mul_hi_u32 s25, s16, s26
	s_mul_i32 s28, s16, s23
	s_mul_hi_u32 s27, s7, s26
	s_mul_i32 s24, s7, s26
	s_mul_hi_u32 s26, s16, s23
	s_add_u32 s25, s25, s28
	s_addc_u32 s26, 0, s26
	s_mul_hi_u32 s29, s7, s23
	s_add_u32 s24, s25, s24
	s_mul_i32 s23, s7, s23
	s_addc_u32 s24, s26, s27
	s_addc_u32 s25, s29, 0
	s_add_u32 s23, s24, s23
	s_addc_u32 s24, 0, s25
	s_add_u32 s16, s16, s23
	s_cselect_b32 s23, -1, 0
	s_mul_hi_u32 s25, s17, s16
	s_cmp_lg_u32 s23, 0
	s_mul_i32 s23, s17, s16
	s_addc_u32 s7, s7, s24
	s_mul_i32 s22, s22, s16
	s_mul_i32 s17, s17, s7
	s_mul_hi_u32 s24, s16, s23
	s_add_i32 s17, s25, s17
	s_mul_hi_u32 s25, s7, s23
	s_add_i32 s17, s17, s22
	s_mul_i32 s22, s7, s23
	s_mul_i32 s27, s16, s17
	s_mul_hi_u32 s26, s16, s17
	s_add_u32 s24, s24, s27
	s_addc_u32 s26, 0, s26
	s_mul_hi_u32 s23, s7, s17
	s_add_u32 s22, s24, s22
	s_mul_i32 s17, s7, s17
	s_addc_u32 s22, s26, s25
	s_addc_u32 s23, s23, 0
	s_add_u32 s17, s22, s17
	s_addc_u32 s22, 0, s23
	s_add_u32 s24, s16, s17
	s_cselect_b32 s16, -1, 0
	s_cmp_lg_u32 s16, 0
	s_addc_u32 s7, s7, s22
	s_ashr_i32 s16, s5, 31
	s_add_u32 s22, s6, s16
	s_mov_b32 s17, s16
	s_addc_u32 s23, s5, s16
	s_xor_b64 s[22:23], s[22:23], s[16:17]
	s_mul_i32 s25, s22, s7
	s_mul_hi_u32 s26, s22, s24
	s_mul_hi_u32 s5, s22, s7
	;; [unrolled: 1-line block ×3, first 2 shown]
	s_mul_i32 s24, s23, s24
	s_add_u32 s25, s26, s25
	s_addc_u32 s5, 0, s5
	s_mul_hi_u32 s27, s23, s7
	s_add_u32 s24, s25, s24
	s_mul_i32 s7, s23, s7
	s_addc_u32 s5, s5, s28
	s_addc_u32 s24, s27, 0
	s_add_u32 s5, s5, s7
	s_addc_u32 s7, 0, s24
	s_mul_hi_u32 s24, s0, s5
	s_mul_i32 s25, s0, s7
	s_mul_i32 s26, s1, s5
	s_add_i32 s24, s24, s25
	s_mul_i32 s25, s0, s5
	s_add_i32 s24, s24, s26
	s_sub_i32 s26, s23, s24
	s_sub_u32 s22, s22, s25
	s_cselect_b32 s25, -1, 0
	s_cmp_lg_u32 s25, 0
	s_subb_u32 s26, s26, s1
	s_sub_u32 s27, s22, s0
	s_cselect_b32 s28, -1, 0
	s_cmp_lg_u32 s28, 0
	s_subb_u32 s26, s26, 0
	s_cmp_ge_u32 s26, s1
	s_cselect_b32 s28, -1, 0
	s_cmp_ge_u32 s27, s0
	s_cselect_b32 s27, -1, 0
	s_cmp_eq_u32 s26, s1
	s_cselect_b32 s26, s27, s28
	s_add_u32 s27, s5, 1
	s_addc_u32 s28, s7, 0
	s_add_u32 s29, s5, 2
	s_addc_u32 s30, s7, 0
	s_cmp_lg_u32 s26, 0
	s_cselect_b32 s26, s29, s27
	s_cselect_b32 s27, s30, s28
	s_cmp_lg_u32 s25, 0
	s_subb_u32 s23, s23, s24
	s_cmp_ge_u32 s23, s1
	s_cselect_b32 s24, -1, 0
	s_cmp_ge_u32 s22, s0
	s_cselect_b32 s0, -1, 0
	s_cmp_eq_u32 s23, s1
	s_cselect_b32 s0, s0, s24
	s_cmp_lg_u32 s0, 0
	s_cselect_b32 s1, s27, s7
	s_cselect_b32 s0, s26, s5
	s_xor_b64 s[16:17], s[16:17], 0
	s_mov_b32 s7, 0
	s_xor_b64 s[0:1], s[0:1], s[16:17]
	s_sub_u32 s0, s0, s16
.LBB3_11:                               ;   in Loop: Header=BB3_9 Depth=1
	s_andn2_b32 vcc_lo, exec_lo, s7
	s_cbranch_vccnz .LBB3_13
; %bb.12:                               ;   in Loop: Header=BB3_9 Depth=1
	v_readfirstlane_b32 s0, v4
	s_mul_i32 s1, s2, s0
	s_mul_hi_u32 s1, s0, s1
	s_add_i32 s0, s0, s1
	s_mul_hi_u32 s0, s6, s0
	s_mul_i32 s1, s0, s9
	s_add_i32 s5, s0, 1
	s_sub_i32 s1, s6, s1
	s_sub_i32 s6, s1, s9
	s_cmp_ge_u32 s1, s9
	s_cselect_b32 s0, s5, s0
	s_cselect_b32 s1, s6, s1
	s_add_i32 s5, s0, 1
	s_cmp_ge_u32 s1, s9
	s_cselect_b32 s0, s5, s0
.LBB3_13:                               ;   in Loop: Header=BB3_9 Depth=1
	s_cmp_lg_u32 s10, s0
	s_mov_b32 s6, -1
                                        ; implicit-def: $sgpr5
                                        ; implicit-def: $vgpr8
                                        ; implicit-def: $vgpr7
                                        ; implicit-def: $vgpr9
                                        ; implicit-def: $sgpr1
                                        ; implicit-def: $sgpr16
	s_cbranch_scc0 .LBB3_18
; %bb.14:                               ;   in Loop: Header=BB3_9 Depth=1
	s_add_i32 s1, s8, s9
	s_mov_b32 s7, s4
	s_lshl_b32 s1, s1, 6
	s_mov_b32 s16, s10
	s_add_i32 s6, s1, s15
	s_mul_hi_u32 s1, s0, s12
	s_lshl_b64 s[6:7], s[6:7], 3
	s_add_u32 s6, s18, s6
	s_addc_u32 s7, s19, s7
	s_add_i32 s1, s1, s0
	s_lshr_b32 s1, s1, s13
	s_mul_i32 s5, s1, s14
	s_cmp_eq_u32 s5, s0
	s_cselect_b32 s5, -1, 0
	s_cmp_lt_u32 s1, s11
	s_cselect_b32 s1, -1, 0
	s_or_b32 s1, s1, s5
	s_mov_b32 s5, -1
	s_and_b32 vcc_lo, exec_lo, s1
	s_mov_b32 s1, s8
	s_cbranch_vccnz .LBB3_16
; %bb.15:                               ;   in Loop: Header=BB3_9 Depth=1
	s_add_i32 s1, s8, -1
	s_mov_b32 s5, 0
	s_mov_b32 s16, s0
.LBB3_16:                               ;   in Loop: Header=BB3_9 Depth=1
	v_lshl_add_u32 v7, s8, 13, v0
	s_load_dwordx2 s[6:7], s[6:7], 0x0
	v_ashrrev_i32_e32 v8, 31, v7
	v_lshlrev_b64 v[7:8], 2, v[7:8]
	v_add_co_u32 v7, vcc_lo, s20, v7
	v_add_co_ci_u32_e64 v8, null, s21, v8, vcc_lo
	s_waitcnt lgkmcnt(0)
	v_max_f32_e64 v9, s6, s6
	global_load_dword v8, v[7:8], off
	v_max_f32_e32 v7, v6, v6
	v_max_f32_e32 v7, v7, v9
	v_sub_f32_e32 v9, s6, v7
	v_sub_f32_e32 v10, v6, v7
	v_mul_f32_e32 v11, 0x3fb8aa3b, v9
	v_mul_f32_e32 v12, 0x3fb8aa3b, v10
	v_cmp_ngt_f32_e32 vcc_lo, 0xc2ce8ed0, v9
	v_fma_f32 v13, 0x3fb8aa3b, v9, -v11
	v_rndne_f32_e32 v14, v11
	v_fma_f32 v15, 0x3fb8aa3b, v10, -v12
	v_rndne_f32_e32 v16, v12
	v_fmac_f32_e32 v13, 0x32a5705f, v9
	v_sub_f32_e32 v11, v11, v14
	v_fmac_f32_e32 v15, 0x32a5705f, v10
	v_sub_f32_e32 v12, v12, v16
	v_add_f32_e32 v11, v11, v13
	v_cvt_i32_f32_e32 v13, v14
	v_add_f32_e32 v12, v12, v15
	v_cvt_i32_f32_e32 v14, v16
	v_exp_f32_e32 v11, v11
	v_exp_f32_e32 v12, v12
	v_ldexp_f32 v11, v11, v13
	v_ldexp_f32 v12, v12, v14
	v_cndmask_b32_e32 v11, 0, v11, vcc_lo
	v_cmp_ngt_f32_e32 vcc_lo, 0xc2ce8ed0, v10
	v_cndmask_b32_e32 v12, 0, v12, vcc_lo
	v_cmp_nlt_f32_e32 vcc_lo, 0x42b17218, v9
	v_cndmask_b32_e32 v11, 0x7f800000, v11, vcc_lo
	v_cmp_nlt_f32_e32 vcc_lo, 0x42b17218, v10
	v_cndmask_b32_e32 v12, 0x7f800000, v12, vcc_lo
	v_cmp_le_f32_e32 vcc_lo, 0xc1a00000, v9
	v_cndmask_b32_e32 v9, 0, v11, vcc_lo
	v_cmp_le_f32_e32 vcc_lo, 0xc1a00000, v10
	v_cndmask_b32_e32 v10, 0, v12, vcc_lo
	s_waitcnt vmcnt(0)
	v_mul_f32_e32 v8, v8, v9
	v_mul_f32_e32 v9, s7, v9
	v_fmac_f32_e32 v8, v3, v10
	v_fmac_f32_e32 v9, v5, v10
	s_cbranch_execz .LBB3_19
.LBB3_17:                               ;   in Loop: Header=BB3_9 Depth=1
	s_andn2_b32 vcc_lo, exec_lo, s5
	s_cbranch_vccnz .LBB3_20
	s_branch .LBB3_23
.LBB3_18:                               ;   in Loop: Header=BB3_9 Depth=1
	s_andn2_b32 vcc_lo, exec_lo, s6
	s_cbranch_vccnz .LBB3_17
.LBB3_19:                               ;   in Loop: Header=BB3_9 Depth=1
	v_mov_b32_e32 v9, v5
	v_mov_b32_e32 v7, v6
	s_waitcnt vmcnt(0)
	v_mov_b32_e32 v8, v3
	s_add_i32 s1, s8, -1
	s_mov_b32 s16, s10
	s_cbranch_execz .LBB3_23
.LBB3_20:                               ;   in Loop: Header=BB3_9 Depth=1
	v_mov_b32_e32 v5, v9
	v_mov_b32_e32 v6, v7
	s_waitcnt vmcnt(0)
	v_mov_b32_e32 v3, v8
	s_mov_b32 s10, s16
	s_mov_b32 s8, s1
	s_branch .LBB3_9
.LBB3_21:
                                        ; implicit-def: $sgpr10_sgpr11
	s_load_dwordx4 s[12:15], s[4:5], 0x44
	s_branch .LBB3_2
.LBB3_22:
                                        ; implicit-def: $sgpr18_sgpr19
	s_branch .LBB3_5
.LBB3_23:
	v_div_scale_f32 v0, null, v9, v9, v8
	s_waitcnt vmcnt(0)
	v_rcp_f32_e32 v3, v0
	v_fma_f32 v4, -v0, v3, 1.0
	v_fmac_f32_e32 v3, v4, v3
	v_div_scale_f32 v4, vcc_lo, v8, v9, v8
	v_mul_f32_e32 v5, v4, v3
	v_fma_f32 v6, -v0, v5, v4
	v_fmac_f32_e32 v5, v6, v3
	v_fma_f32 v0, -v0, v5, v4
	v_div_fmas_f32 v0, v0, v3, v5
	v_div_fixup_f32 v0, v0, v9, v8
	global_store_dword v[1:2], v0, off
.LBB3_24:
	s_endpgm
	.section	.rodata,"a",@progbits
	.p2align	6, 0x0
	.amdhsa_kernel _ZL33flash_attn_stream_k_fixup_generalILi128ELi8ELi8EEvPfPK15HIP_vector_typeIfLj2EEiiiiS1_IjLj3EES5_S5_S5_
		.amdhsa_group_segment_fixed_size 0
		.amdhsa_private_segment_fixed_size 0
		.amdhsa_kernarg_size 336
		.amdhsa_user_sgpr_count 6
		.amdhsa_user_sgpr_private_segment_buffer 1
		.amdhsa_user_sgpr_dispatch_ptr 0
		.amdhsa_user_sgpr_queue_ptr 0
		.amdhsa_user_sgpr_kernarg_segment_ptr 1
		.amdhsa_user_sgpr_dispatch_id 0
		.amdhsa_user_sgpr_flat_scratch_init 0
		.amdhsa_user_sgpr_private_segment_size 0
		.amdhsa_wavefront_size32 1
		.amdhsa_uses_dynamic_stack 0
		.amdhsa_system_sgpr_private_segment_wavefront_offset 0
		.amdhsa_system_sgpr_workgroup_id_x 1
		.amdhsa_system_sgpr_workgroup_id_y 1
		.amdhsa_system_sgpr_workgroup_id_z 1
		.amdhsa_system_sgpr_workgroup_info 0
		.amdhsa_system_vgpr_workitem_id 0
		.amdhsa_next_free_vgpr 17
		.amdhsa_next_free_sgpr 31
		.amdhsa_reserve_vcc 1
		.amdhsa_reserve_flat_scratch 0
		.amdhsa_float_round_mode_32 0
		.amdhsa_float_round_mode_16_64 0
		.amdhsa_float_denorm_mode_32 3
		.amdhsa_float_denorm_mode_16_64 3
		.amdhsa_dx10_clamp 1
		.amdhsa_ieee_mode 1
		.amdhsa_fp16_overflow 0
		.amdhsa_workgroup_processor_mode 1
		.amdhsa_memory_ordered 1
		.amdhsa_forward_progress 1
		.amdhsa_shared_vgpr_count 0
		.amdhsa_exception_fp_ieee_invalid_op 0
		.amdhsa_exception_fp_denorm_src 0
		.amdhsa_exception_fp_ieee_div_zero 0
		.amdhsa_exception_fp_ieee_overflow 0
		.amdhsa_exception_fp_ieee_underflow 0
		.amdhsa_exception_fp_ieee_inexact 0
		.amdhsa_exception_int_div_zero 0
	.end_amdhsa_kernel
	.section	.text._ZL33flash_attn_stream_k_fixup_generalILi128ELi8ELi8EEvPfPK15HIP_vector_typeIfLj2EEiiiiS1_IjLj3EES5_S5_S5_,"axG",@progbits,_ZL33flash_attn_stream_k_fixup_generalILi128ELi8ELi8EEvPfPK15HIP_vector_typeIfLj2EEiiiiS1_IjLj3EES5_S5_S5_,comdat
.Lfunc_end3:
	.size	_ZL33flash_attn_stream_k_fixup_generalILi128ELi8ELi8EEvPfPK15HIP_vector_typeIfLj2EEiiiiS1_IjLj3EES5_S5_S5_, .Lfunc_end3-_ZL33flash_attn_stream_k_fixup_generalILi128ELi8ELi8EEvPfPK15HIP_vector_typeIfLj2EEiiiiS1_IjLj3EES5_S5_S5_
                                        ; -- End function
	.set _ZL33flash_attn_stream_k_fixup_generalILi128ELi8ELi8EEvPfPK15HIP_vector_typeIfLj2EEiiiiS1_IjLj3EES5_S5_S5_.num_vgpr, 17
	.set _ZL33flash_attn_stream_k_fixup_generalILi128ELi8ELi8EEvPfPK15HIP_vector_typeIfLj2EEiiiiS1_IjLj3EES5_S5_S5_.num_agpr, 0
	.set _ZL33flash_attn_stream_k_fixup_generalILi128ELi8ELi8EEvPfPK15HIP_vector_typeIfLj2EEiiiiS1_IjLj3EES5_S5_S5_.numbered_sgpr, 31
	.set _ZL33flash_attn_stream_k_fixup_generalILi128ELi8ELi8EEvPfPK15HIP_vector_typeIfLj2EEiiiiS1_IjLj3EES5_S5_S5_.num_named_barrier, 0
	.set _ZL33flash_attn_stream_k_fixup_generalILi128ELi8ELi8EEvPfPK15HIP_vector_typeIfLj2EEiiiiS1_IjLj3EES5_S5_S5_.private_seg_size, 0
	.set _ZL33flash_attn_stream_k_fixup_generalILi128ELi8ELi8EEvPfPK15HIP_vector_typeIfLj2EEiiiiS1_IjLj3EES5_S5_S5_.uses_vcc, 1
	.set _ZL33flash_attn_stream_k_fixup_generalILi128ELi8ELi8EEvPfPK15HIP_vector_typeIfLj2EEiiiiS1_IjLj3EES5_S5_S5_.uses_flat_scratch, 0
	.set _ZL33flash_attn_stream_k_fixup_generalILi128ELi8ELi8EEvPfPK15HIP_vector_typeIfLj2EEiiiiS1_IjLj3EES5_S5_S5_.has_dyn_sized_stack, 0
	.set _ZL33flash_attn_stream_k_fixup_generalILi128ELi8ELi8EEvPfPK15HIP_vector_typeIfLj2EEiiiiS1_IjLj3EES5_S5_S5_.has_recursion, 0
	.set _ZL33flash_attn_stream_k_fixup_generalILi128ELi8ELi8EEvPfPK15HIP_vector_typeIfLj2EEiiiiS1_IjLj3EES5_S5_S5_.has_indirect_call, 0
	.section	.AMDGPU.csdata,"",@progbits
; Kernel info:
; codeLenInByte = 2944
; TotalNumSgprs: 33
; NumVgprs: 17
; ScratchSize: 0
; MemoryBound: 0
; FloatMode: 240
; IeeeMode: 1
; LDSByteSize: 0 bytes/workgroup (compile time only)
; SGPRBlocks: 0
; VGPRBlocks: 2
; NumSGPRsForWavesPerEU: 33
; NumVGPRsForWavesPerEU: 17
; Occupancy: 16
; WaveLimiterHint : 0
; COMPUTE_PGM_RSRC2:SCRATCH_EN: 0
; COMPUTE_PGM_RSRC2:USER_SGPR: 6
; COMPUTE_PGM_RSRC2:TRAP_HANDLER: 0
; COMPUTE_PGM_RSRC2:TGID_X_EN: 1
; COMPUTE_PGM_RSRC2:TGID_Y_EN: 1
; COMPUTE_PGM_RSRC2:TGID_Z_EN: 1
; COMPUTE_PGM_RSRC2:TIDIG_COMP_CNT: 0
	.section	.text._ZL26flash_attn_combine_resultsILi128EEvPKfPK15HIP_vector_typeIfLj2EEPfi,"axG",@progbits,_ZL26flash_attn_combine_resultsILi128EEvPKfPK15HIP_vector_typeIfLj2EEPfi,comdat
	.globl	_ZL26flash_attn_combine_resultsILi128EEvPKfPK15HIP_vector_typeIfLj2EEPfi ; -- Begin function _ZL26flash_attn_combine_resultsILi128EEvPKfPK15HIP_vector_typeIfLj2EEPfi
	.p2align	8
	.type	_ZL26flash_attn_combine_resultsILi128EEvPKfPK15HIP_vector_typeIfLj2EEPfi,@function
_ZL26flash_attn_combine_resultsILi128EEvPKfPK15HIP_vector_typeIfLj2EEPfi: ; @_ZL26flash_attn_combine_resultsILi128EEvPKfPK15HIP_vector_typeIfLj2EEPfi
; %bb.0:
	s_clause 0x3
	s_load_dwordx2 s[2:3], s[4:5], 0x20
	s_load_dword s9, s[4:5], 0x18
	s_load_dwordx4 s[12:15], s[4:5], 0x0
	s_load_dwordx2 s[10:11], s[4:5], 0x10
	v_lshlrev_b32_e32 v5, 2, v0
	s_mov_b32 s4, exec_lo
	s_waitcnt lgkmcnt(0)
	s_mul_i32 s0, s2, s8
	s_lshl_b32 s1, s9, 1
	s_add_i32 s0, s0, s6
	s_mul_i32 s6, s0, s3
	s_add_i32 s6, s6, s7
	s_mul_i32 s2, s6, s9
	v_cmpx_gt_i32_e64 s1, v0
	s_cbranch_execz .LBB4_3
; %bb.1:
	s_ashr_i32 s3, s2, 31
	v_add_nc_u32_e32 v3, 0, v5
	s_lshl_b64 s[16:17], s[2:3], 3
	v_mov_b32_e32 v4, v0
	s_add_u32 s0, s14, s16
	s_addc_u32 s3, s15, s17
	v_add_co_u32 v1, s0, s0, v5
	v_add_co_ci_u32_e64 v2, null, s3, 0, s0
	s_mov_b32 s3, 0
	.p2align	6
.LBB4_2:                                ; =>This Inner Loop Header: Depth=1
	global_load_dword v6, v[1:2], off
	v_add_nc_u32_e32 v4, 0x80, v4
	v_add_co_u32 v1, vcc_lo, 0x200, v1
	v_add_co_ci_u32_e64 v2, null, 0, v2, vcc_lo
	v_cmp_le_i32_e64 s0, s1, v4
	s_or_b32 s3, s0, s3
	s_waitcnt vmcnt(0)
	ds_write_b32 v3, v6
	v_add_nc_u32_e32 v3, 0x200, v3
	s_andn2_b32 exec_lo, exec_lo, s3
	s_cbranch_execnz .LBB4_2
.LBB4_3:
	s_or_b32 exec_lo, exec_lo, s4
	v_mov_b32_e32 v1, 0
	s_waitcnt lgkmcnt(0)
	s_barrier
	buffer_gl0_inv
	s_cmp_lt_i32 s9, 2
	ds_read_b32 v6, v1
	s_cbranch_scc1 .LBB4_11
; %bb.4:
	s_add_i32 s1, s9, -2
	s_add_i32 s0, s9, -1
	s_cmp_lt_u32 s1, 7
	s_cbranch_scc1 .LBB4_8
; %bb.5:
	s_mov_b32 s3, 0
	s_add_i32 s1, 0, 8
	s_and_b32 s4, s0, -8
	.p2align	6
.LBB4_6:                                ; =>This Inner Loop Header: Depth=1
	v_mov_b32_e32 v9, s1
	s_mov_b32 s5, s3
	s_add_i32 s3, s3, 8
	s_add_i32 s1, s1, 64
	s_cmp_eq_u32 s4, s3
	ds_read2_b32 v[1:2], v9 offset1:2
	ds_read2_b32 v[3:4], v9 offset0:4 offset1:6
	ds_read2_b32 v[7:8], v9 offset0:8 offset1:10
	;; [unrolled: 1-line block ×3, first 2 shown]
	s_waitcnt lgkmcnt(3)
	v_max3_f32 v1, v6, v1, v2
	s_waitcnt lgkmcnt(2)
	v_max3_f32 v1, v1, v3, v4
	;; [unrolled: 2-line block ×4, first 2 shown]
	s_cbranch_scc0 .LBB4_6
; %bb.7:
	s_add_i32 s1, s5, 9
	s_and_b32 s0, s0, 7
	s_cmp_eq_u32 s0, 0
	s_cbranch_scc0 .LBB4_9
	s_branch .LBB4_11
.LBB4_8:
	s_mov_b32 s1, 1
	s_and_b32 s0, s0, 7
	s_cmp_eq_u32 s0, 0
	s_cbranch_scc1 .LBB4_11
.LBB4_9:
	s_lshl_b32 s1, s1, 3
	s_add_i32 s1, s1, 0
.LBB4_10:                               ; =>This Inner Loop Header: Depth=1
	v_mov_b32_e32 v1, s1
	s_waitcnt lgkmcnt(0)
	v_max_f32_e32 v2, v6, v6
	s_add_i32 s0, s0, -1
	s_add_i32 s1, s1, 8
	s_cmp_lg_u32 s0, 0
	ds_read_b32 v1, v1
	s_waitcnt lgkmcnt(0)
	v_max_f32_e32 v1, v1, v1
	v_max_f32_e32 v6, v2, v1
	s_cbranch_scc1 .LBB4_10
.LBB4_11:
	s_cmp_lt_i32 s9, 1
	s_cbranch_scc1 .LBB4_16
; %bb.12:
	s_lshl_b32 s0, s2, 7
	s_ashr_i32 s1, s0, 31
	s_lshl_b64 s[0:1], s[0:1], 2
	s_add_u32 s7, s12, s0
	s_addc_u32 s8, s13, s1
	s_cmp_lt_u32 s9, 8
	s_cbranch_scc1 .LBB4_17
; %bb.13:
	v_or_b32_e32 v1, 0x380, v0
	v_mov_b32_e32 v4, 0
	v_mov_b32_e32 v7, 0
	;; [unrolled: 1-line block ×3, first 2 shown]
	s_and_b32 s12, s9, 0x7ffffff8
	s_mov_b32 s13, 0
	s_mov_b32 s14, 0
.LBB4_14:                               ; =>This Inner Loop Header: Depth=1
	v_add_nc_u32_e32 v3, 0xfffffc80, v1
	v_mov_b32_e32 v2, v4
	v_mov_b32_e32 v21, s14
	s_add_i32 s13, s13, 8
	s_add_i32 s14, s14, 64
	v_lshlrev_b64 v[9:10], 2, v[3:4]
	v_add_nc_u32_e32 v3, 0xfffffd00, v1
	v_lshlrev_b64 v[11:12], 2, v[1:2]
	s_cmp_eq_u32 s12, s13
	v_lshlrev_b64 v[13:14], 2, v[3:4]
	v_add_nc_u32_e32 v3, 0xfffffd80, v1
	v_add_co_u32 v9, vcc_lo, s7, v9
	v_add_co_ci_u32_e64 v10, null, s8, v10, vcc_lo
	v_add_co_u32 v13, vcc_lo, s7, v13
	v_lshlrev_b64 v[15:16], 2, v[3:4]
	v_add_nc_u32_e32 v3, 0xfffffe00, v1
	v_add_co_ci_u32_e64 v14, null, s8, v14, vcc_lo
	s_clause 0x1
	global_load_dword v25, v[9:10], off
	global_load_dword v26, v[13:14], off
	v_lshlrev_b64 v[9:10], 2, v[3:4]
	v_add_nc_u32_e32 v3, 0xfffffe80, v1
	v_add_co_u32 v13, vcc_lo, s7, v15
	v_add_co_ci_u32_e64 v14, null, s8, v16, vcc_lo
	v_add_co_u32 v9, vcc_lo, s7, v9
	v_lshlrev_b64 v[15:16], 2, v[3:4]
	v_add_nc_u32_e32 v3, 0xffffff00, v1
	v_add_co_ci_u32_e64 v10, null, s8, v10, vcc_lo
	s_clause 0x1
	global_load_dword v27, v[13:14], off
	global_load_dword v28, v[9:10], off
	v_lshlrev_b64 v[13:14], 2, v[3:4]
	v_add_nc_u32_e32 v3, 0xffffff80, v1
	v_add_co_u32 v9, vcc_lo, s7, v15
	v_add_co_ci_u32_e64 v10, null, s8, v16, vcc_lo
	v_add_co_u32 v13, vcc_lo, s7, v13
	v_lshlrev_b64 v[2:3], 2, v[3:4]
	v_add_co_ci_u32_e64 v14, null, s8, v14, vcc_lo
	s_clause 0x1
	global_load_dword v29, v[9:10], off
	global_load_dword v30, v[13:14], off
	v_add_co_u32 v2, vcc_lo, s7, v2
	v_add_co_ci_u32_e64 v3, null, s8, v3, vcc_lo
	v_add_co_u32 v9, vcc_lo, s7, v11
	v_add_co_ci_u32_e64 v10, null, s8, v12, vcc_lo
	s_clause 0x1
	global_load_dword v2, v[2:3], off
	global_load_dword v3, v[9:10], off
	ds_read2_b64 v[9:12], v21 offset1:1
	ds_read2_b64 v[13:16], v21 offset0:2 offset1:3
	ds_read2_b64 v[17:20], v21 offset0:4 offset1:5
	;; [unrolled: 1-line block ×3, first 2 shown]
	v_add_nc_u32_e32 v1, 0x400, v1
	s_waitcnt lgkmcnt(3)
	v_sub_f32_e32 v9, v9, v6
	v_sub_f32_e32 v11, v11, v6
	s_waitcnt lgkmcnt(2)
	v_sub_f32_e32 v13, v13, v6
	v_sub_f32_e32 v15, v15, v6
	s_waitcnt lgkmcnt(1)
	v_sub_f32_e32 v17, v17, v6
	v_mul_f32_e32 v31, 0x3fb8aa3b, v9
	v_mul_f32_e32 v32, 0x3fb8aa3b, v11
	;; [unrolled: 1-line block ×4, first 2 shown]
	v_sub_f32_e32 v19, v19, v6
	v_fma_f32 v39, 0x3fb8aa3b, v9, -v31
	v_rndne_f32_e32 v40, v31
	v_fma_f32 v41, 0x3fb8aa3b, v11, -v32
	v_rndne_f32_e32 v42, v32
	v_fma_f32 v43, 0x3fb8aa3b, v13, -v33
	v_fmac_f32_e32 v39, 0x32a5705f, v9
	v_sub_f32_e32 v31, v31, v40
	v_rndne_f32_e32 v44, v33
	v_fmac_f32_e32 v41, 0x32a5705f, v11
	v_sub_f32_e32 v32, v32, v42
	v_fmac_f32_e32 v43, 0x32a5705f, v13
	v_add_f32_e32 v31, v31, v39
	v_sub_f32_e32 v33, v33, v44
	v_mul_f32_e32 v35, 0x3fb8aa3b, v17
	v_add_f32_e32 v32, v32, v41
	v_fma_f32 v45, 0x3fb8aa3b, v15, -v34
	v_exp_f32_e32 v31, v31
	v_rndne_f32_e32 v46, v34
	v_add_f32_e32 v33, v33, v43
	v_cvt_i32_f32_e32 v40, v40
	v_exp_f32_e32 v32, v32
	s_waitcnt lgkmcnt(0)
	v_sub_f32_e32 v21, v21, v6
	v_mul_f32_e32 v36, 0x3fb8aa3b, v19
	v_fma_f32 v47, 0x3fb8aa3b, v17, -v35
	v_rndne_f32_e32 v48, v35
	v_cvt_i32_f32_e32 v42, v42
	v_fmac_f32_e32 v45, 0x32a5705f, v15
	v_sub_f32_e32 v34, v34, v46
	v_exp_f32_e32 v33, v33
	v_ldexp_f32 v31, v31, v40
	v_cmp_ngt_f32_e64 s5, 0xc2ce8ed0, v9
	v_sub_f32_e32 v23, v23, v6
	v_mul_f32_e32 v37, 0x3fb8aa3b, v21
	v_fma_f32 v49, 0x3fb8aa3b, v19, -v36
	v_rndne_f32_e32 v50, v36
	v_cvt_i32_f32_e32 v44, v44
	v_fmac_f32_e32 v47, 0x32a5705f, v17
	v_sub_f32_e32 v35, v35, v48
	v_add_f32_e32 v34, v34, v45
	v_ldexp_f32 v32, v32, v42
	v_cndmask_b32_e64 v31, 0, v31, s5
	v_cmp_ngt_f32_e64 s5, 0xc2ce8ed0, v11
	v_mul_f32_e32 v38, 0x3fb8aa3b, v23
	v_fma_f32 v51, 0x3fb8aa3b, v21, -v37
	v_rndne_f32_e32 v39, v37
	v_fmac_f32_e32 v49, 0x32a5705f, v19
	v_sub_f32_e32 v36, v36, v50
	v_add_f32_e32 v35, v35, v47
	v_exp_f32_e32 v34, v34
	v_ldexp_f32 v33, v33, v44
	v_cmp_ngt_f32_e32 vcc_lo, 0xc2ce8ed0, v13
	v_cndmask_b32_e64 v32, 0, v32, s5
	v_cmp_nlt_f32_e64 s5, 0x42b17218, v9
	v_fma_f32 v41, 0x3fb8aa3b, v23, -v38
	v_rndne_f32_e32 v43, v38
	v_cvt_i32_f32_e32 v46, v46
	v_fmac_f32_e32 v51, 0x32a5705f, v21
	v_sub_f32_e32 v37, v37, v39
	v_add_f32_e32 v36, v36, v49
	v_exp_f32_e32 v35, v35
	v_cndmask_b32_e64 v9, 0x7f800000, v31, s5
	v_cndmask_b32_e32 v31, 0, v33, vcc_lo
	v_cmp_nlt_f32_e32 vcc_lo, 0x42b17218, v11
	v_cvt_i32_f32_e32 v48, v48
	v_fmac_f32_e32 v41, 0x32a5705f, v23
	v_sub_f32_e32 v38, v38, v43
	v_add_f32_e32 v37, v37, v51
	v_exp_f32_e32 v36, v36
	v_ldexp_f32 v34, v34, v46
	v_cmp_ngt_f32_e64 s0, 0xc2ce8ed0, v15
	v_cndmask_b32_e32 v11, 0x7f800000, v32, vcc_lo
	v_fmac_f32_e32 v8, v9, v10
	v_cmp_nlt_f32_e32 vcc_lo, 0x42b17218, v13
	v_cvt_i32_f32_e32 v50, v50
	v_add_f32_e32 v38, v38, v41
	v_exp_f32_e32 v37, v37
	v_ldexp_f32 v35, v35, v48
	v_cmp_ngt_f32_e64 s1, 0xc2ce8ed0, v17
	v_cndmask_b32_e32 v10, 0x7f800000, v31, vcc_lo
	v_fmac_f32_e32 v8, v11, v12
	v_cmp_nlt_f32_e32 vcc_lo, 0x42b17218, v15
	v_cvt_i32_f32_e32 v39, v39
	v_exp_f32_e32 v38, v38
	v_ldexp_f32 v36, v36, v50
	v_cmp_ngt_f32_e64 s2, 0xc2ce8ed0, v19
	v_fmac_f32_e32 v8, v10, v14
	v_cvt_i32_f32_e32 v43, v43
	v_ldexp_f32 v37, v37, v39
	v_cmp_ngt_f32_e64 s3, 0xc2ce8ed0, v21
	v_cmp_ngt_f32_e64 s4, 0xc2ce8ed0, v23
	v_ldexp_f32 v38, v38, v43
	s_waitcnt vmcnt(7)
	v_fmac_f32_e32 v7, v25, v9
	v_cndmask_b32_e64 v9, 0, v34, s0
	s_waitcnt vmcnt(6)
	v_fmac_f32_e32 v7, v26, v11
	v_cndmask_b32_e64 v11, 0, v35, s1
	v_cndmask_b32_e32 v9, 0x7f800000, v9, vcc_lo
	v_cmp_nlt_f32_e32 vcc_lo, 0x42b17218, v17
	v_fmac_f32_e32 v8, v9, v16
	v_cndmask_b32_e32 v11, 0x7f800000, v11, vcc_lo
	v_cmp_nlt_f32_e32 vcc_lo, 0x42b17218, v19
	s_waitcnt vmcnt(5)
	v_fmac_f32_e32 v7, v27, v10
	v_cndmask_b32_e64 v10, 0, v36, s2
	v_fmac_f32_e32 v8, v11, v18
	s_waitcnt vmcnt(4)
	v_fmac_f32_e32 v7, v28, v9
	v_cndmask_b32_e64 v9, 0, v37, s3
	v_cndmask_b32_e32 v10, 0x7f800000, v10, vcc_lo
	v_cmp_nlt_f32_e32 vcc_lo, 0x42b17218, v21
	v_fmac_f32_e32 v8, v10, v20
	v_cndmask_b32_e32 v9, 0x7f800000, v9, vcc_lo
	v_cmp_nlt_f32_e32 vcc_lo, 0x42b17218, v23
	s_waitcnt vmcnt(3)
	v_fmac_f32_e32 v7, v29, v11
	v_cndmask_b32_e64 v11, 0, v38, s4
	v_fmac_f32_e32 v8, v9, v22
	s_waitcnt vmcnt(2)
	v_fmac_f32_e32 v7, v30, v10
	v_cndmask_b32_e32 v10, 0x7f800000, v11, vcc_lo
	s_waitcnt vmcnt(1)
	v_fmac_f32_e32 v7, v2, v9
	v_fmac_f32_e32 v8, v10, v24
	s_waitcnt vmcnt(0)
	v_fmac_f32_e32 v7, v3, v10
	s_cbranch_scc0 .LBB4_14
; %bb.15:
	s_and_b32 s0, s9, 7
	s_cmp_eq_u32 s0, 0
	s_cbranch_scc0 .LBB4_18
	s_branch .LBB4_20
.LBB4_16:
	v_mov_b32_e32 v0, 0x7fc00000
	s_branch .LBB4_21
.LBB4_17:
	v_mov_b32_e32 v7, 0
	v_mov_b32_e32 v8, 0
	s_mov_b32 s12, 0
	s_and_b32 s0, s9, 7
	s_cmp_eq_u32 s0, 0
	s_cbranch_scc1 .LBB4_20
.LBB4_18:
	v_lshl_or_b32 v0, s12, 7, v0
	v_mov_b32_e32 v1, 0
	s_lshl_b32 s1, s12, 3
	s_add_i32 s1, s1, 0
	s_inst_prefetch 0x1
	.p2align	6
.LBB4_19:                               ; =>This Inner Loop Header: Depth=1
	v_lshlrev_b64 v[2:3], 2, v[0:1]
	v_add_nc_u32_e32 v0, 0x80, v0
	s_add_i32 s0, s0, -1
	v_add_co_u32 v2, vcc_lo, s7, v2
	v_add_co_ci_u32_e64 v3, null, s8, v3, vcc_lo
	global_load_dword v4, v[2:3], off
	v_mov_b32_e32 v2, s1
	s_add_i32 s1, s1, 8
	s_cmp_lg_u32 s0, 0
	ds_read_b64 v[2:3], v2
	s_waitcnt lgkmcnt(0)
	v_sub_f32_e32 v2, v2, v6
	v_mul_f32_e32 v9, 0x3fb8aa3b, v2
	v_cmp_ngt_f32_e32 vcc_lo, 0xc2ce8ed0, v2
	v_fma_f32 v10, 0x3fb8aa3b, v2, -v9
	v_rndne_f32_e32 v11, v9
	v_fmac_f32_e32 v10, 0x32a5705f, v2
	v_sub_f32_e32 v9, v9, v11
	v_add_f32_e32 v9, v9, v10
	v_cvt_i32_f32_e32 v10, v11
	v_exp_f32_e32 v9, v9
	v_ldexp_f32 v9, v9, v10
	v_cndmask_b32_e32 v9, 0, v9, vcc_lo
	v_cmp_nlt_f32_e32 vcc_lo, 0x42b17218, v2
	v_cndmask_b32_e32 v2, 0x7f800000, v9, vcc_lo
	v_fmac_f32_e32 v8, v2, v3
	s_waitcnt vmcnt(0)
	v_fmac_f32_e32 v7, v4, v2
	s_cbranch_scc1 .LBB4_19
.LBB4_20:
	s_inst_prefetch 0x2
	v_div_scale_f32 v0, null, v8, v8, v7
	v_rcp_f32_e32 v1, v0
	v_fma_f32 v2, -v0, v1, 1.0
	v_fmac_f32_e32 v1, v2, v1
	v_div_scale_f32 v2, vcc_lo, v7, v8, v7
	v_mul_f32_e32 v3, v2, v1
	v_fma_f32 v4, -v0, v3, v2
	v_fmac_f32_e32 v3, v4, v1
	v_fma_f32 v0, -v0, v3, v2
	v_div_fmas_f32 v0, v0, v1, v3
	v_div_fixup_f32 v0, v0, v8, v7
.LBB4_21:
	s_lshl_b32 s0, s6, 7
	s_ashr_i32 s1, s0, 31
	s_lshl_b64 s[0:1], s[0:1], 2
	s_add_u32 s0, s10, s0
	s_addc_u32 s1, s11, s1
	global_store_dword v5, v0, s[0:1]
	s_endpgm
	.section	.rodata,"a",@progbits
	.p2align	6, 0x0
	.amdhsa_kernel _ZL26flash_attn_combine_resultsILi128EEvPKfPK15HIP_vector_typeIfLj2EEPfi
		.amdhsa_group_segment_fixed_size 0
		.amdhsa_private_segment_fixed_size 0
		.amdhsa_kernarg_size 288
		.amdhsa_user_sgpr_count 6
		.amdhsa_user_sgpr_private_segment_buffer 1
		.amdhsa_user_sgpr_dispatch_ptr 0
		.amdhsa_user_sgpr_queue_ptr 0
		.amdhsa_user_sgpr_kernarg_segment_ptr 1
		.amdhsa_user_sgpr_dispatch_id 0
		.amdhsa_user_sgpr_flat_scratch_init 0
		.amdhsa_user_sgpr_private_segment_size 0
		.amdhsa_wavefront_size32 1
		.amdhsa_uses_dynamic_stack 0
		.amdhsa_system_sgpr_private_segment_wavefront_offset 0
		.amdhsa_system_sgpr_workgroup_id_x 1
		.amdhsa_system_sgpr_workgroup_id_y 1
		.amdhsa_system_sgpr_workgroup_id_z 1
		.amdhsa_system_sgpr_workgroup_info 0
		.amdhsa_system_vgpr_workitem_id 0
		.amdhsa_next_free_vgpr 52
		.amdhsa_next_free_sgpr 18
		.amdhsa_reserve_vcc 1
		.amdhsa_reserve_flat_scratch 0
		.amdhsa_float_round_mode_32 0
		.amdhsa_float_round_mode_16_64 0
		.amdhsa_float_denorm_mode_32 3
		.amdhsa_float_denorm_mode_16_64 3
		.amdhsa_dx10_clamp 1
		.amdhsa_ieee_mode 1
		.amdhsa_fp16_overflow 0
		.amdhsa_workgroup_processor_mode 1
		.amdhsa_memory_ordered 1
		.amdhsa_forward_progress 1
		.amdhsa_shared_vgpr_count 0
		.amdhsa_exception_fp_ieee_invalid_op 0
		.amdhsa_exception_fp_denorm_src 0
		.amdhsa_exception_fp_ieee_div_zero 0
		.amdhsa_exception_fp_ieee_overflow 0
		.amdhsa_exception_fp_ieee_underflow 0
		.amdhsa_exception_fp_ieee_inexact 0
		.amdhsa_exception_int_div_zero 0
	.end_amdhsa_kernel
	.section	.text._ZL26flash_attn_combine_resultsILi128EEvPKfPK15HIP_vector_typeIfLj2EEPfi,"axG",@progbits,_ZL26flash_attn_combine_resultsILi128EEvPKfPK15HIP_vector_typeIfLj2EEPfi,comdat
.Lfunc_end4:
	.size	_ZL26flash_attn_combine_resultsILi128EEvPKfPK15HIP_vector_typeIfLj2EEPfi, .Lfunc_end4-_ZL26flash_attn_combine_resultsILi128EEvPKfPK15HIP_vector_typeIfLj2EEPfi
                                        ; -- End function
	.set _ZL26flash_attn_combine_resultsILi128EEvPKfPK15HIP_vector_typeIfLj2EEPfi.num_vgpr, 52
	.set _ZL26flash_attn_combine_resultsILi128EEvPKfPK15HIP_vector_typeIfLj2EEPfi.num_agpr, 0
	.set _ZL26flash_attn_combine_resultsILi128EEvPKfPK15HIP_vector_typeIfLj2EEPfi.numbered_sgpr, 18
	.set _ZL26flash_attn_combine_resultsILi128EEvPKfPK15HIP_vector_typeIfLj2EEPfi.num_named_barrier, 0
	.set _ZL26flash_attn_combine_resultsILi128EEvPKfPK15HIP_vector_typeIfLj2EEPfi.private_seg_size, 0
	.set _ZL26flash_attn_combine_resultsILi128EEvPKfPK15HIP_vector_typeIfLj2EEPfi.uses_vcc, 1
	.set _ZL26flash_attn_combine_resultsILi128EEvPKfPK15HIP_vector_typeIfLj2EEPfi.uses_flat_scratch, 0
	.set _ZL26flash_attn_combine_resultsILi128EEvPKfPK15HIP_vector_typeIfLj2EEPfi.has_dyn_sized_stack, 0
	.set _ZL26flash_attn_combine_resultsILi128EEvPKfPK15HIP_vector_typeIfLj2EEPfi.has_recursion, 0
	.set _ZL26flash_attn_combine_resultsILi128EEvPKfPK15HIP_vector_typeIfLj2EEPfi.has_indirect_call, 0
	.section	.AMDGPU.csdata,"",@progbits
; Kernel info:
; codeLenInByte = 2264
; TotalNumSgprs: 20
; NumVgprs: 52
; ScratchSize: 0
; MemoryBound: 0
; FloatMode: 240
; IeeeMode: 1
; LDSByteSize: 0 bytes/workgroup (compile time only)
; SGPRBlocks: 0
; VGPRBlocks: 6
; NumSGPRsForWavesPerEU: 20
; NumVGPRsForWavesPerEU: 52
; Occupancy: 16
; WaveLimiterHint : 0
; COMPUTE_PGM_RSRC2:SCRATCH_EN: 0
; COMPUTE_PGM_RSRC2:USER_SGPR: 6
; COMPUTE_PGM_RSRC2:TRAP_HANDLER: 0
; COMPUTE_PGM_RSRC2:TGID_X_EN: 1
; COMPUTE_PGM_RSRC2:TGID_Y_EN: 1
; COMPUTE_PGM_RSRC2:TGID_Z_EN: 1
; COMPUTE_PGM_RSRC2:TIDIG_COMP_CNT: 0
	.section	.text._ZL15flash_attn_tileILi128ELi128ELi4ELi8ELb0EEvPKcS1_S1_S1_S1_PKiPfP15HIP_vector_typeIfLj2EEffffjfiS5_IjLj3EEiiiiiiiiiiiliiliiiiil,"axG",@progbits,_ZL15flash_attn_tileILi128ELi128ELi4ELi8ELb0EEvPKcS1_S1_S1_S1_PKiPfP15HIP_vector_typeIfLj2EEffffjfiS5_IjLj3EEiiiiiiiiiiiliiliiiiil,comdat
	.globl	_ZL15flash_attn_tileILi128ELi128ELi4ELi8ELb0EEvPKcS1_S1_S1_S1_PKiPfP15HIP_vector_typeIfLj2EEffffjfiS5_IjLj3EEiiiiiiiiiiiliiliiiiil ; -- Begin function _ZL15flash_attn_tileILi128ELi128ELi4ELi8ELb0EEvPKcS1_S1_S1_S1_PKiPfP15HIP_vector_typeIfLj2EEffffjfiS5_IjLj3EEiiiiiiiiiiiliiliiiiil
	.p2align	8
	.type	_ZL15flash_attn_tileILi128ELi128ELi4ELi8ELb0EEvPKcS1_S1_S1_S1_PKiPfP15HIP_vector_typeIfLj2EEffffjfiS5_IjLj3EEiiiiiiiiiiiliiliiiiil,@function
_ZL15flash_attn_tileILi128ELi128ELi4ELi8ELb0EEvPKcS1_S1_S1_S1_PKiPfP15HIP_vector_typeIfLj2EEffffjfiS5_IjLj3EEiiiiiiiiiiiliiliiiiil: ; @_ZL15flash_attn_tileILi128ELi128ELi4ELi8ELb0EEvPKcS1_S1_S1_S1_PKiPfP15HIP_vector_typeIfLj2EEffffjfiS5_IjLj3EEiiiiiiiiiiiliiliiiiil
; %bb.0:
	s_clause 0x1
	s_load_dwordx4 s[36:39], s[4:5], 0x5c
	s_load_dwordx2 s[40:41], s[4:5], 0x80
	s_mov_b32 s34, s7
	s_mov_b64 s[42:43], 0
	s_waitcnt lgkmcnt(0)
	s_ashr_i32 s0, s39, 31
	s_lshr_b32 s0, s0, 29
	s_add_i32 s0, s39, s0
	s_ashr_i32 s0, s0, 3
	v_cvt_f32_u32_e32 v2, s0
	s_sub_i32 s2, 0, s0
	v_rcp_iflag_f32_e32 v2, v2
	v_mul_f32_e32 v2, 0x4f7ffffe, v2
	v_cvt_u32_f32_e32 v2, v2
	v_readfirstlane_b32 s1, v2
	s_mul_i32 s2, s2, s1
	s_mul_hi_u32 s2, s1, s2
	s_add_i32 s1, s1, s2
	s_mul_hi_u32 s1, s8, s1
	s_mul_i32 s2, s1, s0
	s_add_i32 s3, s1, 1
	s_sub_i32 s2, s8, s2
	s_sub_i32 s7, s2, s0
	s_cmp_ge_u32 s2, s0
	s_cselect_b32 s1, s3, s1
	s_cselect_b32 s2, s7, s2
	s_add_i32 s3, s1, 1
	s_cmp_ge_u32 s2, s0
	s_cselect_b32 s33, s3, s1
	s_abs_i32 s0, s41
	s_lshl_b32 s3, s8, 3
	v_cvt_f32_u32_e32 v2, s0
	s_sub_i32 s2, 0, s0
	s_abs_i32 s8, s39
	s_mul_i32 s7, s33, s39
	v_rcp_iflag_f32_e32 v2, v2
	s_sub_i32 s35, s3, s7
	v_mul_f32_e32 v2, 0x4f7ffffe, v2
	v_cvt_u32_f32_e32 v2, v2
	v_readfirstlane_b32 s1, v2
	s_mul_i32 s2, s2, s1
	s_mul_hi_u32 s2, s1, s2
	s_add_i32 s1, s1, s2
	s_xor_b32 s2, s39, s41
	s_mul_hi_u32 s1, s8, s1
	s_ashr_i32 s2, s2, 31
	s_mul_i32 s3, s1, s0
	s_add_i32 s7, s1, 1
	s_sub_i32 s3, s8, s3
	s_sub_i32 s8, s3, s0
	s_cmp_ge_u32 s3, s0
	s_cselect_b32 s1, s7, s1
	s_cselect_b32 s3, s8, s3
	s_add_i32 s7, s1, 1
	s_cmp_ge_u32 s3, s0
	s_clause 0x1
	s_load_dwordx16 s[16:31], s[4:5], 0x0
	s_load_dwordx2 s[8:9], s[4:5], 0xb8
	s_cselect_b32 s0, s7, s1
	s_xor_b32 s0, s0, s2
	s_sub_i32 s10, s0, s2
	s_abs_i32 s7, s10
	v_cvt_f32_u32_e32 v2, s7
	v_rcp_iflag_f32_e32 v2, v2
	s_waitcnt lgkmcnt(0)
	s_cmp_eq_u64 s[22:23], 0
	v_mul_f32_e32 v2, 0x4f7ffffe, v2
	v_cvt_u32_f32_e32 v2, v2
	v_readfirstlane_b32 s11, v2
	s_cbranch_scc1 .LBB5_2
; %bb.1:
	s_abs_i32 s2, s8
	s_abs_i32 s3, s33
	v_cvt_f32_u32_e32 v2, s2
	s_sub_i32 s1, 0, s2
	v_rcp_iflag_f32_e32 v2, v2
	v_mul_f32_e32 v2, 0x4f7ffffe, v2
	v_cvt_u32_f32_e32 v2, v2
	v_readfirstlane_b32 s0, v2
	s_mul_i32 s1, s1, s0
	s_mul_hi_u32 s1, s0, s1
	s_add_i32 s0, s0, s1
	s_mul_hi_u32 s8, s3, s0
	s_load_dwordx2 s[0:1], s[4:5], 0xc8
	s_mul_i32 s8, s8, s2
	s_sub_i32 s3, s3, s8
	s_ashr_i32 s8, s33, 31
	s_sub_i32 s12, s3, s2
	s_cmp_ge_u32 s3, s2
	s_cselect_b32 s3, s12, s3
	s_sub_i32 s12, s3, s2
	s_cmp_ge_u32 s3, s2
	s_cselect_b32 s2, s12, s3
	s_xor_b32 s2, s2, s8
	s_sub_i32 s2, s2, s8
	s_ashr_i32 s3, s2, 31
	s_waitcnt lgkmcnt(0)
	s_mul_hi_u32 s8, s0, s2
	s_mul_i32 s3, s0, s3
	s_mul_i32 s1, s1, s2
	s_add_i32 s3, s8, s3
	s_mul_i32 s0, s0, s2
	s_add_i32 s3, s3, s1
	s_add_u32 s42, s22, s0
	s_addc_u32 s43, s23, s3
.LBB5_2:
	v_lshrrev_b32_e32 v2, 1, v1
	s_load_dwordx4 s[0:3], s[4:5], 0x70
	v_lshlrev_b32_e32 v52, 3, v0
	v_lshl_add_u32 v32, s6, 2, v2
	v_lshlrev_b32_e32 v2, 2, v1
	v_or_b32_e32 v24, 0x6800, v52
	v_mul_hi_u32 v3, s36, v32
	v_or_b32_e32 v21, 1, v2
	v_or_b32_e32 v23, 3, v2
	;; [unrolled: 1-line block ×3, first 2 shown]
	v_and_b32_e32 v51, 4, v2
	v_and_b32_e32 v16, 5, v21
	v_and_b32_e32 v18, 7, v23
	v_add_nc_u32_e32 v3, v32, v3
	v_and_b32_e32 v17, 6, v22
	v_lshl_add_u32 v21, v21, 8, v24
	s_waitcnt lgkmcnt(0)
	s_mul_i32 s3, s33, s2
	s_mul_i32 s8, s35, s1
	v_lshrrev_b32_e32 v3, s37, v3
	s_ashr_i32 s12, s3, 31
	s_add_u32 s3, s16, s3
	s_addc_u32 s12, s17, s12
	s_ashr_i32 s13, s8, 31
	v_mul_lo_u32 v3, v3, s38
	s_add_u32 s8, s3, s8
	s_mov_b32 s2, s1
	s_addc_u32 s16, s12, s13
	s_ashr_i32 s3, s1, 31
	s_ashr_i32 s1, s0, 31
	s_lshr_b64 s[12:13], s[2:3], 2
	s_lshr_b64 s[14:15], s[0:1], 2
	v_sub_nc_u32_e32 v3, v32, v3
	v_mad_u64_u32 v[6:7], null, s12, v16, 0
	v_mad_u64_u32 v[10:11], null, s12, v18, 0
	;; [unrolled: 1-line block ×3, first 2 shown]
	s_lshr_b32 s0, s1, 2
	v_mad_u64_u32 v[8:9], null, s12, v17, 0
	s_lshr_b32 s1, s3, 2
	v_mad_u64_u32 v[12:13], null, s12, v51, 0
	v_mad_u64_u32 v[14:15], null, s0, v3, v[5:6]
	v_mov_b32_e32 v5, v11
	v_mad_u64_u32 v[15:16], null, s1, v16, v[7:8]
	v_mad_u64_u32 v[16:17], null, s1, v17, v[9:10]
	;; [unrolled: 1-line block ×3, first 2 shown]
	v_mov_b32_e32 v5, v14
	v_mul_lo_u32 v19, s1, v51
	v_lshlrev_b32_e32 v18, 4, v0
	v_mov_b32_e32 v7, v15
	v_mov_b32_e32 v9, v16
	v_lshlrev_b64 v[4:5], 2, v[4:5]
	v_mov_b32_e32 v11, v17
	s_load_dword s0, s[4:5], 0x40
	v_lshlrev_b64 v[6:7], 2, v[6:7]
	v_or_b32_e32 v13, v13, v19
	v_lshlrev_b64 v[14:15], 2, v[8:9]
	v_add_co_u32 v4, vcc_lo, s8, v4
	v_add_co_ci_u32_e64 v5, null, s16, v5, vcc_lo
	v_lshlrev_b64 v[12:13], 2, v[12:13]
	v_add_co_u32 v18, vcc_lo, v4, v18
	v_add_co_ci_u32_e64 v19, null, 0, v5, vcc_lo
	;; [unrolled: 3-line block ×3, first 2 shown]
	v_add_co_u32 v9, vcc_lo, v18, v6
	v_add_co_ci_u32_e64 v10, null, v19, v7, vcc_lo
	v_add_co_u32 v13, vcc_lo, v18, v14
	v_add_co_ci_u32_e64 v14, null, v19, v15, vcc_lo
	;; [unrolled: 2-line block ×3, first 2 shown]
	s_clause 0x3
	global_load_dwordx4 v[5:8], v[4:5], off
	global_load_dwordx4 v[9:12], v[9:10], off
	;; [unrolled: 1-line block ×4, first 2 shown]
	v_lshlrev_b32_e32 v4, 10, v1
	v_lshl_add_u32 v22, v22, 8, v24
	v_lshl_add_u32 v23, v23, 8, v24
	s_cmp_eq_u64 s[26:27], 0
	v_add_nc_u32_e32 v25, v24, v4
	s_waitcnt vmcnt(3) lgkmcnt(0)
	v_fma_mixlo_f16 v5, s0, v5, 0
	v_fma_mixlo_f16 v6, s0, v6, 0
	;; [unrolled: 1-line block ×4, first 2 shown]
	s_waitcnt vmcnt(2)
	v_fma_mixlo_f16 v9, s0, v9, 0
	v_fma_mixlo_f16 v10, s0, v10, 0
	s_waitcnt vmcnt(1)
	v_fma_mixlo_f16 v13, s0, v13, 0
	v_fma_mixlo_f16 v14, s0, v14, 0
	;; [unrolled: 1-line block ×4, first 2 shown]
	s_waitcnt vmcnt(0)
	v_fma_mixlo_f16 v17, s0, v17, 0
	v_fma_mixlo_f16 v18, s0, v18, 0
	v_lshlrev_b32_e32 v6, 16, v6
	v_and_b32_e32 v5, 0xffff, v5
	v_lshlrev_b32_e32 v8, 16, v8
	v_and_b32_e32 v7, 0xffff, v7
	;; [unrolled: 2-line block ×3, first 2 shown]
	v_fma_mixlo_f16 v15, s0, v15, 0
	v_fma_mixlo_f16 v16, s0, v16, 0
	v_lshlrev_b32_e32 v14, 16, v14
	v_and_b32_e32 v13, 0xffff, v13
	v_fma_mixlo_f16 v19, s0, v19, 0
	v_fma_mixlo_f16 v20, s0, v20, 0
	v_lshlrev_b32_e32 v12, 16, v12
	v_and_b32_e32 v11, 0xffff, v11
	v_lshlrev_b32_e32 v18, 16, v18
	v_and_b32_e32 v17, 0xffff, v17
	v_or_b32_e32 v5, v6, v5
	v_or3_b32 v6, v8, v7, 0
	v_or_b32_e32 v7, v10, v9
	v_lshlrev_b32_e32 v16, 16, v16
	v_and_b32_e32 v15, 0xffff, v15
	v_or_b32_e32 v9, v14, v13
	v_lshlrev_b32_e32 v20, 16, v20
	v_and_b32_e32 v19, 0xffff, v19
	v_or3_b32 v8, v12, v11, 0
	v_or_b32_e32 v11, v18, v17
	v_or3_b32 v5, 0, 0, v5
	v_or3_b32 v7, 0, 0, v7
	;; [unrolled: 1-line block ×6, first 2 shown]
	ds_write_b64 v25, v[5:6]
	ds_write_b64 v21, v[7:8]
	;; [unrolled: 1-line block ×4, first 2 shown]
	s_waitcnt lgkmcnt(0)
	s_barrier
	buffer_gl0_inv
	s_cbranch_scc1 .LBB5_4
; %bb.3:
	s_load_dword s0, s[4:5], 0xd0
	s_mov_b32 s1, 0
	s_waitcnt lgkmcnt(0)
	s_mul_i32 s0, s0, s33
	s_add_i32 s0, s0, s6
	s_lshl_b64 s[0:1], s[0:1], 2
	s_add_u32 s0, s26, s0
	s_addc_u32 s1, s27, s1
	s_load_dword s40, s[0:1], 0x0
.LBB5_4:
	v_mbcnt_lo_u32_b32 v53, -1, 0
	s_lshl_b32 s26, s34, 7
	s_waitcnt lgkmcnt(0)
	s_cmp_lt_i32 s26, s40
	s_cbranch_scc1 .LBB5_7
; %bb.5:
	v_mbcnt_lo_u32_b32 v5, -1, 0
	v_mov_b32_e32 v54, 32
	v_xor_b32_e32 v59, 16, v5
	v_xor_b32_e32 v58, 8, v5
	;; [unrolled: 1-line block ×5, first 2 shown]
	v_lshlrev_b32_e32 v50, 2, v0
	s_cbranch_execz .LBB5_8
; %bb.6:
	v_mov_b32_e32 v27, 0
	v_mov_b32_e32 v60, 0
	;; [unrolled: 1-line block ×16, first 2 shown]
	s_branch .LBB5_11
.LBB5_7:
                                        ; implicit-def: $vgpr5
                                        ; implicit-def: $vgpr54
                                        ; implicit-def: $vgpr59
                                        ; implicit-def: $vgpr58
                                        ; implicit-def: $vgpr57
                                        ; implicit-def: $vgpr56
                                        ; implicit-def: $vgpr55
	v_lshlrev_b32_e32 v50, 2, v0
.LBB5_8:
	s_clause 0x1
	s_load_dwordx4 s[0:3], s[4:5], 0x98
	s_load_dwordx2 s[12:13], s[4:5], 0x8c
	s_sub_i32 s6, 0, s7
	s_abs_i32 s8, s35
	s_mul_i32 s6, s6, s11
	s_ashr_i32 s16, s35, 31
	s_mul_hi_u32 s6, s11, s6
	s_ashr_i32 s10, s10, 31
	s_add_i32 s11, s11, s6
	s_ashr_i32 s6, s9, 1
	s_mul_hi_u32 s9, s8, s11
	s_ashr_i32 s11, s33, 31
	s_load_dwordx2 s[14:15], s[4:5], 0xa8
	s_mul_i32 s17, s9, s7
	v_lshrrev_b32_e32 v5, 3, v0
	v_and_b32_e32 v19, 28, v50
	v_lshrrev_b32_e32 v8, 4, v0
	v_and_b32_e32 v20, 60, v50
	v_add_nc_u32_e32 v71, 0x4800, v4
	v_add_nc_u32_e32 v2, v5, v2
	s_waitcnt lgkmcnt(0)
	s_ashr_i32 s27, s2, 2
	s_ashr_i32 s36, s12, 2
	s_mul_hi_u32 s2, s0, s33
	s_mul_i32 s12, s0, s11
	s_mul_i32 s1, s1, s33
	s_add_i32 s2, s2, s12
	s_mul_i32 s0, s0, s33
	s_add_i32 s2, s2, s1
	s_add_u32 s0, s18, s0
	s_addc_u32 s1, s19, s2
	s_sub_i32 s8, s8, s17
	s_xor_b32 s2, s16, s10
	s_add_i32 s10, s9, 1
	s_sub_i32 s12, s8, s7
	s_cmp_ge_u32 s8, s7
	v_mul_lo_u32 v5, s36, v2
	s_cselect_b32 s9, s10, s9
	s_cselect_b32 s8, s12, s8
	s_add_i32 s10, s9, 1
	s_cmp_ge_u32 s8, s7
	s_mul_hi_u32 s8, s14, s33
	s_cselect_b32 s7, s10, s9
	s_mul_i32 s10, s15, s33
	s_xor_b32 s7, s7, s2
	v_lshlrev_b32_e32 v6, 2, v19
	s_sub_i32 s2, s7, s2
	s_mul_i32 s7, s14, s11
	s_mul_i32 s9, s2, s13
	;; [unrolled: 1-line block ×3, first 2 shown]
	s_ashr_i32 s11, s9, 31
	s_add_u32 s37, s0, s9
	s_addc_u32 s41, s1, s11
	s_add_i32 s0, s8, s7
	s_mul_i32 s1, s14, s33
	s_add_i32 s0, s0, s10
	s_add_u32 s1, s20, s1
	s_addc_u32 s0, s21, s0
	s_ashr_i32 s3, s2, 31
	s_add_u32 s44, s1, s2
	s_addc_u32 s45, s0, s3
	s_lshl_b32 s0, s36, 5
	v_lshl_add_u32 v1, v1, 1, v8
	v_add_nc_u32_e32 v7, s0, v5
	v_mad_u32_u24 v64, 0x90, v2, v6
	v_lshlrev_b32_e32 v14, 2, v20
	v_ashrrev_i32_e32 v6, 31, v5
	v_mul_lo_u32 v2, s27, v1
	v_add_nc_u32_e32 v9, s0, v7
	v_ashrrev_i32_e32 v8, 31, v7
	v_lshl_or_b32 v70, v1, 8, v14
	v_mad_u64_u32 v[33:34], null, v3, s6, v[0:1]
	v_add_nc_u32_e32 v11, s0, v9
	s_lshl_b32 s0, s27, 4
	v_ashrrev_i32_e32 v10, 31, v9
	v_add_nc_u32_e32 v13, s0, v2
	v_ashrrev_i32_e32 v3, 31, v2
	v_ashrrev_i32_e32 v12, 31, v11
	v_lshlrev_b64 v[34:35], 2, v[5:6]
	v_lshlrev_b64 v[36:37], 2, v[7:8]
	v_add_nc_u32_e32 v15, s0, v13
	v_ashrrev_i32_e32 v14, 31, v13
	v_lshlrev_b64 v[38:39], 2, v[9:10]
	v_lshlrev_b64 v[40:41], 2, v[11:12]
	;; [unrolled: 1-line block ×3, first 2 shown]
	v_add_nc_u32_e32 v17, s0, v15
	v_ashrrev_i32_e32 v16, 31, v15
	v_lshlrev_b64 v[44:45], 2, v[13:14]
	v_mov_b32_e32 v21, 0
	v_add_nc_u32_e32 v65, 0x1200, v64
	v_ashrrev_i32_e32 v18, 31, v17
	v_lshlrev_b64 v[46:47], 2, v[15:16]
	v_add_nc_u32_e32 v66, 0x2400, v64
	v_add_nc_u32_e32 v67, 0x3600, v64
	;; [unrolled: 1-line block ×3, first 2 shown]
	v_lshlrev_b64 v[48:49], 2, v[17:18]
	v_mul_u32_u24_e32 v69, 0x90, v0
	v_add_nc_u32_e32 v72, 0x1000, v70
	v_add_nc_u32_e32 v73, 0x2000, v70
	;; [unrolled: 1-line block ×3, first 2 shown]
	v_mov_b32_e32 v1, 0xfeffffff
	v_lshlrev_b32_e32 v75, 2, v19
	v_mov_b32_e32 v54, 32
	v_xor_b32_e32 v59, 16, v53
	v_xor_b32_e32 v58, 8, v53
	;; [unrolled: 1-line block ×5, first 2 shown]
	v_add_nc_u32_e32 v76, v71, v52
	v_lshlrev_b32_e32 v77, 2, v20
	v_mov_b32_e32 v78, 0x10001
	v_add_nc_u32_e32 v79, 0x800, v52
	v_add_nc_u32_e32 v80, 0x1000, v52
	v_add_nc_u32_e32 v81, 0x1800, v52
	v_add_nc_u32_e32 v82, 0x2000, v52
	v_add_nc_u32_e32 v83, 0x2800, v52
	v_add_nc_u32_e32 v84, 0x3000, v52
	v_add_nc_u32_e32 v85, 0x3800, v52
	v_mov_b32_e32 v22, 0
	v_mov_b32_e32 v23, 0
	;; [unrolled: 1-line block ×14, first 2 shown]
	s_add_u32 s22, s4, 0xd0
	s_addc_u32 s23, s5, 0
.LBB5_9:                                ; =>This Inner Loop Header: Depth=1
	v_cmp_gt_i32_e32 vcc_lo, 32, v59
	v_mov_b32_e32 v30, v3
	v_mov_b32_e32 v29, v4
	s_mul_hi_i32 s1, s26, s36
	s_mul_i32 s0, s26, s36
	v_cndmask_b32_e32 v3, v53, v59, vcc_lo
	v_cmp_gt_i32_e32 vcc_lo, 32, v58
	v_mov_b32_e32 v86, v1
	v_add_nc_u32_e32 v1, s26, v33
	s_lshl_b64 s[0:1], s[0:1], 2
	s_mul_hi_i32 s7, s26, s27
	v_cndmask_b32_e32 v4, v53, v58, vcc_lo
	v_cmp_gt_i32_e32 vcc_lo, 32, v57
	s_mul_i32 s6, s26, s27
	s_add_u32 s2, s37, s0
	s_addc_u32 s3, s41, s1
	s_lshl_b64 s[6:7], s[6:7], 2
	v_cndmask_b32_e32 v5, v53, v57, vcc_lo
	v_cmp_gt_i32_e32 vcc_lo, 32, v56
	v_lshlrev_b32_e32 v108, 2, v3
	v_lshlrev_b32_e32 v107, 2, v4
	v_add_co_u32 v4, s0, s2, v38
	v_cndmask_b32_e32 v6, v53, v56, vcc_lo
	v_cmp_gt_i32_e32 vcc_lo, 32, v55
	v_lshlrev_b32_e32 v106, 2, v5
	v_add_co_u32 v5, s1, s2, v40
	v_lshlrev_b32_e32 v105, 2, v6
	v_cndmask_b32_e32 v7, v53, v55, vcc_lo
	v_add_co_u32 v3, vcc_lo, s2, v36
	v_add_co_u32 v6, s2, s2, v34
	v_mov_b32_e32 v31, v2
	v_ashrrev_i32_e32 v2, 31, v1
	s_add_u32 s6, s44, s6
	v_add_co_ci_u32_e64 v10, null, s3, v35, s2
	v_add_co_ci_u32_e64 v12, null, s3, v37, vcc_lo
	v_add_co_ci_u32_e64 v14, null, s3, v39, s0
	v_add_co_ci_u32_e64 v17, null, s3, v41, s1
	s_addc_u32 s3, s45, s7
	v_add_co_u32 v103, s2, s6, v48
	v_add_co_u32 v18, vcc_lo, s6, v42
	v_add_co_u32 v19, s0, s6, v44
	v_add_co_u32 v20, s1, s6, v46
	v_add_co_ci_u32_e64 v111, null, s3, v49, s2
	v_add_co_u32 v15, s2, v6, v75
	v_lshlrev_b32_e32 v104, 2, v7
	v_lshlrev_b64 v[7:8], 1, v[1:2]
	v_add_co_ci_u32_e64 v2, null, s3, v43, vcc_lo
	v_add_co_u32 v9, vcc_lo, v3, v75
	v_add_co_ci_u32_e64 v109, null, s3, v45, s0
	v_add_co_ci_u32_e64 v110, null, s3, v47, s1
	v_add_co_u32 v11, s0, v4, v75
	v_add_co_ci_u32_e64 v16, null, 0, v10, s2
	v_add_co_u32 v13, s1, v5, v75
	v_add_co_ci_u32_e64 v10, null, 0, v12, vcc_lo
	v_add_co_ci_u32_e64 v12, null, 0, v14, s0
	v_add_co_ci_u32_e64 v14, null, 0, v17, s1
	v_add_co_u32 v1, vcc_lo, v19, v77
	v_add_co_u32 v3, s0, v20, v77
	v_add_co_u32 v17, s1, v103, v77
	;; [unrolled: 1-line block ×3, first 2 shown]
	v_add_co_ci_u32_e64 v6, null, 0, v2, s2
	v_add_co_ci_u32_e64 v2, null, 0, v109, vcc_lo
	v_add_co_ci_u32_e64 v4, null, 0, v110, s0
	v_add_co_ci_u32_e64 v18, null, 0, v111, s1
	s_clause 0x3
	global_load_dwordx4 v[109:112], v[15:16], off
	global_load_dwordx4 v[113:116], v[9:10], off
	;; [unrolled: 1-line block ×4, first 2 shown]
	v_mov_b32_e32 v87, 0
	v_mov_b32_e32 v88, 0
	;; [unrolled: 1-line block ×16, first 2 shown]
	v_add_co_u32 v7, s0, s42, v7
	v_add_co_ci_u32_e64 v8, null, s43, v8, s0
	s_or_b32 s8, s26, 64
	s_waitcnt vmcnt(3)
	ds_write_b128 v64, v[109:112]
	s_waitcnt vmcnt(2)
	ds_write_b128 v65, v[113:116]
	;; [unrolled: 2-line block ×4, first 2 shown]
	s_waitcnt lgkmcnt(0)
	s_barrier
	buffer_gl0_inv
	ds_read_b128 v[109:112], v69
	ds_read_b128 v[113:116], v68
	ds_read_b128 v[117:120], v68 offset:256
	ds_read_b128 v[121:124], v68 offset:512
	;; [unrolled: 1-line block ×6, first 2 shown]
	s_waitcnt lgkmcnt(6)
	;;#ASMSTART
	v_dot2_f32_f16 v87, v109, v113, v87
	;;#ASMEND
	;;#ASMSTART
	v_dot2_f32_f16 v87, v110, v114, v87
	;;#ASMEND
	;;#ASMSTART
	v_dot2_f32_f16 v87, v111, v115, v87
	;;#ASMEND
	;;#ASMSTART
	v_dot2_f32_f16 v87, v112, v116, v87
	;;#ASMEND
	s_waitcnt lgkmcnt(5)
	;;#ASMSTART
	v_dot2_f32_f16 v88, v109, v117, v88
	;;#ASMEND
	;;#ASMSTART
	v_dot2_f32_f16 v88, v110, v118, v88
	;;#ASMEND
	;;#ASMSTART
	v_dot2_f32_f16 v88, v111, v119, v88
	;;#ASMEND
	;;#ASMSTART
	v_dot2_f32_f16 v88, v112, v120, v88
	;;#ASMEND
	;; [unrolled: 13-line block ×5, first 2 shown]
	;;#ASMSTART
	v_dot2_f32_f16 v92, v129, v117, v92
	;;#ASMEND
	;;#ASMSTART
	v_dot2_f32_f16 v92, v130, v118, v92
	;;#ASMEND
	;; [unrolled: 3-line block ×12, first 2 shown]
	s_waitcnt lgkmcnt(1)
	;;#ASMSTART
	v_dot2_f32_f16 v95, v133, v113, v95
	;;#ASMEND
	;;#ASMSTART
	v_dot2_f32_f16 v95, v134, v114, v95
	;;#ASMEND
	;; [unrolled: 3-line block ×16, first 2 shown]
	s_waitcnt lgkmcnt(0)
	;;#ASMSTART
	v_dot2_f32_f16 v99, v137, v113, v99
	;;#ASMEND
	;;#ASMSTART
	v_dot2_f32_f16 v99, v138, v114, v99
	;;#ASMEND
	;; [unrolled: 3-line block ×16, first 2 shown]
	ds_read_b128 v[109:112], v69 offset:16
	ds_read_b128 v[113:116], v68 offset:16
	;; [unrolled: 1-line block ×8, first 2 shown]
	s_waitcnt lgkmcnt(6)
	;;#ASMSTART
	v_dot2_f32_f16 v87, v109, v113, v87
	;;#ASMEND
	;;#ASMSTART
	v_dot2_f32_f16 v87, v110, v114, v87
	;;#ASMEND
	;;#ASMSTART
	v_dot2_f32_f16 v87, v111, v115, v87
	;;#ASMEND
	;;#ASMSTART
	v_dot2_f32_f16 v87, v112, v116, v87
	;;#ASMEND
	s_waitcnt lgkmcnt(5)
	;;#ASMSTART
	v_dot2_f32_f16 v88, v109, v117, v88
	;;#ASMEND
	;;#ASMSTART
	v_dot2_f32_f16 v88, v110, v118, v88
	;;#ASMEND
	;;#ASMSTART
	v_dot2_f32_f16 v88, v111, v119, v88
	;;#ASMEND
	;;#ASMSTART
	v_dot2_f32_f16 v88, v112, v120, v88
	;;#ASMEND
	;; [unrolled: 13-line block ×5, first 2 shown]
	;;#ASMSTART
	v_dot2_f32_f16 v92, v129, v117, v92
	;;#ASMEND
	;;#ASMSTART
	v_dot2_f32_f16 v92, v130, v118, v92
	;;#ASMEND
	;; [unrolled: 3-line block ×12, first 2 shown]
	s_waitcnt lgkmcnt(1)
	;;#ASMSTART
	v_dot2_f32_f16 v95, v133, v113, v95
	;;#ASMEND
	;;#ASMSTART
	v_dot2_f32_f16 v95, v134, v114, v95
	;;#ASMEND
	;; [unrolled: 3-line block ×16, first 2 shown]
	s_waitcnt lgkmcnt(0)
	;;#ASMSTART
	v_dot2_f32_f16 v99, v137, v113, v99
	;;#ASMEND
	;;#ASMSTART
	v_dot2_f32_f16 v99, v138, v114, v99
	;;#ASMEND
	;; [unrolled: 3-line block ×16, first 2 shown]
	ds_read_b128 v[109:112], v69 offset:32
	ds_read_b128 v[113:116], v68 offset:32
	;; [unrolled: 1-line block ×8, first 2 shown]
	s_waitcnt lgkmcnt(6)
	;;#ASMSTART
	v_dot2_f32_f16 v87, v109, v113, v87
	;;#ASMEND
	;;#ASMSTART
	v_dot2_f32_f16 v87, v110, v114, v87
	;;#ASMEND
	;;#ASMSTART
	v_dot2_f32_f16 v87, v111, v115, v87
	;;#ASMEND
	;;#ASMSTART
	v_dot2_f32_f16 v87, v112, v116, v87
	;;#ASMEND
	s_waitcnt lgkmcnt(5)
	;;#ASMSTART
	v_dot2_f32_f16 v88, v109, v117, v88
	;;#ASMEND
	;;#ASMSTART
	v_dot2_f32_f16 v88, v110, v118, v88
	;;#ASMEND
	;;#ASMSTART
	v_dot2_f32_f16 v88, v111, v119, v88
	;;#ASMEND
	;;#ASMSTART
	v_dot2_f32_f16 v88, v112, v120, v88
	;;#ASMEND
	;; [unrolled: 13-line block ×5, first 2 shown]
	;;#ASMSTART
	v_dot2_f32_f16 v92, v129, v117, v92
	;;#ASMEND
	;;#ASMSTART
	v_dot2_f32_f16 v92, v130, v118, v92
	;;#ASMEND
	;; [unrolled: 3-line block ×12, first 2 shown]
	s_waitcnt lgkmcnt(1)
	;;#ASMSTART
	v_dot2_f32_f16 v95, v133, v113, v95
	;;#ASMEND
	;;#ASMSTART
	v_dot2_f32_f16 v95, v134, v114, v95
	;;#ASMEND
	;; [unrolled: 3-line block ×16, first 2 shown]
	s_waitcnt lgkmcnt(0)
	;;#ASMSTART
	v_dot2_f32_f16 v99, v137, v113, v99
	;;#ASMEND
	;;#ASMSTART
	v_dot2_f32_f16 v99, v138, v114, v99
	;;#ASMEND
	;; [unrolled: 3-line block ×16, first 2 shown]
	ds_read_b128 v[109:112], v69 offset:48
	ds_read_b128 v[113:116], v68 offset:48
	ds_read_b128 v[117:120], v68 offset:304
	ds_read_b128 v[121:124], v68 offset:560
	ds_read_b128 v[125:128], v68 offset:816
	ds_read_b128 v[129:132], v69 offset:4656
	ds_read_b128 v[133:136], v69 offset:9264
	ds_read_b128 v[137:140], v69 offset:13872
	s_waitcnt lgkmcnt(6)
	;;#ASMSTART
	v_dot2_f32_f16 v87, v109, v113, v87
	;;#ASMEND
	;;#ASMSTART
	v_dot2_f32_f16 v87, v110, v114, v87
	;;#ASMEND
	;;#ASMSTART
	v_dot2_f32_f16 v87, v111, v115, v87
	;;#ASMEND
	;;#ASMSTART
	v_dot2_f32_f16 v87, v112, v116, v87
	;;#ASMEND
	s_waitcnt lgkmcnt(5)
	;;#ASMSTART
	v_dot2_f32_f16 v88, v109, v117, v88
	;;#ASMEND
	;;#ASMSTART
	v_dot2_f32_f16 v88, v110, v118, v88
	;;#ASMEND
	;;#ASMSTART
	v_dot2_f32_f16 v88, v111, v119, v88
	;;#ASMEND
	;;#ASMSTART
	v_dot2_f32_f16 v88, v112, v120, v88
	;;#ASMEND
	;; [unrolled: 13-line block ×5, first 2 shown]
	;;#ASMSTART
	v_dot2_f32_f16 v92, v129, v117, v92
	;;#ASMEND
	;;#ASMSTART
	v_dot2_f32_f16 v92, v130, v118, v92
	;;#ASMEND
	;; [unrolled: 3-line block ×12, first 2 shown]
	s_waitcnt lgkmcnt(1)
	;;#ASMSTART
	v_dot2_f32_f16 v95, v133, v113, v95
	;;#ASMEND
	;;#ASMSTART
	v_dot2_f32_f16 v95, v134, v114, v95
	;;#ASMEND
	;; [unrolled: 3-line block ×16, first 2 shown]
	s_waitcnt lgkmcnt(0)
	;;#ASMSTART
	v_dot2_f32_f16 v99, v137, v113, v99
	;;#ASMEND
	;;#ASMSTART
	v_dot2_f32_f16 v99, v138, v114, v99
	;;#ASMEND
	;; [unrolled: 3-line block ×16, first 2 shown]
	ds_read_b128 v[109:112], v69 offset:64
	ds_read_b128 v[113:116], v68 offset:64
	;; [unrolled: 1-line block ×8, first 2 shown]
	s_waitcnt lgkmcnt(6)
	;;#ASMSTART
	v_dot2_f32_f16 v87, v109, v113, v87
	;;#ASMEND
	;;#ASMSTART
	v_dot2_f32_f16 v87, v110, v114, v87
	;;#ASMEND
	;;#ASMSTART
	v_dot2_f32_f16 v87, v111, v115, v87
	;;#ASMEND
	;;#ASMSTART
	v_dot2_f32_f16 v87, v112, v116, v87
	;;#ASMEND
	s_waitcnt lgkmcnt(5)
	;;#ASMSTART
	v_dot2_f32_f16 v88, v109, v117, v88
	;;#ASMEND
	;;#ASMSTART
	v_dot2_f32_f16 v88, v110, v118, v88
	;;#ASMEND
	;;#ASMSTART
	v_dot2_f32_f16 v88, v111, v119, v88
	;;#ASMEND
	;;#ASMSTART
	v_dot2_f32_f16 v88, v112, v120, v88
	;;#ASMEND
	;; [unrolled: 13-line block ×5, first 2 shown]
	;;#ASMSTART
	v_dot2_f32_f16 v92, v129, v117, v92
	;;#ASMEND
	;;#ASMSTART
	v_dot2_f32_f16 v92, v130, v118, v92
	;;#ASMEND
	;; [unrolled: 3-line block ×12, first 2 shown]
	s_waitcnt lgkmcnt(1)
	;;#ASMSTART
	v_dot2_f32_f16 v95, v133, v113, v95
	;;#ASMEND
	;;#ASMSTART
	v_dot2_f32_f16 v95, v134, v114, v95
	;;#ASMEND
	;; [unrolled: 3-line block ×16, first 2 shown]
	s_waitcnt lgkmcnt(0)
	;;#ASMSTART
	v_dot2_f32_f16 v99, v137, v113, v99
	;;#ASMEND
	;;#ASMSTART
	v_dot2_f32_f16 v99, v138, v114, v99
	;;#ASMEND
	;;#ASMSTART
	v_dot2_f32_f16 v99, v139, v115, v99
	;;#ASMEND
	;;#ASMSTART
	v_dot2_f32_f16 v99, v140, v116, v99
	;;#ASMEND
	;;#ASMSTART
	v_dot2_f32_f16 v100, v137, v117, v100
	;;#ASMEND
	;;#ASMSTART
	v_dot2_f32_f16 v100, v138, v118, v100
	;;#ASMEND
	;;#ASMSTART
	v_dot2_f32_f16 v100, v139, v119, v100
	;;#ASMEND
	;;#ASMSTART
	v_dot2_f32_f16 v100, v140, v120, v100
	;;#ASMEND
	;;#ASMSTART
	v_dot2_f32_f16 v101, v137, v121, v101
	;;#ASMEND
	;;#ASMSTART
	v_dot2_f32_f16 v101, v138, v122, v101
	;;#ASMEND
	;;#ASMSTART
	v_dot2_f32_f16 v101, v139, v123, v101
	;;#ASMEND
	;;#ASMSTART
	v_dot2_f32_f16 v101, v140, v124, v101
	;;#ASMEND
	;;#ASMSTART
	v_dot2_f32_f16 v102, v137, v125, v102
	;;#ASMEND
	;;#ASMSTART
	v_dot2_f32_f16 v102, v138, v126, v102
	;;#ASMEND
	;;#ASMSTART
	v_dot2_f32_f16 v102, v139, v127, v102
	;;#ASMEND
	;;#ASMSTART
	v_dot2_f32_f16 v102, v140, v128, v102
	;;#ASMEND
	ds_read_b128 v[109:112], v69 offset:80
	ds_read_b128 v[113:116], v68 offset:80
	;; [unrolled: 1-line block ×8, first 2 shown]
	s_waitcnt lgkmcnt(6)
	;;#ASMSTART
	v_dot2_f32_f16 v87, v109, v113, v87
	;;#ASMEND
	;;#ASMSTART
	v_dot2_f32_f16 v87, v110, v114, v87
	;;#ASMEND
	;;#ASMSTART
	v_dot2_f32_f16 v87, v111, v115, v87
	;;#ASMEND
	;;#ASMSTART
	v_dot2_f32_f16 v87, v112, v116, v87
	;;#ASMEND
	s_waitcnt lgkmcnt(5)
	;;#ASMSTART
	v_dot2_f32_f16 v88, v109, v117, v88
	;;#ASMEND
	;;#ASMSTART
	v_dot2_f32_f16 v88, v110, v118, v88
	;;#ASMEND
	;;#ASMSTART
	v_dot2_f32_f16 v88, v111, v119, v88
	;;#ASMEND
	;;#ASMSTART
	v_dot2_f32_f16 v88, v112, v120, v88
	;;#ASMEND
	;; [unrolled: 13-line block ×5, first 2 shown]
	;;#ASMSTART
	v_dot2_f32_f16 v92, v129, v117, v92
	;;#ASMEND
	;;#ASMSTART
	v_dot2_f32_f16 v92, v130, v118, v92
	;;#ASMEND
	;;#ASMSTART
	v_dot2_f32_f16 v92, v131, v119, v92
	;;#ASMEND
	;;#ASMSTART
	v_dot2_f32_f16 v92, v132, v120, v92
	;;#ASMEND
	;;#ASMSTART
	v_dot2_f32_f16 v93, v129, v121, v93
	;;#ASMEND
	;;#ASMSTART
	v_dot2_f32_f16 v93, v130, v122, v93
	;;#ASMEND
	;;#ASMSTART
	v_dot2_f32_f16 v93, v131, v123, v93
	;;#ASMEND
	;;#ASMSTART
	v_dot2_f32_f16 v93, v132, v124, v93
	;;#ASMEND
	;;#ASMSTART
	v_dot2_f32_f16 v94, v129, v125, v94
	;;#ASMEND
	;;#ASMSTART
	v_dot2_f32_f16 v94, v130, v126, v94
	;;#ASMEND
	;;#ASMSTART
	v_dot2_f32_f16 v94, v131, v127, v94
	;;#ASMEND
	;;#ASMSTART
	v_dot2_f32_f16 v94, v132, v128, v94
	;;#ASMEND
	s_waitcnt lgkmcnt(1)
	;;#ASMSTART
	v_dot2_f32_f16 v95, v133, v113, v95
	;;#ASMEND
	;;#ASMSTART
	v_dot2_f32_f16 v95, v134, v114, v95
	;;#ASMEND
	;; [unrolled: 3-line block ×16, first 2 shown]
	s_waitcnt lgkmcnt(0)
	;;#ASMSTART
	v_dot2_f32_f16 v99, v137, v113, v99
	;;#ASMEND
	;;#ASMSTART
	v_dot2_f32_f16 v99, v138, v114, v99
	;;#ASMEND
	;; [unrolled: 3-line block ×16, first 2 shown]
	ds_read_b128 v[109:112], v69 offset:96
	ds_read_b128 v[113:116], v68 offset:96
	;; [unrolled: 1-line block ×8, first 2 shown]
	s_waitcnt lgkmcnt(6)
	;;#ASMSTART
	v_dot2_f32_f16 v87, v109, v113, v87
	;;#ASMEND
	;;#ASMSTART
	v_dot2_f32_f16 v87, v110, v114, v87
	;;#ASMEND
	;;#ASMSTART
	v_dot2_f32_f16 v87, v111, v115, v87
	;;#ASMEND
	;;#ASMSTART
	v_dot2_f32_f16 v87, v112, v116, v87
	;;#ASMEND
	s_waitcnt lgkmcnt(5)
	;;#ASMSTART
	v_dot2_f32_f16 v88, v109, v117, v88
	;;#ASMEND
	;;#ASMSTART
	v_dot2_f32_f16 v88, v110, v118, v88
	;;#ASMEND
	;;#ASMSTART
	v_dot2_f32_f16 v88, v111, v119, v88
	;;#ASMEND
	;;#ASMSTART
	v_dot2_f32_f16 v88, v112, v120, v88
	;;#ASMEND
	;; [unrolled: 13-line block ×5, first 2 shown]
	;;#ASMSTART
	v_dot2_f32_f16 v92, v129, v117, v92
	;;#ASMEND
	;;#ASMSTART
	v_dot2_f32_f16 v92, v130, v118, v92
	;;#ASMEND
	;; [unrolled: 3-line block ×12, first 2 shown]
	s_waitcnt lgkmcnt(1)
	;;#ASMSTART
	v_dot2_f32_f16 v95, v133, v113, v95
	;;#ASMEND
	;;#ASMSTART
	v_dot2_f32_f16 v95, v134, v114, v95
	;;#ASMEND
	;;#ASMSTART
	v_dot2_f32_f16 v95, v135, v115, v95
	;;#ASMEND
	;;#ASMSTART
	v_dot2_f32_f16 v95, v136, v116, v95
	;;#ASMEND
	;;#ASMSTART
	v_dot2_f32_f16 v96, v133, v117, v96
	;;#ASMEND
	;;#ASMSTART
	v_dot2_f32_f16 v96, v134, v118, v96
	;;#ASMEND
	;;#ASMSTART
	v_dot2_f32_f16 v96, v135, v119, v96
	;;#ASMEND
	;;#ASMSTART
	v_dot2_f32_f16 v96, v136, v120, v96
	;;#ASMEND
	;;#ASMSTART
	v_dot2_f32_f16 v97, v133, v121, v97
	;;#ASMEND
	;;#ASMSTART
	v_dot2_f32_f16 v97, v134, v122, v97
	;;#ASMEND
	;;#ASMSTART
	v_dot2_f32_f16 v97, v135, v123, v97
	;;#ASMEND
	;;#ASMSTART
	v_dot2_f32_f16 v97, v136, v124, v97
	;;#ASMEND
	;;#ASMSTART
	v_dot2_f32_f16 v98, v133, v125, v98
	;;#ASMEND
	;;#ASMSTART
	v_dot2_f32_f16 v98, v134, v126, v98
	;;#ASMEND
	;;#ASMSTART
	v_dot2_f32_f16 v98, v135, v127, v98
	;;#ASMEND
	;;#ASMSTART
	v_dot2_f32_f16 v98, v136, v128, v98
	;;#ASMEND
	s_waitcnt lgkmcnt(0)
	;;#ASMSTART
	v_dot2_f32_f16 v99, v137, v113, v99
	;;#ASMEND
	;;#ASMSTART
	v_dot2_f32_f16 v99, v138, v114, v99
	;;#ASMEND
	;; [unrolled: 3-line block ×16, first 2 shown]
	ds_read_b128 v[109:112], v69 offset:112
	ds_read_b128 v[113:116], v68 offset:112
	;; [unrolled: 1-line block ×8, first 2 shown]
	s_waitcnt lgkmcnt(6)
	;;#ASMSTART
	v_dot2_f32_f16 v87, v109, v113, v87
	;;#ASMEND
	;;#ASMSTART
	v_dot2_f32_f16 v87, v110, v114, v87
	;;#ASMEND
	;;#ASMSTART
	v_dot2_f32_f16 v87, v111, v115, v87
	;;#ASMEND
	;;#ASMSTART
	v_dot2_f32_f16 v87, v112, v116, v87
	;;#ASMEND
	s_waitcnt lgkmcnt(5)
	;;#ASMSTART
	v_dot2_f32_f16 v88, v109, v117, v88
	;;#ASMEND
	;;#ASMSTART
	v_dot2_f32_f16 v88, v110, v118, v88
	;;#ASMEND
	;;#ASMSTART
	v_dot2_f32_f16 v88, v111, v119, v88
	;;#ASMEND
	;;#ASMSTART
	v_dot2_f32_f16 v88, v112, v120, v88
	;;#ASMEND
	;; [unrolled: 13-line block ×5, first 2 shown]
	;;#ASMSTART
	v_dot2_f32_f16 v92, v129, v117, v92
	;;#ASMEND
	;;#ASMSTART
	v_dot2_f32_f16 v92, v130, v118, v92
	;;#ASMEND
	;; [unrolled: 3-line block ×12, first 2 shown]
	s_waitcnt lgkmcnt(1)
	;;#ASMSTART
	v_dot2_f32_f16 v95, v133, v113, v95
	;;#ASMEND
	;;#ASMSTART
	v_dot2_f32_f16 v95, v134, v114, v95
	;;#ASMEND
	;; [unrolled: 3-line block ×16, first 2 shown]
	s_waitcnt lgkmcnt(0)
	;;#ASMSTART
	v_dot2_f32_f16 v99, v137, v113, v99
	;;#ASMEND
	;;#ASMSTART
	v_dot2_f32_f16 v99, v138, v114, v99
	;;#ASMEND
	;;#ASMSTART
	v_dot2_f32_f16 v99, v139, v115, v99
	;;#ASMEND
	;;#ASMSTART
	v_dot2_f32_f16 v99, v140, v116, v99
	;;#ASMEND
	;;#ASMSTART
	v_dot2_f32_f16 v100, v137, v117, v100
	;;#ASMEND
	;;#ASMSTART
	v_dot2_f32_f16 v100, v138, v118, v100
	;;#ASMEND
	;;#ASMSTART
	v_dot2_f32_f16 v100, v139, v119, v100
	;;#ASMEND
	;;#ASMSTART
	v_dot2_f32_f16 v100, v140, v120, v100
	;;#ASMEND
	;;#ASMSTART
	v_dot2_f32_f16 v101, v137, v121, v101
	;;#ASMEND
	;;#ASMSTART
	v_dot2_f32_f16 v101, v138, v122, v101
	;;#ASMEND
	;;#ASMSTART
	v_dot2_f32_f16 v101, v139, v123, v101
	;;#ASMEND
	;;#ASMSTART
	v_dot2_f32_f16 v101, v140, v124, v101
	;;#ASMEND
	;;#ASMSTART
	v_dot2_f32_f16 v102, v137, v125, v102
	;;#ASMEND
	;;#ASMSTART
	v_dot2_f32_f16 v102, v138, v126, v102
	;;#ASMEND
	;;#ASMSTART
	v_dot2_f32_f16 v102, v139, v127, v102
	;;#ASMEND
	;;#ASMSTART
	v_dot2_f32_f16 v102, v140, v128, v102
	;;#ASMEND
	s_barrier
	buffer_gl0_inv
	s_clause 0x3
	global_load_dwordx4 v[109:112], v[15:16], off offset:128
	global_load_dwordx4 v[113:116], v[9:10], off offset:128
	;; [unrolled: 1-line block ×4, first 2 shown]
	s_mul_hi_i32 s7, s8, s27
	s_mul_i32 s6, s8, s27
	s_waitcnt vmcnt(3)
	ds_write_b128 v64, v[109:112]
	s_waitcnt vmcnt(2)
	ds_write_b128 v65, v[113:116]
	s_waitcnt vmcnt(1)
	ds_write_b128 v66, v[9:12]
	s_waitcnt vmcnt(0)
	ds_write_b128 v67, v[13:16]
	s_waitcnt lgkmcnt(0)
	s_barrier
	buffer_gl0_inv
	ds_read_b128 v[9:12], v69
	ds_read_b128 v[13:16], v68 offset:128
	ds_read_b128 v[109:112], v68 offset:384
	;; [unrolled: 1-line block ×7, first 2 shown]
	s_waitcnt lgkmcnt(6)
	;;#ASMSTART
	v_dot2_f32_f16 v87, v9, v13, v87
	;;#ASMEND
	;;#ASMSTART
	v_dot2_f32_f16 v87, v10, v14, v87
	;;#ASMEND
	;;#ASMSTART
	v_dot2_f32_f16 v87, v11, v15, v87
	;;#ASMEND
	;;#ASMSTART
	v_dot2_f32_f16 v87, v12, v16, v87
	;;#ASMEND
	s_waitcnt lgkmcnt(5)
	;;#ASMSTART
	v_dot2_f32_f16 v88, v9, v109, v88
	;;#ASMEND
	;;#ASMSTART
	v_dot2_f32_f16 v88, v10, v110, v88
	;;#ASMEND
	;;#ASMSTART
	v_dot2_f32_f16 v88, v11, v111, v88
	;;#ASMEND
	;;#ASMSTART
	v_dot2_f32_f16 v88, v12, v112, v88
	;;#ASMEND
	;; [unrolled: 13-line block ×5, first 2 shown]
	;;#ASMSTART
	v_dot2_f32_f16 v92, v121, v109, v92
	;;#ASMEND
	;;#ASMSTART
	v_dot2_f32_f16 v92, v122, v110, v92
	;;#ASMEND
	;; [unrolled: 3-line block ×12, first 2 shown]
	s_waitcnt lgkmcnt(1)
	;;#ASMSTART
	v_dot2_f32_f16 v95, v125, v13, v95
	;;#ASMEND
	;;#ASMSTART
	v_dot2_f32_f16 v95, v126, v14, v95
	;;#ASMEND
	;; [unrolled: 3-line block ×16, first 2 shown]
	s_waitcnt lgkmcnt(0)
	;;#ASMSTART
	v_dot2_f32_f16 v99, v129, v13, v99
	;;#ASMEND
	;;#ASMSTART
	v_dot2_f32_f16 v99, v130, v14, v99
	;;#ASMEND
	;; [unrolled: 3-line block ×16, first 2 shown]
	ds_read_b128 v[9:12], v69 offset:16
	ds_read_b128 v[13:16], v68 offset:144
	;; [unrolled: 1-line block ×8, first 2 shown]
	s_waitcnt lgkmcnt(6)
	;;#ASMSTART
	v_dot2_f32_f16 v87, v9, v13, v87
	;;#ASMEND
	;;#ASMSTART
	v_dot2_f32_f16 v87, v10, v14, v87
	;;#ASMEND
	;;#ASMSTART
	v_dot2_f32_f16 v87, v11, v15, v87
	;;#ASMEND
	;;#ASMSTART
	v_dot2_f32_f16 v87, v12, v16, v87
	;;#ASMEND
	s_waitcnt lgkmcnt(5)
	;;#ASMSTART
	v_dot2_f32_f16 v88, v9, v109, v88
	;;#ASMEND
	;;#ASMSTART
	v_dot2_f32_f16 v88, v10, v110, v88
	;;#ASMEND
	;;#ASMSTART
	v_dot2_f32_f16 v88, v11, v111, v88
	;;#ASMEND
	;;#ASMSTART
	v_dot2_f32_f16 v88, v12, v112, v88
	;;#ASMEND
	;; [unrolled: 13-line block ×5, first 2 shown]
	;;#ASMSTART
	v_dot2_f32_f16 v92, v121, v109, v92
	;;#ASMEND
	;;#ASMSTART
	v_dot2_f32_f16 v92, v122, v110, v92
	;;#ASMEND
	;; [unrolled: 3-line block ×12, first 2 shown]
	s_waitcnt lgkmcnt(1)
	;;#ASMSTART
	v_dot2_f32_f16 v95, v125, v13, v95
	;;#ASMEND
	;;#ASMSTART
	v_dot2_f32_f16 v95, v126, v14, v95
	;;#ASMEND
	;;#ASMSTART
	v_dot2_f32_f16 v95, v127, v15, v95
	;;#ASMEND
	;;#ASMSTART
	v_dot2_f32_f16 v95, v128, v16, v95
	;;#ASMEND
	;;#ASMSTART
	v_dot2_f32_f16 v96, v125, v109, v96
	;;#ASMEND
	;;#ASMSTART
	v_dot2_f32_f16 v96, v126, v110, v96
	;;#ASMEND
	;;#ASMSTART
	v_dot2_f32_f16 v96, v127, v111, v96
	;;#ASMEND
	;;#ASMSTART
	v_dot2_f32_f16 v96, v128, v112, v96
	;;#ASMEND
	;;#ASMSTART
	v_dot2_f32_f16 v97, v125, v113, v97
	;;#ASMEND
	;;#ASMSTART
	v_dot2_f32_f16 v97, v126, v114, v97
	;;#ASMEND
	;;#ASMSTART
	v_dot2_f32_f16 v97, v127, v115, v97
	;;#ASMEND
	;;#ASMSTART
	v_dot2_f32_f16 v97, v128, v116, v97
	;;#ASMEND
	;;#ASMSTART
	v_dot2_f32_f16 v98, v125, v117, v98
	;;#ASMEND
	;;#ASMSTART
	v_dot2_f32_f16 v98, v126, v118, v98
	;;#ASMEND
	;;#ASMSTART
	v_dot2_f32_f16 v98, v127, v119, v98
	;;#ASMEND
	;;#ASMSTART
	v_dot2_f32_f16 v98, v128, v120, v98
	;;#ASMEND
	s_waitcnt lgkmcnt(0)
	;;#ASMSTART
	v_dot2_f32_f16 v99, v129, v13, v99
	;;#ASMEND
	;;#ASMSTART
	v_dot2_f32_f16 v99, v130, v14, v99
	;;#ASMEND
	;; [unrolled: 3-line block ×16, first 2 shown]
	ds_read_b128 v[9:12], v69 offset:32
	ds_read_b128 v[13:16], v68 offset:160
	;; [unrolled: 1-line block ×8, first 2 shown]
	s_waitcnt lgkmcnt(6)
	;;#ASMSTART
	v_dot2_f32_f16 v87, v9, v13, v87
	;;#ASMEND
	;;#ASMSTART
	v_dot2_f32_f16 v87, v10, v14, v87
	;;#ASMEND
	;;#ASMSTART
	v_dot2_f32_f16 v87, v11, v15, v87
	;;#ASMEND
	;;#ASMSTART
	v_dot2_f32_f16 v87, v12, v16, v87
	;;#ASMEND
	s_waitcnt lgkmcnt(5)
	;;#ASMSTART
	v_dot2_f32_f16 v88, v9, v109, v88
	;;#ASMEND
	;;#ASMSTART
	v_dot2_f32_f16 v88, v10, v110, v88
	;;#ASMEND
	;;#ASMSTART
	v_dot2_f32_f16 v88, v11, v111, v88
	;;#ASMEND
	;;#ASMSTART
	v_dot2_f32_f16 v88, v12, v112, v88
	;;#ASMEND
	;; [unrolled: 13-line block ×5, first 2 shown]
	;;#ASMSTART
	v_dot2_f32_f16 v92, v121, v109, v92
	;;#ASMEND
	;;#ASMSTART
	v_dot2_f32_f16 v92, v122, v110, v92
	;;#ASMEND
	;; [unrolled: 3-line block ×12, first 2 shown]
	s_waitcnt lgkmcnt(1)
	;;#ASMSTART
	v_dot2_f32_f16 v95, v125, v13, v95
	;;#ASMEND
	;;#ASMSTART
	v_dot2_f32_f16 v95, v126, v14, v95
	;;#ASMEND
	;; [unrolled: 3-line block ×16, first 2 shown]
	s_waitcnt lgkmcnt(0)
	;;#ASMSTART
	v_dot2_f32_f16 v99, v129, v13, v99
	;;#ASMEND
	;;#ASMSTART
	v_dot2_f32_f16 v99, v130, v14, v99
	;;#ASMEND
	;; [unrolled: 3-line block ×16, first 2 shown]
	ds_read_b128 v[9:12], v69 offset:48
	ds_read_b128 v[13:16], v68 offset:176
	;; [unrolled: 1-line block ×8, first 2 shown]
	s_waitcnt lgkmcnt(6)
	;;#ASMSTART
	v_dot2_f32_f16 v87, v9, v13, v87
	;;#ASMEND
	;;#ASMSTART
	v_dot2_f32_f16 v87, v10, v14, v87
	;;#ASMEND
	;;#ASMSTART
	v_dot2_f32_f16 v87, v11, v15, v87
	;;#ASMEND
	;;#ASMSTART
	v_dot2_f32_f16 v87, v12, v16, v87
	;;#ASMEND
	s_waitcnt lgkmcnt(5)
	;;#ASMSTART
	v_dot2_f32_f16 v88, v9, v109, v88
	;;#ASMEND
	;;#ASMSTART
	v_dot2_f32_f16 v88, v10, v110, v88
	;;#ASMEND
	;;#ASMSTART
	v_dot2_f32_f16 v88, v11, v111, v88
	;;#ASMEND
	;;#ASMSTART
	v_dot2_f32_f16 v88, v12, v112, v88
	;;#ASMEND
	;; [unrolled: 13-line block ×5, first 2 shown]
	;;#ASMSTART
	v_dot2_f32_f16 v92, v121, v109, v92
	;;#ASMEND
	;;#ASMSTART
	v_dot2_f32_f16 v92, v122, v110, v92
	;;#ASMEND
	;; [unrolled: 3-line block ×12, first 2 shown]
	s_waitcnt lgkmcnt(1)
	;;#ASMSTART
	v_dot2_f32_f16 v95, v125, v13, v95
	;;#ASMEND
	;;#ASMSTART
	v_dot2_f32_f16 v95, v126, v14, v95
	;;#ASMEND
	;; [unrolled: 3-line block ×16, first 2 shown]
	s_waitcnt lgkmcnt(0)
	;;#ASMSTART
	v_dot2_f32_f16 v99, v129, v13, v99
	;;#ASMEND
	;;#ASMSTART
	v_dot2_f32_f16 v99, v130, v14, v99
	;;#ASMEND
	;; [unrolled: 3-line block ×16, first 2 shown]
	ds_read_b128 v[9:12], v69 offset:64
	ds_read_b128 v[13:16], v68 offset:192
	;; [unrolled: 1-line block ×8, first 2 shown]
	s_waitcnt lgkmcnt(6)
	;;#ASMSTART
	v_dot2_f32_f16 v87, v9, v13, v87
	;;#ASMEND
	;;#ASMSTART
	v_dot2_f32_f16 v87, v10, v14, v87
	;;#ASMEND
	;;#ASMSTART
	v_dot2_f32_f16 v87, v11, v15, v87
	;;#ASMEND
	;;#ASMSTART
	v_dot2_f32_f16 v87, v12, v16, v87
	;;#ASMEND
	s_waitcnt lgkmcnt(5)
	;;#ASMSTART
	v_dot2_f32_f16 v88, v9, v109, v88
	;;#ASMEND
	;;#ASMSTART
	v_dot2_f32_f16 v88, v10, v110, v88
	;;#ASMEND
	;;#ASMSTART
	v_dot2_f32_f16 v88, v11, v111, v88
	;;#ASMEND
	;;#ASMSTART
	v_dot2_f32_f16 v88, v12, v112, v88
	;;#ASMEND
	s_waitcnt lgkmcnt(4)
	;;#ASMSTART
	v_dot2_f32_f16 v89, v9, v113, v89
	;;#ASMEND
	;;#ASMSTART
	v_dot2_f32_f16 v89, v10, v114, v89
	;;#ASMEND
	;;#ASMSTART
	v_dot2_f32_f16 v89, v11, v115, v89
	;;#ASMEND
	;;#ASMSTART
	v_dot2_f32_f16 v89, v12, v116, v89
	;;#ASMEND
	s_waitcnt lgkmcnt(3)
	;;#ASMSTART
	v_dot2_f32_f16 v90, v9, v117, v90
	;;#ASMEND
	;;#ASMSTART
	v_dot2_f32_f16 v90, v10, v118, v90
	;;#ASMEND
	;;#ASMSTART
	v_dot2_f32_f16 v90, v11, v119, v90
	;;#ASMEND
	;;#ASMSTART
	v_dot2_f32_f16 v90, v12, v120, v90
	;;#ASMEND
	s_waitcnt lgkmcnt(2)
	;;#ASMSTART
	v_dot2_f32_f16 v91, v121, v13, v91
	;;#ASMEND
	;;#ASMSTART
	v_dot2_f32_f16 v91, v122, v14, v91
	;;#ASMEND
	;;#ASMSTART
	v_dot2_f32_f16 v91, v123, v15, v91
	;;#ASMEND
	;;#ASMSTART
	v_dot2_f32_f16 v91, v124, v16, v91
	;;#ASMEND
	;;#ASMSTART
	v_dot2_f32_f16 v92, v121, v109, v92
	;;#ASMEND
	;;#ASMSTART
	v_dot2_f32_f16 v92, v122, v110, v92
	;;#ASMEND
	;; [unrolled: 3-line block ×12, first 2 shown]
	s_waitcnt lgkmcnt(1)
	;;#ASMSTART
	v_dot2_f32_f16 v95, v125, v13, v95
	;;#ASMEND
	;;#ASMSTART
	v_dot2_f32_f16 v95, v126, v14, v95
	;;#ASMEND
	;; [unrolled: 3-line block ×16, first 2 shown]
	s_waitcnt lgkmcnt(0)
	;;#ASMSTART
	v_dot2_f32_f16 v99, v129, v13, v99
	;;#ASMEND
	;;#ASMSTART
	v_dot2_f32_f16 v99, v130, v14, v99
	;;#ASMEND
	;; [unrolled: 3-line block ×16, first 2 shown]
	ds_read_b128 v[9:12], v69 offset:80
	ds_read_b128 v[13:16], v68 offset:208
	;; [unrolled: 1-line block ×8, first 2 shown]
	s_waitcnt lgkmcnt(6)
	;;#ASMSTART
	v_dot2_f32_f16 v87, v9, v13, v87
	;;#ASMEND
	;;#ASMSTART
	v_dot2_f32_f16 v87, v10, v14, v87
	;;#ASMEND
	;;#ASMSTART
	v_dot2_f32_f16 v87, v11, v15, v87
	;;#ASMEND
	;;#ASMSTART
	v_dot2_f32_f16 v87, v12, v16, v87
	;;#ASMEND
	s_waitcnt lgkmcnt(5)
	;;#ASMSTART
	v_dot2_f32_f16 v88, v9, v109, v88
	;;#ASMEND
	;;#ASMSTART
	v_dot2_f32_f16 v88, v10, v110, v88
	;;#ASMEND
	;;#ASMSTART
	v_dot2_f32_f16 v88, v11, v111, v88
	;;#ASMEND
	;;#ASMSTART
	v_dot2_f32_f16 v88, v12, v112, v88
	;;#ASMEND
	;; [unrolled: 13-line block ×5, first 2 shown]
	;;#ASMSTART
	v_dot2_f32_f16 v92, v121, v109, v92
	;;#ASMEND
	;;#ASMSTART
	v_dot2_f32_f16 v92, v122, v110, v92
	;;#ASMEND
	;; [unrolled: 3-line block ×12, first 2 shown]
	s_waitcnt lgkmcnt(1)
	;;#ASMSTART
	v_dot2_f32_f16 v95, v125, v13, v95
	;;#ASMEND
	;;#ASMSTART
	v_dot2_f32_f16 v95, v126, v14, v95
	;;#ASMEND
	;; [unrolled: 3-line block ×16, first 2 shown]
	s_waitcnt lgkmcnt(0)
	;;#ASMSTART
	v_dot2_f32_f16 v99, v129, v13, v99
	;;#ASMEND
	;;#ASMSTART
	v_dot2_f32_f16 v99, v130, v14, v99
	;;#ASMEND
	;; [unrolled: 3-line block ×16, first 2 shown]
	ds_read_b128 v[9:12], v69 offset:96
	ds_read_b128 v[13:16], v68 offset:224
	;; [unrolled: 1-line block ×8, first 2 shown]
	s_waitcnt lgkmcnt(6)
	;;#ASMSTART
	v_dot2_f32_f16 v87, v9, v13, v87
	;;#ASMEND
	;;#ASMSTART
	v_dot2_f32_f16 v87, v10, v14, v87
	;;#ASMEND
	;;#ASMSTART
	v_dot2_f32_f16 v87, v11, v15, v87
	;;#ASMEND
	;;#ASMSTART
	v_dot2_f32_f16 v87, v12, v16, v87
	;;#ASMEND
	s_waitcnt lgkmcnt(5)
	;;#ASMSTART
	v_dot2_f32_f16 v88, v9, v109, v88
	;;#ASMEND
	;;#ASMSTART
	v_dot2_f32_f16 v88, v10, v110, v88
	;;#ASMEND
	;;#ASMSTART
	v_dot2_f32_f16 v88, v11, v111, v88
	;;#ASMEND
	;;#ASMSTART
	v_dot2_f32_f16 v88, v12, v112, v88
	;;#ASMEND
	;; [unrolled: 13-line block ×5, first 2 shown]
	;;#ASMSTART
	v_dot2_f32_f16 v92, v121, v109, v92
	;;#ASMEND
	;;#ASMSTART
	v_dot2_f32_f16 v92, v122, v110, v92
	;;#ASMEND
	;;#ASMSTART
	v_dot2_f32_f16 v92, v123, v111, v92
	;;#ASMEND
	;;#ASMSTART
	v_dot2_f32_f16 v92, v124, v112, v92
	;;#ASMEND
	;;#ASMSTART
	v_dot2_f32_f16 v93, v121, v113, v93
	;;#ASMEND
	;;#ASMSTART
	v_dot2_f32_f16 v93, v122, v114, v93
	;;#ASMEND
	;;#ASMSTART
	v_dot2_f32_f16 v93, v123, v115, v93
	;;#ASMEND
	;;#ASMSTART
	v_dot2_f32_f16 v93, v124, v116, v93
	;;#ASMEND
	;;#ASMSTART
	v_dot2_f32_f16 v94, v121, v117, v94
	;;#ASMEND
	;;#ASMSTART
	v_dot2_f32_f16 v94, v122, v118, v94
	;;#ASMEND
	;;#ASMSTART
	v_dot2_f32_f16 v94, v123, v119, v94
	;;#ASMEND
	;;#ASMSTART
	v_dot2_f32_f16 v94, v124, v120, v94
	;;#ASMEND
	s_waitcnt lgkmcnt(1)
	;;#ASMSTART
	v_dot2_f32_f16 v95, v125, v13, v95
	;;#ASMEND
	;;#ASMSTART
	v_dot2_f32_f16 v95, v126, v14, v95
	;;#ASMEND
	;; [unrolled: 3-line block ×16, first 2 shown]
	s_waitcnt lgkmcnt(0)
	;;#ASMSTART
	v_dot2_f32_f16 v99, v129, v13, v99
	;;#ASMEND
	;;#ASMSTART
	v_dot2_f32_f16 v99, v130, v14, v99
	;;#ASMEND
	;; [unrolled: 3-line block ×16, first 2 shown]
	ds_read_b128 v[9:12], v69 offset:112
	ds_read_b128 v[13:16], v68 offset:240
	;; [unrolled: 1-line block ×8, first 2 shown]
	s_waitcnt lgkmcnt(6)
	;;#ASMSTART
	v_dot2_f32_f16 v87, v9, v13, v87
	;;#ASMEND
	;;#ASMSTART
	v_dot2_f32_f16 v87, v10, v14, v87
	;;#ASMEND
	;;#ASMSTART
	v_dot2_f32_f16 v87, v11, v15, v87
	;;#ASMEND
	;;#ASMSTART
	v_dot2_f32_f16 v87, v12, v16, v87
	;;#ASMEND
	s_waitcnt lgkmcnt(5)
	;;#ASMSTART
	v_dot2_f32_f16 v88, v9, v109, v88
	;;#ASMEND
	;;#ASMSTART
	v_dot2_f32_f16 v88, v10, v110, v88
	;;#ASMEND
	;;#ASMSTART
	v_dot2_f32_f16 v88, v11, v111, v88
	;;#ASMEND
	;;#ASMSTART
	v_dot2_f32_f16 v88, v12, v112, v88
	;;#ASMEND
	;; [unrolled: 13-line block ×5, first 2 shown]
	;;#ASMSTART
	v_dot2_f32_f16 v92, v121, v109, v92
	;;#ASMEND
	;;#ASMSTART
	v_dot2_f32_f16 v92, v122, v110, v92
	;;#ASMEND
	;; [unrolled: 3-line block ×12, first 2 shown]
	s_waitcnt lgkmcnt(1)
	;;#ASMSTART
	v_dot2_f32_f16 v95, v125, v13, v95
	;;#ASMEND
	;;#ASMSTART
	v_dot2_f32_f16 v95, v126, v14, v95
	;;#ASMEND
	;; [unrolled: 3-line block ×16, first 2 shown]
	s_waitcnt lgkmcnt(0)
	;;#ASMSTART
	v_dot2_f32_f16 v99, v129, v13, v99
	;;#ASMEND
	;;#ASMSTART
	v_dot2_f32_f16 v99, v130, v14, v99
	;;#ASMEND
	;; [unrolled: 3-line block ×16, first 2 shown]
	s_clause 0x3
	global_load_ushort v109, v[7:8], off
	global_load_ushort v110, v[7:8], off offset:64
	global_load_ushort v111, v[7:8], off offset:128
	;; [unrolled: 1-line block ×3, first 2 shown]
	s_waitcnt vmcnt(0)
	s_barrier
	buffer_gl0_inv
	s_clause 0x3
	global_load_dwordx4 v[5:8], v[5:6], off
	global_load_dwordx4 v[9:12], v[1:2], off
	;; [unrolled: 1-line block ×4, first 2 shown]
	s_lshl_b64 s[6:7], s[6:7], 2
	s_add_u32 s47, s44, s6
	s_addc_u32 s46, s45, s7
	v_add_co_u32 v103, vcc_lo, s47, v42
	v_cvt_f32_f16_e32 v1, v109
	v_cvt_f32_f16_e32 v2, v110
	;; [unrolled: 1-line block ×4, first 2 shown]
	v_add_f32_e32 v87, v87, v1
	v_add_f32_e32 v91, v91, v2
	;; [unrolled: 1-line block ×32, first 2 shown]
	v_max3_f32 v1, v86, v1, v2
	v_max3_f32 v2, v31, v109, v110
	;; [unrolled: 1-line block ×8, first 2 shown]
	ds_bpermute_b32 v109, v108, v1
	ds_bpermute_b32 v110, v108, v2
	ds_bpermute_b32 v111, v108, v3
	ds_bpermute_b32 v108, v108, v4
	s_waitcnt lgkmcnt(3)
	v_max_f32_e32 v109, v109, v109
	s_waitcnt lgkmcnt(2)
	v_max_f32_e32 v110, v110, v110
	s_waitcnt lgkmcnt(1)
	v_max_f32_e32 v111, v111, v111
	s_waitcnt lgkmcnt(0)
	v_max_f32_e32 v108, v108, v108
	v_max_f32_e32 v1, v1, v109
	v_max_f32_e32 v2, v2, v110
	v_max_f32_e32 v3, v3, v111
	v_max_f32_e32 v4, v4, v108
	ds_bpermute_b32 v108, v107, v1
	ds_bpermute_b32 v109, v107, v2
	ds_bpermute_b32 v110, v107, v3
	ds_bpermute_b32 v107, v107, v4
	s_waitcnt lgkmcnt(3)
	v_max_f32_e32 v108, v108, v108
	s_waitcnt lgkmcnt(2)
	v_max_f32_e32 v109, v109, v109
	s_waitcnt lgkmcnt(1)
	v_max_f32_e32 v110, v110, v110
	s_waitcnt lgkmcnt(0)
	v_max_f32_e32 v107, v107, v107
	v_max_f32_e32 v1, v1, v108
	v_max_f32_e32 v2, v2, v109
	v_max_f32_e32 v3, v3, v110
	v_max_f32_e32 v4, v4, v107
	;; [unrolled: 16-line block ×5, first 2 shown]
	v_sub_f32_e32 v86, v86, v1
	v_sub_f32_e32 v87, v87, v1
	;; [unrolled: 1-line block ×20, first 2 shown]
	v_mul_f32_e32 v104, 0x3fb8aa3b, v87
	v_mul_f32_e32 v105, 0x3fb8aa3b, v91
	v_mul_f32_e32 v106, 0x3fb8aa3b, v95
	v_mul_f32_e32 v107, 0x3fb8aa3b, v99
	v_mul_f32_e32 v108, 0x3fb8aa3b, v86
	v_mul_f32_e32 v109, 0x3fb8aa3b, v88
	v_mul_f32_e32 v110, 0x3fb8aa3b, v92
	v_mul_f32_e32 v113, 0x3fb8aa3b, v31
	v_mul_f32_e32 v114, 0x3fb8aa3b, v89
	v_mul_f32_e32 v115, 0x3fb8aa3b, v93
	v_mul_f32_e32 v118, 0x3fb8aa3b, v30
	v_mul_f32_e32 v119, 0x3fb8aa3b, v90
	v_mul_f32_e32 v120, 0x3fb8aa3b, v94
	v_mul_f32_e32 v111, 0x3fb8aa3b, v96
	v_mul_f32_e32 v112, 0x3fb8aa3b, v100
	v_mul_f32_e32 v116, 0x3fb8aa3b, v97
	v_mul_f32_e32 v117, 0x3fb8aa3b, v101
	v_mul_f32_e32 v121, 0x3fb8aa3b, v98
	v_mul_f32_e32 v122, 0x3fb8aa3b, v102
	v_mul_f32_e32 v123, 0x3fb8aa3b, v29
	v_fma_f32 v124, 0x3fb8aa3b, v87, -v104
	v_rndne_f32_e32 v125, v104
	v_fma_f32 v126, 0x3fb8aa3b, v91, -v105
	v_rndne_f32_e32 v127, v105
	;; [unrolled: 2-line block ×20, first 2 shown]
	v_fmac_f32_e32 v124, 0x32a5705f, v87
	v_fmac_f32_e32 v126, 0x32a5705f, v91
	;; [unrolled: 1-line block ×10, first 2 shown]
	v_sub_f32_e32 v104, v104, v125
	v_sub_f32_e32 v105, v105, v127
	;; [unrolled: 1-line block ×10, first 2 shown]
	v_fmac_f32_e32 v152, 0x32a5705f, v30
	v_sub_f32_e32 v118, v118, v153
	v_fmac_f32_e32 v154, 0x32a5705f, v90
	v_sub_f32_e32 v119, v119, v155
	;; [unrolled: 2-line block ×3, first 2 shown]
	v_fmac_f32_e32 v138, 0x32a5705f, v96
	v_fmac_f32_e32 v140, 0x32a5705f, v100
	v_fmac_f32_e32 v148, 0x32a5705f, v97
	v_fmac_f32_e32 v150, 0x32a5705f, v101
	v_sub_f32_e32 v111, v111, v139
	v_sub_f32_e32 v112, v112, v141
	;; [unrolled: 1-line block ×4, first 2 shown]
	v_fmac_f32_e32 v158, 0x32a5705f, v98
	v_sub_f32_e32 v121, v121, v159
	v_fmac_f32_e32 v160, 0x32a5705f, v102
	v_sub_f32_e32 v122, v122, v161
	;; [unrolled: 2-line block ×3, first 2 shown]
	v_add_f32_e32 v104, v104, v124
	v_add_f32_e32 v105, v105, v126
	;; [unrolled: 1-line block ×20, first 2 shown]
	v_exp_f32_e32 v104, v104
	v_exp_f32_e32 v105, v105
	;; [unrolled: 1-line block ×19, first 2 shown]
	v_cvt_i32_f32_e32 v125, v125
	v_cvt_i32_f32_e32 v127, v127
	;; [unrolled: 1-line block ×13, first 2 shown]
	v_exp_f32_e32 v123, v123
	v_cvt_i32_f32_e32 v139, v139
	v_cvt_i32_f32_e32 v141, v141
	;; [unrolled: 1-line block ×7, first 2 shown]
	v_ldexp_f32 v106, v106, v129
	v_cmp_ngt_f32_e64 s0, 0xc2ce8ed0, v95
	v_ldexp_f32 v107, v107, v131
	v_cmp_ngt_f32_e64 s1, 0xc2ce8ed0, v99
	;; [unrolled: 2-line block ×11, first 2 shown]
	v_ldexp_f32 v105, v105, v127
	v_ldexp_f32 v104, v104, v125
	v_cmp_ngt_f32_e64 s20, 0xc2ce8ed0, v87
	v_cmp_ngt_f32_e64 s21, 0xc2ce8ed0, v91
	v_ldexp_f32 v111, v111, v139
	v_cmp_ngt_f32_e64 s7, 0xc2ce8ed0, v96
	v_ldexp_f32 v112, v112, v141
	;; [unrolled: 2-line block ×7, first 2 shown]
	v_cmp_ngt_f32_e64 s19, 0xc2ce8ed0, v29
	v_cndmask_b32_e64 v105, 0, v105, s21
	v_cmp_nlt_f32_e64 s21, 0x42b17218, v91
	v_cndmask_b32_e64 v91, 0, v106, s0
	v_cmp_nlt_f32_e64 s0, 0x42b17218, v95
	;; [unrolled: 2-line block ×20, first 2 shown]
	v_cndmask_b32_e64 v93, 0x7f800000, v93, s20
	v_cndmask_b32_e64 v100, 0x7f800000, v105, s21
	v_cndmask_b32_e64 v96, 0x7f800000, v86, s3
	v_cndmask_b32_e64 v102, 0x7f800000, v88, s6
	v_cndmask_b32_e64 v88, 0x7f800000, v31, s10
	v_cndmask_b32_e64 v98, 0x7f800000, v89, s11
	v_cndmask_b32_e64 v87, 0x7f800000, v30, s15
	v_cndmask_b32_e64 v90, 0x7f800000, v90, s16
	v_cndmask_b32_e64 v101, 0x7f800000, v91, s0
	v_cndmask_b32_e64 v94, 0x7f800000, v95, s1
	v_cndmask_b32_e64 v95, 0x7f800000, v99, s2
	v_cndmask_b32_e64 v104, 0x7f800000, v92, s7
	v_cndmask_b32_e64 v97, 0x7f800000, v106, s8
	v_cndmask_b32_e64 v99, 0x7f800000, v108, s12
	v_cndmask_b32_e64 v89, 0x7f800000, v109, s13
	v_cndmask_b32_e64 v91, 0x7f800000, v111, s17
	v_cndmask_b32_e64 v92, 0x7f800000, v112, s18
	v_cndmask_b32_e64 v86, 0x7f800000, v113, s19
	v_cndmask_b32_e64 v106, 0x7f800000, v107, s9
	v_cndmask_b32_e64 v105, 0x7f800000, v110, s14
	v_cvt_f16_f32_e32 v29, v93
	v_cvt_f16_f32_e32 v31, v100
	v_cvt_f16_f32_e32 v107, v96
	v_cvt_f16_f32_e32 v110, v102
	v_cvt_f16_f32_e32 v30, v88
	v_cvt_f16_f32_e32 v108, v98
	v_cvt_f16_f32_e32 v116, v87
	v_cvt_f16_f32_e32 v118, v90
	v_cvt_f16_f32_e32 v109, v101
	v_cvt_f16_f32_e32 v111, v94
	v_cvt_f16_f32_e32 v112, v104
	v_cvt_f16_f32_e32 v114, v97
	v_cvt_f16_f32_e32 v115, v99
	v_cvt_f16_f32_e32 v117, v89
	v_cvt_f16_f32_e32 v119, v91
	v_cvt_f16_f32_e32 v120, v92
	v_cvt_f16_f32_e32 v113, v95
	v_cvt_f16_f32_e32 v121, v86
	v_cvt_f16_f32_e32 v122, v106
	v_cvt_f16_f32_e32 v123, v105
	v_pack_b32_f16 v30, v30, v116
	v_pack_b32_f16 v29, v29, v107
	;; [unrolled: 1-line block ×8, first 2 shown]
	v_mul_u32_u24_sdwa v31, v113, v78 dst_sel:DWORD dst_unused:UNUSED_PAD src0_sel:WORD_0 src1_sel:DWORD
	v_mul_u32_u24_sdwa v142, v121, v78 dst_sel:DWORD dst_unused:UNUSED_PAD src0_sel:WORD_0 src1_sel:DWORD
	;; [unrolled: 1-line block ×4, first 2 shown]
	ds_write2_b64 v76, v[29:30], v[107:108] offset1:32
	ds_write2_b64 v76, v[109:110], v[111:112] offset0:64 offset1:96
	s_waitcnt vmcnt(3)
	ds_write_b128 v70, v[5:8]
	s_waitcnt vmcnt(2)
	ds_write_b128 v72, v[9:12]
	;; [unrolled: 2-line block ×4, first 2 shown]
	s_waitcnt lgkmcnt(0)
	s_barrier
	buffer_gl0_inv
	ds_read_b128 v[5:8], v71
	ds_read_b128 v[9:12], v71 offset:16
	ds_read_b128 v[13:16], v71 offset:32
	;; [unrolled: 1-line block ×11, first 2 shown]
	v_add_f32_e32 v93, v93, v100
	v_add_f32_e32 v87, v87, v90
	v_mov_b32_e32 v100, v63
	v_add_f32_e32 v88, v88, v98
	v_add_f32_e32 v93, v101, v93
	;; [unrolled: 1-line block ×3, first 2 shown]
	s_waitcnt lgkmcnt(11)
	v_mul_u32_u24_sdwa v145, v5, v78 dst_sel:DWORD dst_unused:UNUSED_PAD src0_sel:WORD_0 src1_sel:DWORD
	v_mul_u32_u24_sdwa v146, v5, v78 dst_sel:DWORD dst_unused:UNUSED_PAD src0_sel:WORD_1 src1_sel:DWORD
	v_mul_u32_u24_sdwa v147, v6, v78 dst_sel:DWORD dst_unused:UNUSED_PAD src0_sel:WORD_0 src1_sel:DWORD
	v_mul_u32_u24_sdwa v148, v6, v78 dst_sel:DWORD dst_unused:UNUSED_PAD src0_sel:WORD_1 src1_sel:DWORD
	;; [unrolled: 2-line block ×4, first 2 shown]
	ds_read2_b64 v[5:8], v52 offset1:32
	s_waitcnt lgkmcnt(11)
	v_mul_u32_u24_sdwa v153, v9, v78 dst_sel:DWORD dst_unused:UNUSED_PAD src0_sel:WORD_0 src1_sel:DWORD
	v_mul_u32_u24_sdwa v154, v9, v78 dst_sel:DWORD dst_unused:UNUSED_PAD src0_sel:WORD_1 src1_sel:DWORD
	v_mul_u32_u24_sdwa v155, v10, v78 dst_sel:DWORD dst_unused:UNUSED_PAD src0_sel:WORD_0 src1_sel:DWORD
	v_mul_u32_u24_sdwa v156, v10, v78 dst_sel:DWORD dst_unused:UNUSED_PAD src0_sel:WORD_1 src1_sel:DWORD
	;; [unrolled: 2-line block ×4, first 2 shown]
	v_pk_mul_f16 v9, v28, v31
	v_pk_mul_f16 v10, v22, v142
	;; [unrolled: 1-line block ×3, first 2 shown]
	s_waitcnt lgkmcnt(10)
	v_mul_u32_u24_sdwa v165, v13, v78 dst_sel:DWORD dst_unused:UNUSED_PAD src0_sel:WORD_0 src1_sel:DWORD
	v_mul_u32_u24_sdwa v167, v13, v78 dst_sel:DWORD dst_unused:UNUSED_PAD src0_sel:WORD_1 src1_sel:DWORD
	v_pk_mul_f16 v13, v25, v143
	v_mul_u32_u24_sdwa v168, v14, v78 dst_sel:DWORD dst_unused:UNUSED_PAD src0_sel:WORD_0 src1_sel:DWORD
	v_mul_u32_u24_sdwa v169, v14, v78 dst_sel:DWORD dst_unused:UNUSED_PAD src0_sel:WORD_1 src1_sel:DWORD
	v_pk_mul_f16 v14, v23, v144
	v_mul_u32_u24_sdwa v170, v15, v78 dst_sel:DWORD dst_unused:UNUSED_PAD src0_sel:WORD_0 src1_sel:DWORD
	v_mul_u32_u24_sdwa v171, v15, v78 dst_sel:DWORD dst_unused:UNUSED_PAD src0_sel:WORD_1 src1_sel:DWORD
	s_waitcnt lgkmcnt(0)
	v_pk_mul_f16 v12, v5, v145
	v_pk_fma_f16 v21, v6, v145, v9
	v_pk_fma_f16 v22, v5, v148, v10
	;; [unrolled: 1-line block ×5, first 2 shown]
	ds_read_b128 v[9:12], v71 offset:192
	v_pk_mul_f16 v13, v5, v146
	v_pk_mul_f16 v5, v5, v147
	v_pk_fma_f16 v6, v6, v147, v14
	v_mul_u32_u24_sdwa v173, v16, v78 dst_sel:DWORD dst_unused:UNUSED_PAD src0_sel:WORD_0 src1_sel:DWORD
	v_mul_u32_u24_sdwa v172, v16, v78 dst_sel:DWORD dst_unused:UNUSED_PAD src0_sel:WORD_1 src1_sel:DWORD
	v_pk_fma_f16 v25, v26, v143, v13
	v_pk_fma_f16 v5, v24, v144, v5
	ds_read_b128 v[13:16], v71 offset:208
	v_pk_fma_f16 v22, v7, v152, v22
	v_pk_fma_f16 v24, v8, v152, v28
	;; [unrolled: 1-line block ×5, first 2 shown]
	v_mul_u32_u24_sdwa v185, v109, v78 dst_sel:DWORD dst_unused:UNUSED_PAD src0_sel:WORD_0 src1_sel:DWORD
	v_mul_u32_u24_sdwa v186, v109, v78 dst_sel:DWORD dst_unused:UNUSED_PAD src0_sel:WORD_1 src1_sel:DWORD
	v_mul_u32_u24_sdwa v202, v121, v78 dst_sel:DWORD dst_unused:UNUSED_PAD src0_sel:WORD_0 src1_sel:DWORD
	v_mul_u32_u24_sdwa v203, v121, v78 dst_sel:DWORD dst_unused:UNUSED_PAD src0_sel:WORD_1 src1_sel:DWORD
	;; [unrolled: 2-line block ×3, first 2 shown]
	s_waitcnt lgkmcnt(1)
	v_mul_u32_u24_sdwa v158, v9, v78 dst_sel:DWORD dst_unused:UNUSED_PAD src0_sel:WORD_0 src1_sel:DWORD
	v_mul_u32_u24_sdwa v159, v9, v78 dst_sel:DWORD dst_unused:UNUSED_PAD src0_sel:WORD_1 src1_sel:DWORD
	v_pk_fma_f16 v9, v8, v150, v23
	v_pk_fma_f16 v23, v7, v150, v25
	v_pk_fma_f16 v25, v8, v151, v6
	ds_read2_b64 v[5:8], v52 offset0:64 offset1:96
	v_mul_u32_u24_sdwa v216, v128, v78 dst_sel:DWORD dst_unused:UNUSED_PAD src0_sel:WORD_0 src1_sel:DWORD
	v_mul_u32_u24_sdwa v217, v128, v78 dst_sel:DWORD dst_unused:UNUSED_PAD src0_sel:WORD_1 src1_sel:DWORD
	v_mul_u32_u24_sdwa v126, v137, v78 dst_sel:DWORD dst_unused:UNUSED_PAD src0_sel:WORD_0 src1_sel:DWORD
	v_mul_u32_u24_sdwa v128, v137, v78 dst_sel:DWORD dst_unused:UNUSED_PAD src0_sel:WORD_1 src1_sel:DWORD
	;; [unrolled: 2-line block ×8, first 2 shown]
	s_waitcnt lgkmcnt(1)
	v_mul_u32_u24_sdwa v138, v13, v78 dst_sel:DWORD dst_unused:UNUSED_PAD src0_sel:WORD_0 src1_sel:DWORD
	v_mul_u32_u24_sdwa v146, v13, v78 dst_sel:DWORD dst_unused:UNUSED_PAD src0_sel:WORD_1 src1_sel:DWORD
	v_mul_u32_u24_sdwa v194, v117, v78 dst_sel:DWORD dst_unused:UNUSED_PAD src0_sel:WORD_0 src1_sel:DWORD
	s_waitcnt lgkmcnt(0)
	v_pk_fma_f16 v22, v5, v156, v22
	v_pk_fma_f16 v21, v6, v153, v21
	;; [unrolled: 1-line block ×8, first 2 shown]
	ds_read2_b64 v[9:12], v52 offset0:128 offset1:160
	v_pk_fma_f16 v22, v7, v164, v22
	v_pk_fma_f16 v26, v8, v164, v6
	;; [unrolled: 1-line block ×8, first 2 shown]
	ds_read_b128 v[5:8], v71 offset:224
	v_mul_u32_u24_sdwa v195, v117, v78 dst_sel:DWORD dst_unused:UNUSED_PAD src0_sel:WORD_1 src1_sel:DWORD
	v_mul_u32_u24_sdwa v204, v122, v78 dst_sel:DWORD dst_unused:UNUSED_PAD src0_sel:WORD_0 src1_sel:DWORD
	v_mul_u32_u24_sdwa v205, v122, v78 dst_sel:DWORD dst_unused:UNUSED_PAD src0_sel:WORD_1 src1_sel:DWORD
	v_mul_u32_u24_sdwa v206, v123, v78 dst_sel:DWORD dst_unused:UNUSED_PAD src0_sel:WORD_0 src1_sel:DWORD
	;; [unrolled: 2-line block ×5, first 2 shown]
	s_waitcnt lgkmcnt(1)
	v_pk_fma_f16 v22, v9, v169, v22
	v_pk_fma_f16 v21, v10, v165, v21
	;; [unrolled: 1-line block ×5, first 2 shown]
	v_mul_u32_u24_sdwa v166, v14, v78 dst_sel:DWORD dst_unused:UNUSED_PAD src0_sel:WORD_1 src1_sel:DWORD
	v_mul_u32_u24_sdwa v150, v15, v78 dst_sel:DWORD dst_unused:UNUSED_PAD src0_sel:WORD_0 src1_sel:DWORD
	v_mul_u32_u24_sdwa v143, v15, v78 dst_sel:DWORD dst_unused:UNUSED_PAD src0_sel:WORD_1 src1_sel:DWORD
	v_mul_u32_u24_sdwa v122, v16, v78 dst_sel:DWORD dst_unused:UNUSED_PAD src0_sel:WORD_0 src1_sel:DWORD
	v_mul_u32_u24_sdwa v162, v16, v78 dst_sel:DWORD dst_unused:UNUSED_PAD src0_sel:WORD_1 src1_sel:DWORD
	ds_read_b128 v[13:16], v71 offset:240
	v_pk_fma_f16 v22, v11, v172, v22
	v_pk_fma_f16 v10, v12, v172, v10
	s_waitcnt lgkmcnt(1)
	v_mul_u32_u24_sdwa v172, v5, v78 dst_sel:DWORD dst_unused:UNUSED_PAD src0_sel:WORD_0 src1_sel:DWORD
	v_mul_u32_u24_sdwa v175, v5, v78 dst_sel:DWORD dst_unused:UNUSED_PAD src0_sel:WORD_1 src1_sel:DWORD
	v_mul_u32_u24_sdwa v178, v6, v78 dst_sel:DWORD dst_unused:UNUSED_PAD src0_sel:WORD_0 src1_sel:DWORD
	v_mul_u32_u24_sdwa v180, v6, v78 dst_sel:DWORD dst_unused:UNUSED_PAD src0_sel:WORD_1 src1_sel:DWORD
	;; [unrolled: 2-line block ×4, first 2 shown]
	ds_read2_b64 v[5:8], v52 offset0:192 offset1:224
	v_pk_fma_f16 v24, v9, v165, v24
	v_pk_fma_f16 v23, v9, v167, v23
	;; [unrolled: 1-line block ×3, first 2 shown]
	v_mul_u32_u24_sdwa v174, v17, v78 dst_sel:DWORD dst_unused:UNUSED_PAD src0_sel:WORD_0 src1_sel:DWORD
	v_mul_u32_u24_sdwa v17, v17, v78 dst_sel:DWORD dst_unused:UNUSED_PAD src0_sel:WORD_1 src1_sel:DWORD
	v_mul_u32_u24_sdwa v176, v18, v78 dst_sel:DWORD dst_unused:UNUSED_PAD src0_sel:WORD_0 src1_sel:DWORD
	v_mul_u32_u24_sdwa v18, v18, v78 dst_sel:DWORD dst_unused:UNUSED_PAD src0_sel:WORD_1 src1_sel:DWORD
	v_pk_fma_f16 v21, v12, v170, v21
	v_pk_fma_f16 v24, v11, v170, v24
	;; [unrolled: 1-line block ×6, first 2 shown]
	v_mul_u32_u24_sdwa v177, v19, v78 dst_sel:DWORD dst_unused:UNUSED_PAD src0_sel:WORD_0 src1_sel:DWORD
	v_mul_u32_u24_sdwa v19, v19, v78 dst_sel:DWORD dst_unused:UNUSED_PAD src0_sel:WORD_1 src1_sel:DWORD
	v_mul_u32_u24_sdwa v179, v20, v78 dst_sel:DWORD dst_unused:UNUSED_PAD src0_sel:WORD_0 src1_sel:DWORD
	v_mul_u32_u24_sdwa v20, v20, v78 dst_sel:DWORD dst_unused:UNUSED_PAD src0_sel:WORD_1 src1_sel:DWORD
	v_mul_u32_u24_sdwa v183, v108, v78 dst_sel:DWORD dst_unused:UNUSED_PAD src0_sel:WORD_0 src1_sel:DWORD
	v_mul_u32_u24_sdwa v184, v108, v78 dst_sel:DWORD dst_unused:UNUSED_PAD src0_sel:WORD_1 src1_sel:DWORD
	s_waitcnt lgkmcnt(0)
	v_pk_fma_f16 v22, v5, v18, v22
	v_pk_fma_f16 v21, v6, v174, v21
	;; [unrolled: 1-line block ×8, first 2 shown]
	v_mul_u32_u24_sdwa v200, v120, v78 dst_sel:DWORD dst_unused:UNUSED_PAD src0_sel:WORD_0 src1_sel:DWORD
	v_mul_u32_u24_sdwa v201, v120, v78 dst_sel:DWORD dst_unused:UNUSED_PAD src0_sel:WORD_1 src1_sel:DWORD
	v_mul_u32_u24_sdwa v120, v140, v78 dst_sel:DWORD dst_unused:UNUSED_PAD src0_sel:WORD_0 src1_sel:DWORD
	v_mul_u32_u24_sdwa v108, v140, v78 dst_sel:DWORD dst_unused:UNUSED_PAD src0_sel:WORD_1 src1_sel:DWORD
	ds_read2_b64 v[9:12], v79 offset1:32
	v_pk_fma_f16 v22, v7, v20, v22
	v_pk_fma_f16 v20, v8, v20, v6
	v_mul_u32_u24_sdwa v140, v13, v78 dst_sel:DWORD dst_unused:UNUSED_PAD src0_sel:WORD_0 src1_sel:DWORD
	v_pk_fma_f16 v21, v8, v177, v21
	v_pk_fma_f16 v18, v7, v177, v18
	v_mul_u32_u24_sdwa v147, v13, v78 dst_sel:DWORD dst_unused:UNUSED_PAD src0_sel:WORD_1 src1_sel:DWORD
	v_pk_fma_f16 v13, v8, v19, v25
	v_pk_fma_f16 v17, v7, v19, v17
	;; [unrolled: 1-line block ×4, first 2 shown]
	ds_read_b128 v[5:8], v71 offset:256
	v_mul_u32_u24_sdwa v181, v107, v78 dst_sel:DWORD dst_unused:UNUSED_PAD src0_sel:WORD_0 src1_sel:DWORD
	v_mul_u32_u24_sdwa v182, v107, v78 dst_sel:DWORD dst_unused:UNUSED_PAD src0_sel:WORD_1 src1_sel:DWORD
	v_mul_u32_u24_sdwa v196, v118, v78 dst_sel:DWORD dst_unused:UNUSED_PAD src0_sel:WORD_0 src1_sel:DWORD
	v_mul_u32_u24_sdwa v197, v118, v78 dst_sel:DWORD dst_unused:UNUSED_PAD src0_sel:WORD_1 src1_sel:DWORD
	;; [unrolled: 2-line block ×9, first 2 shown]
	s_waitcnt lgkmcnt(1)
	v_pk_fma_f16 v21, v10, v181, v21
	v_pk_fma_f16 v24, v10, v182, v13
	v_pk_fma_f16 v18, v9, v181, v18
	ds_read_b128 v[13:16], v71 offset:272
	s_waitcnt lgkmcnt(1)
	v_mul_u32_u24_sdwa v173, v5, v78 dst_sel:DWORD dst_unused:UNUSED_PAD src0_sel:WORD_0 src1_sel:DWORD
	v_mul_u32_u24_sdwa v176, v5, v78 dst_sel:DWORD dst_unused:UNUSED_PAD src0_sel:WORD_1 src1_sel:DWORD
	v_mul_u32_u24_sdwa v179, v6, v78 dst_sel:DWORD dst_unused:UNUSED_PAD src0_sel:WORD_0 src1_sel:DWORD
	v_mul_u32_u24_sdwa v181, v6, v78 dst_sel:DWORD dst_unused:UNUSED_PAD src0_sel:WORD_1 src1_sel:DWORD
	;; [unrolled: 2-line block ×4, first 2 shown]
	ds_read2_b64 v[5:8], v79 offset0:64 offset1:96
	v_mul_u32_u24_sdwa v187, v110, v78 dst_sel:DWORD dst_unused:UNUSED_PAD src0_sel:WORD_0 src1_sel:DWORD
	v_mul_u32_u24_sdwa v110, v110, v78 dst_sel:DWORD dst_unused:UNUSED_PAD src0_sel:WORD_1 src1_sel:DWORD
	v_pk_fma_f16 v22, v9, v184, v22
	v_pk_fma_f16 v19, v10, v183, v19
	;; [unrolled: 1-line block ×5, first 2 shown]
	v_mul_u32_u24_sdwa v188, v111, v78 dst_sel:DWORD dst_unused:UNUSED_PAD src0_sel:WORD_0 src1_sel:DWORD
	v_mul_u32_u24_sdwa v111, v111, v78 dst_sel:DWORD dst_unused:UNUSED_PAD src0_sel:WORD_1 src1_sel:DWORD
	v_mul_u32_u24_sdwa v189, v112, v78 dst_sel:DWORD dst_unused:UNUSED_PAD src0_sel:WORD_0 src1_sel:DWORD
	v_mul_u32_u24_sdwa v112, v112, v78 dst_sel:DWORD dst_unused:UNUSED_PAD src0_sel:WORD_1 src1_sel:DWORD
	v_pk_fma_f16 v20, v11, v110, v22
	v_pk_fma_f16 v10, v12, v110, v10
	;; [unrolled: 1-line block ×8, first 2 shown]
	v_mul_u32_u24_sdwa v190, v113, v78 dst_sel:DWORD dst_unused:UNUSED_PAD src0_sel:WORD_0 src1_sel:DWORD
	v_mul_u32_u24_sdwa v113, v113, v78 dst_sel:DWORD dst_unused:UNUSED_PAD src0_sel:WORD_1 src1_sel:DWORD
	v_mul_u32_u24_sdwa v191, v114, v78 dst_sel:DWORD dst_unused:UNUSED_PAD src0_sel:WORD_0 src1_sel:DWORD
	v_mul_u32_u24_sdwa v114, v114, v78 dst_sel:DWORD dst_unused:UNUSED_PAD src0_sel:WORD_1 src1_sel:DWORD
	s_waitcnt lgkmcnt(0)
	v_pk_fma_f16 v19, v5, v112, v20
	v_pk_fma_f16 v20, v6, v188, v21
	;; [unrolled: 1-line block ×8, first 2 shown]
	ds_read2_b64 v[9:12], v79 offset0:128 offset1:160
	v_pk_fma_f16 v19, v7, v114, v19
	v_pk_fma_f16 v23, v8, v114, v6
	v_mul_u32_u24_sdwa v142, v13, v78 dst_sel:DWORD dst_unused:UNUSED_PAD src0_sel:WORD_0 src1_sel:DWORD
	v_pk_fma_f16 v20, v8, v190, v20
	v_pk_fma_f16 v18, v7, v190, v18
	v_mul_u32_u24_sdwa v148, v13, v78 dst_sel:DWORD dst_unused:UNUSED_PAD src0_sel:WORD_1 src1_sel:DWORD
	v_pk_fma_f16 v13, v8, v113, v21
	v_pk_fma_f16 v17, v7, v113, v17
	;; [unrolled: 1-line block ×4, first 2 shown]
	ds_read_b128 v[5:8], v71 offset:288
	v_mul_u32_u24_sdwa v192, v115, v78 dst_sel:DWORD dst_unused:UNUSED_PAD src0_sel:WORD_0 src1_sel:DWORD
	v_mul_u32_u24_sdwa v115, v115, v78 dst_sel:DWORD dst_unused:UNUSED_PAD src0_sel:WORD_1 src1_sel:DWORD
	v_mul_u32_u24_sdwa v193, v116, v78 dst_sel:DWORD dst_unused:UNUSED_PAD src0_sel:WORD_0 src1_sel:DWORD
	v_mul_u32_u24_sdwa v116, v116, v78 dst_sel:DWORD dst_unused:UNUSED_PAD src0_sel:WORD_1 src1_sel:DWORD
	;; [unrolled: 2-line block ×6, first 2 shown]
	s_waitcnt lgkmcnt(1)
	v_pk_fma_f16 v20, v10, v192, v20
	v_pk_fma_f16 v24, v10, v115, v13
	;; [unrolled: 1-line block ×4, first 2 shown]
	ds_read_b128 v[13:16], v71 offset:304
	v_pk_fma_f16 v19, v9, v116, v19
	v_pk_fma_f16 v18, v9, v192, v18
	s_waitcnt lgkmcnt(1)
	v_mul_u32_u24_sdwa v165, v5, v78 dst_sel:DWORD dst_unused:UNUSED_PAD src0_sel:WORD_0 src1_sel:DWORD
	v_mul_u32_u24_sdwa v169, v5, v78 dst_sel:DWORD dst_unused:UNUSED_PAD src0_sel:WORD_1 src1_sel:DWORD
	v_mul_u32_u24_sdwa v171, v6, v78 dst_sel:DWORD dst_unused:UNUSED_PAD src0_sel:WORD_0 src1_sel:DWORD
	v_mul_u32_u24_sdwa v177, v6, v78 dst_sel:DWORD dst_unused:UNUSED_PAD src0_sel:WORD_1 src1_sel:DWORD
	v_mul_u32_u24_sdwa v31, v7, v78 dst_sel:DWORD dst_unused:UNUSED_PAD src0_sel:WORD_0 src1_sel:DWORD
	v_mul_u32_u24_sdwa v26, v7, v78 dst_sel:DWORD dst_unused:UNUSED_PAD src0_sel:WORD_1 src1_sel:DWORD
	v_mul_u32_u24_sdwa v23, v8, v78 dst_sel:DWORD dst_unused:UNUSED_PAD src0_sel:WORD_0 src1_sel:DWORD
	v_mul_u32_u24_sdwa v114, v8, v78 dst_sel:DWORD dst_unused:UNUSED_PAD src0_sel:WORD_1 src1_sel:DWORD
	ds_read2_b64 v[5:8], v79 offset0:192 offset1:224
	v_pk_fma_f16 v17, v9, v115, v17
	v_pk_fma_f16 v9, v9, v193, v22
	;; [unrolled: 1-line block ×10, first 2 shown]
	s_waitcnt lgkmcnt(1)
	v_mul_u32_u24_sdwa v110, v13, v78 dst_sel:DWORD dst_unused:UNUSED_PAD src0_sel:WORD_0 src1_sel:DWORD
	v_mul_u32_u24_sdwa v111, v13, v78 dst_sel:DWORD dst_unused:UNUSED_PAD src0_sel:WORD_1 src1_sel:DWORD
	v_mul_u32_u24_sdwa v112, v14, v78 dst_sel:DWORD dst_unused:UNUSED_PAD src0_sel:WORD_0 src1_sel:DWORD
	v_mul_u32_u24_sdwa v116, v14, v78 dst_sel:DWORD dst_unused:UNUSED_PAD src0_sel:WORD_1 src1_sel:DWORD
	v_mul_u32_u24_sdwa v115, v16, v78 dst_sel:DWORD dst_unused:UNUSED_PAD src0_sel:WORD_1 src1_sel:DWORD
	ds_read_b128 v[182:185], v71 offset:320
	ds_read_b128 v[186:189], v71 offset:336
	v_mul_u32_u24_sdwa v113, v15, v78 dst_sel:DWORD dst_unused:UNUSED_PAD src0_sel:WORD_0 src1_sel:DWORD
	v_mul_u32_u24_sdwa v132, v134, v78 dst_sel:DWORD dst_unused:UNUSED_PAD src0_sel:WORD_0 src1_sel:DWORD
	s_waitcnt lgkmcnt(2)
	v_pk_fma_f16 v11, v5, v201, v19
	v_pk_fma_f16 v21, v6, v198, v20
	;; [unrolled: 1-line block ×7, first 2 shown]
	ds_read2_b64 v[17:20], v80 offset1:32
	v_pk_fma_f16 v5, v5, v200, v9
	v_pk_fma_f16 v9, v7, v205, v11
	;; [unrolled: 1-line block ×9, first 2 shown]
	v_mul_u32_u24_sdwa v5, v16, v78 dst_sel:DWORD dst_unused:UNUSED_PAD src0_sel:WORD_0 src1_sel:DWORD
	v_mul_u32_u24_sdwa v6, v15, v78 dst_sel:DWORD dst_unused:UNUSED_PAD src0_sel:WORD_1 src1_sel:DWORD
	s_waitcnt lgkmcnt(2)
	v_mul_u32_u24_sdwa v15, v183, v78 dst_sel:DWORD dst_unused:UNUSED_PAD src0_sel:WORD_1 src1_sel:DWORD
	v_mul_u32_u24_sdwa v133, v134, v78 dst_sel:DWORD dst_unused:UNUSED_PAD src0_sel:WORD_1 src1_sel:DWORD
	v_mul_u32_u24_sdwa v134, v135, v78 dst_sel:DWORD dst_unused:UNUSED_PAD src0_sel:WORD_0 src1_sel:DWORD
	v_mul_u32_u24_sdwa v135, v135, v78 dst_sel:DWORD dst_unused:UNUSED_PAD src0_sel:WORD_1 src1_sel:DWORD
	v_add_f32_e32 v63, v94, v93
	v_add_f32_e32 v93, v96, v102
	v_add_f32_e32 v88, v99, v88
	v_add_f32_e32 v87, v92, v87
	s_waitcnt lgkmcnt(0)
	v_pk_fma_f16 v9, v17, v209, v9
	v_pk_fma_f16 v12, v18, v206, v21
	;; [unrolled: 1-line block ×16, first 2 shown]
	ds_read2_b64 v[17:20], v80 offset0:64 offset1:96
	v_mul_u32_u24_sdwa v8, v182, v78 dst_sel:DWORD dst_unused:UNUSED_PAD src0_sel:WORD_0 src1_sel:DWORD
	v_mul_u32_u24_sdwa v9, v182, v78 dst_sel:DWORD dst_unused:UNUSED_PAD src0_sel:WORD_1 src1_sel:DWORD
	v_mul_u32_u24_sdwa v12, v183, v78 dst_sel:DWORD dst_unused:UNUSED_PAD src0_sel:WORD_0 src1_sel:DWORD
	v_mul_u32_u24_sdwa v10, v184, v78 dst_sel:DWORD dst_unused:UNUSED_PAD src0_sel:WORD_0 src1_sel:DWORD
	v_mul_u32_u24_sdwa v11, v184, v78 dst_sel:DWORD dst_unused:UNUSED_PAD src0_sel:WORD_1 src1_sel:DWORD
	v_mul_u32_u24_sdwa v7, v185, v78 dst_sel:DWORD dst_unused:UNUSED_PAD src0_sel:WORD_0 src1_sel:DWORD
	v_mul_u32_u24_sdwa v13, v185, v78 dst_sel:DWORD dst_unused:UNUSED_PAD src0_sel:WORD_1 src1_sel:DWORD
	ds_read2_b64 v[182:185], v80 offset0:128 offset1:160
	v_add_f32_e32 v93, v104, v93
	v_mov_b32_e32 v94, v62
	v_fmac_f32_e32 v63, v100, v95
	v_add_f32_e32 v62, v97, v93
	v_mov_b32_e32 v93, v61
	v_add_f32_e32 v61, v89, v88
	v_mov_b32_e32 v88, v60
	v_mov_b32_e32 v60, v87
	v_fmac_f32_e32 v62, v94, v106
	s_waitcnt lgkmcnt(1)
	v_pk_fma_f16 v16, v17, v217, v16
	v_pk_fma_f16 v22, v18, v214, v22
	;; [unrolled: 1-line block ×10, first 2 shown]
	v_mul_u32_u24_sdwa v14, v186, v78 dst_sel:DWORD dst_unused:UNUSED_PAD src0_sel:WORD_0 src1_sel:DWORD
	v_pk_fma_f16 v28, v20, v218, v22
	v_pk_fma_f16 v174, v19, v218, v18
	v_mul_u32_u24_sdwa v16, v186, v78 dst_sel:DWORD dst_unused:UNUSED_PAD src0_sel:WORD_1 src1_sel:DWORD
	v_pk_fma_f16 v25, v20, v219, v25
	v_pk_fma_f16 v190, v19, v219, v21
	v_mul_u32_u24_sdwa v18, v187, v78 dst_sel:DWORD dst_unused:UNUSED_PAD src0_sel:WORD_0 src1_sel:DWORD
	v_pk_fma_f16 v170, v20, v220, v170
	v_pk_fma_f16 v191, v19, v220, v17
	v_mul_u32_u24_sdwa v22, v187, v78 dst_sel:DWORD dst_unused:UNUSED_PAD src0_sel:WORD_1 src1_sel:DWORD
	v_mul_u32_u24_sdwa v19, v188, v78 dst_sel:DWORD dst_unused:UNUSED_PAD src0_sel:WORD_0 src1_sel:DWORD
	v_mul_u32_u24_sdwa v20, v188, v78 dst_sel:DWORD dst_unused:UNUSED_PAD src0_sel:WORD_1 src1_sel:DWORD
	v_mul_u32_u24_sdwa v17, v189, v78 dst_sel:DWORD dst_unused:UNUSED_PAD src0_sel:WORD_0 src1_sel:DWORD
	v_mul_u32_u24_sdwa v21, v189, v78 dst_sel:DWORD dst_unused:UNUSED_PAD src0_sel:WORD_1 src1_sel:DWORD
	ds_read_b128 v[186:189], v71 offset:352
	s_waitcnt lgkmcnt(1)
	v_pk_fma_f16 v24, v182, v135, v24
	v_pk_fma_f16 v28, v183, v132, v28
	;; [unrolled: 1-line block ×8, first 2 shown]
	ds_read_b128 v[190:193], v71 offset:368
	v_pk_fma_f16 v174, v184, v128, v24
	v_pk_fma_f16 v182, v185, v128, v25
	;; [unrolled: 1-line block ×5, first 2 shown]
	v_fmac_f32_e32 v60, v88, v86
	v_fmac_f32_e32 v61, v93, v105
	s_waitcnt lgkmcnt(1)
	v_mul_u32_u24_sdwa v25, v186, v78 dst_sel:DWORD dst_unused:UNUSED_PAD src0_sel:WORD_0 src1_sel:DWORD
	v_mul_u32_u24_sdwa v29, v186, v78 dst_sel:DWORD dst_unused:UNUSED_PAD src0_sel:WORD_1 src1_sel:DWORD
	v_pk_fma_f16 v186, v185, v30, v194
	v_pk_fma_f16 v194, v184, v30, v132
	;; [unrolled: 1-line block ×3, first 2 shown]
	ds_read2_b64 v[132:135], v80 offset0:192 offset1:224
	v_mul_u32_u24_sdwa v30, v187, v78 dst_sel:DWORD dst_unused:UNUSED_PAD src0_sel:WORD_0 src1_sel:DWORD
	v_mul_u32_u24_sdwa v128, v187, v78 dst_sel:DWORD dst_unused:UNUSED_PAD src0_sel:WORD_1 src1_sel:DWORD
	v_mul_u32_u24_sdwa v27, v188, v78 dst_sel:DWORD dst_unused:UNUSED_PAD src0_sel:WORD_0 src1_sel:DWORD
	v_mul_u32_u24_sdwa v28, v188, v78 dst_sel:DWORD dst_unused:UNUSED_PAD src0_sel:WORD_1 src1_sel:DWORD
	;; [unrolled: 2-line block ×3, first 2 shown]
	s_waitcnt lgkmcnt(0)
	v_pk_fma_f16 v174, v132, v131, v174
	v_pk_fma_f16 v187, v133, v119, v183
	;; [unrolled: 1-line block ×8, first 2 shown]
	ds_read2_b64 v[182:185], v81 offset1:32
	v_pk_fma_f16 v174, v134, v130, v174
	v_pk_fma_f16 v194, v135, v130, v131
	;; [unrolled: 1-line block ×8, first 2 shown]
	ds_read_b128 v[186:189], v71 offset:384
	v_mul_u32_u24_sdwa v127, v190, v78 dst_sel:DWORD dst_unused:UNUSED_PAD src0_sel:WORD_0 src1_sel:DWORD
	v_mul_u32_u24_sdwa v129, v190, v78 dst_sel:DWORD dst_unused:UNUSED_PAD src0_sel:WORD_1 src1_sel:DWORD
	v_mul_u32_u24_sdwa v131, v191, v78 dst_sel:DWORD dst_unused:UNUSED_PAD src0_sel:WORD_0 src1_sel:DWORD
	v_mul_u32_u24_sdwa v135, v191, v78 dst_sel:DWORD dst_unused:UNUSED_PAD src0_sel:WORD_1 src1_sel:DWORD
	;; [unrolled: 2-line block ×4, first 2 shown]
	ds_read_b128 v[190:193], v71 offset:400
	s_waitcnt lgkmcnt(2)
	v_pk_fma_f16 v174, v182, v161, v174
	v_pk_fma_f16 v195, v183, v158, v195
	;; [unrolled: 1-line block ×16, first 2 shown]
	ds_read2_b64 v[182:185], v81 offset0:64 offset1:96
	s_waitcnt lgkmcnt(2)
	v_mul_u32_u24_sdwa v149, v186, v78 dst_sel:DWORD dst_unused:UNUSED_PAD src0_sel:WORD_0 src1_sel:DWORD
	v_mul_u32_u24_sdwa v160, v186, v78 dst_sel:DWORD dst_unused:UNUSED_PAD src0_sel:WORD_1 src1_sel:DWORD
	v_mul_u32_u24_sdwa v161, v187, v78 dst_sel:DWORD dst_unused:UNUSED_PAD src0_sel:WORD_0 src1_sel:DWORD
	v_mul_u32_u24_sdwa v174, v187, v78 dst_sel:DWORD dst_unused:UNUSED_PAD src0_sel:WORD_1 src1_sel:DWORD
	;; [unrolled: 2-line block ×4, first 2 shown]
	ds_read2_b64 v[186:189], v81 offset0:128 offset1:160
	s_waitcnt lgkmcnt(1)
	v_pk_fma_f16 v109, v182, v166, v194
	v_pk_fma_f16 v194, v183, v138, v195
	;; [unrolled: 1-line block ×8, first 2 shown]
	v_mul_u32_u24_sdwa v138, v190, v78 dst_sel:DWORD dst_unused:UNUSED_PAD src0_sel:WORD_0 src1_sel:DWORD
	v_pk_fma_f16 v183, v185, v162, v166
	v_pk_fma_f16 v194, v185, v150, v194
	;; [unrolled: 1-line block ×3, first 2 shown]
	v_mul_u32_u24_sdwa v146, v190, v78 dst_sel:DWORD dst_unused:UNUSED_PAD src0_sel:WORD_1 src1_sel:DWORD
	v_pk_fma_f16 v190, v185, v143, v120
	v_pk_fma_f16 v185, v185, v122, v121
	;; [unrolled: 1-line block ×3, first 2 shown]
	ds_read_b128 v[119:122], v71 offset:416
	v_pk_fma_f16 v108, v184, v143, v108
	v_pk_fma_f16 v109, v184, v162, v109
	v_mul_u32_u24_sdwa v143, v191, v78 dst_sel:DWORD dst_unused:UNUSED_PAD src0_sel:WORD_0 src1_sel:DWORD
	v_mul_u32_u24_sdwa v182, v191, v78 dst_sel:DWORD dst_unused:UNUSED_PAD src0_sel:WORD_1 src1_sel:DWORD
	v_mul_u32_u24_sdwa v150, v192, v78 dst_sel:DWORD dst_unused:UNUSED_PAD src0_sel:WORD_0 src1_sel:DWORD
	v_mul_u32_u24_sdwa v155, v192, v78 dst_sel:DWORD dst_unused:UNUSED_PAD src0_sel:WORD_1 src1_sel:DWORD
	s_waitcnt lgkmcnt(1)
	v_pk_fma_f16 v191, v187, v172, v194
	v_pk_fma_f16 v190, v187, v175, v190
	;; [unrolled: 1-line block ×5, first 2 shown]
	v_mul_u32_u24_sdwa v162, v193, v78 dst_sel:DWORD dst_unused:UNUSED_PAD src0_sel:WORD_0 src1_sel:DWORD
	v_mul_u32_u24_sdwa v166, v193, v78 dst_sel:DWORD dst_unused:UNUSED_PAD src0_sel:WORD_1 src1_sel:DWORD
	v_pk_fma_f16 v109, v186, v180, v109
	v_pk_fma_f16 v180, v187, v180, v183
	;; [unrolled: 1-line block ×3, first 2 shown]
	ds_read_b128 v[183:186], v71 offset:432
	v_pk_fma_f16 v175, v189, v139, v191
	v_pk_fma_f16 v139, v188, v139, v172
	s_waitcnt lgkmcnt(1)
	v_mul_u32_u24_sdwa v193, v119, v78 dst_sel:DWORD dst_unused:UNUSED_PAD src0_sel:WORD_0 src1_sel:DWORD
	v_mul_u32_u24_sdwa v172, v119, v78 dst_sel:DWORD dst_unused:UNUSED_PAD src0_sel:WORD_1 src1_sel:DWORD
	v_pk_fma_f16 v178, v189, v123, v190
	v_pk_fma_f16 v108, v188, v123, v108
	v_mul_u32_u24_sdwa v191, v120, v78 dst_sel:DWORD dst_unused:UNUSED_PAD src0_sel:WORD_0 src1_sel:DWORD
	v_pk_fma_f16 v123, v189, v117, v192
	v_mul_u32_u24_sdwa v192, v120, v78 dst_sel:DWORD dst_unused:UNUSED_PAD src0_sel:WORD_1 src1_sel:DWORD
	v_mul_u32_u24_sdwa v194, v121, v78 dst_sel:DWORD dst_unused:UNUSED_PAD src0_sel:WORD_0 src1_sel:DWORD
	v_mul_u32_u24_sdwa v195, v121, v78 dst_sel:DWORD dst_unused:UNUSED_PAD src0_sel:WORD_1 src1_sel:DWORD
	v_mul_u32_u24_sdwa v196, v122, v78 dst_sel:DWORD dst_unused:UNUSED_PAD src0_sel:WORD_0 src1_sel:DWORD
	v_mul_u32_u24_sdwa v197, v122, v78 dst_sel:DWORD dst_unused:UNUSED_PAD src0_sel:WORD_1 src1_sel:DWORD
	ds_read2_b64 v[119:122], v81 offset0:192 offset1:224
	v_pk_fma_f16 v109, v188, v151, v109
	v_pk_fma_f16 v151, v189, v151, v180
	;; [unrolled: 1-line block ×3, first 2 shown]
	ds_read2_b64 v[187:190], v82 offset1:32
	s_waitcnt lgkmcnt(2)
	v_mul_u32_u24_sdwa v198, v183, v78 dst_sel:DWORD dst_unused:UNUSED_PAD src0_sel:WORD_0 src1_sel:DWORD
	v_mul_u32_u24_sdwa v199, v183, v78 dst_sel:DWORD dst_unused:UNUSED_PAD src0_sel:WORD_1 src1_sel:DWORD
	v_mul_u32_u24_sdwa v200, v184, v78 dst_sel:DWORD dst_unused:UNUSED_PAD src0_sel:WORD_0 src1_sel:DWORD
	v_mul_u32_u24_sdwa v201, v184, v78 dst_sel:DWORD dst_unused:UNUSED_PAD src0_sel:WORD_1 src1_sel:DWORD
	;; [unrolled: 2-line block ×4, first 2 shown]
	ds_read2_b64 v[183:186], v84 offset0:128 offset1:160
	s_waitcnt lgkmcnt(2)
	v_pk_fma_f16 v109, v119, v167, v109
	v_pk_fma_f16 v117, v120, v140, v175
	;; [unrolled: 1-line block ×16, first 2 shown]
	ds_read_b128 v[119:122], v71 offset:448
	s_waitcnt lgkmcnt(2)
	v_pk_fma_f16 v109, v187, v181, v109
	v_pk_fma_f16 v117, v188, v173, v117
	;; [unrolled: 1-line block ×8, first 2 shown]
	ds_read_b128 v[178:181], v71 offset:464
	v_pk_fma_f16 v109, v189, v153, v109
	v_pk_fma_f16 v144, v190, v141, v117
	;; [unrolled: 1-line block ×8, first 2 shown]
	v_add_co_u32 v156, s1, s47, v46
	s_waitcnt lgkmcnt(1)
	v_mul_u32_u24_sdwa v173, v119, v78 dst_sel:DWORD dst_unused:UNUSED_PAD src0_sel:WORD_0 src1_sel:DWORD
	v_mul_u32_u24_sdwa v187, v119, v78 dst_sel:DWORD dst_unused:UNUSED_PAD src0_sel:WORD_1 src1_sel:DWORD
	v_mul_u32_u24_sdwa v188, v120, v78 dst_sel:DWORD dst_unused:UNUSED_PAD src0_sel:WORD_0 src1_sel:DWORD
	v_mul_u32_u24_sdwa v189, v120, v78 dst_sel:DWORD dst_unused:UNUSED_PAD src0_sel:WORD_1 src1_sel:DWORD
	ds_read2_b64 v[117:120], v82 offset0:64 offset1:96
	v_mul_u32_u24_sdwa v190, v121, v78 dst_sel:DWORD dst_unused:UNUSED_PAD src0_sel:WORD_0 src1_sel:DWORD
	v_mul_u32_u24_sdwa v206, v121, v78 dst_sel:DWORD dst_unused:UNUSED_PAD src0_sel:WORD_1 src1_sel:DWORD
	v_mul_u32_u24_sdwa v207, v122, v78 dst_sel:DWORD dst_unused:UNUSED_PAD src0_sel:WORD_0 src1_sel:DWORD
	v_mul_u32_u24_sdwa v208, v122, v78 dst_sel:DWORD dst_unused:UNUSED_PAD src0_sel:WORD_1 src1_sel:DWORD
	v_add_co_u32 v163, s2, s47, v48
	s_waitcnt lgkmcnt(1)
	v_mul_u32_u24_sdwa v209, v178, v78 dst_sel:DWORD dst_unused:UNUSED_PAD src0_sel:WORD_0 src1_sel:DWORD
	v_mul_u32_u24_sdwa v210, v178, v78 dst_sel:DWORD dst_unused:UNUSED_PAD src0_sel:WORD_1 src1_sel:DWORD
	v_mul_u32_u24_sdwa v211, v179, v78 dst_sel:DWORD dst_unused:UNUSED_PAD src0_sel:WORD_0 src1_sel:DWORD
	s_waitcnt lgkmcnt(0)
	v_pk_fma_f16 v121, v118, v142, v144
	v_pk_fma_f16 v141, v118, v148, v124
	;; [unrolled: 1-line block ×4, first 2 shown]
	ds_read2_b64 v[122:125], v82 offset0:128 offset1:160
	v_pk_fma_f16 v118, v118, v168, v140
	v_pk_fma_f16 v108, v117, v148, v108
	;; [unrolled: 1-line block ×4, first 2 shown]
	ds_read_b128 v[139:142], v71 offset:480
	v_pk_fma_f16 v109, v117, v168, v109
	v_pk_fma_f16 v107, v117, v157, v107
	;; [unrolled: 1-line block ×8, first 2 shown]
	ds_read_b128 v[151:154], v71 offset:496
	v_mul_u32_u24_sdwa v136, v179, v78 dst_sel:DWORD dst_unused:UNUSED_PAD src0_sel:WORD_1 src1_sel:DWORD
	v_mul_u32_u24_sdwa v107, v180, v78 dst_sel:DWORD dst_unused:UNUSED_PAD src0_sel:WORD_0 src1_sel:DWORD
	v_mul_u32_u24_sdwa v108, v180, v78 dst_sel:DWORD dst_unused:UNUSED_PAD src0_sel:WORD_1 src1_sel:DWORD
	v_mul_u32_u24_sdwa v109, v181, v78 dst_sel:DWORD dst_unused:UNUSED_PAD src0_sel:WORD_0 src1_sel:DWORD
	v_mul_u32_u24_sdwa v179, v181, v78 dst_sel:DWORD dst_unused:UNUSED_PAD src0_sel:WORD_1 src1_sel:DWORD
	s_waitcnt lgkmcnt(2)
	v_pk_fma_f16 v117, v122, v177, v117
	v_pk_fma_f16 v121, v123, v165, v121
	;; [unrolled: 1-line block ×10, first 2 shown]
	s_waitcnt lgkmcnt(1)
	v_mul_u32_u24_sdwa v117, v139, v78 dst_sel:DWORD dst_unused:UNUSED_PAD src0_sel:WORD_0 src1_sel:DWORD
	v_pk_fma_f16 v147, v125, v31, v121
	v_pk_fma_f16 v31, v124, v31, v123
	v_mul_u32_u24_sdwa v118, v139, v78 dst_sel:DWORD dst_unused:UNUSED_PAD src0_sel:WORD_1 src1_sel:DWORD
	v_pk_fma_f16 v144, v125, v26, v144
	v_pk_fma_f16 v26, v124, v26, v145
	v_mul_u32_u24_sdwa v123, v140, v78 dst_sel:DWORD dst_unused:UNUSED_PAD src0_sel:WORD_0 src1_sel:DWORD
	v_pk_fma_f16 v145, v125, v23, v120
	v_pk_fma_f16 v23, v124, v23, v119
	v_mul_u32_u24_sdwa v125, v140, v78 dst_sel:DWORD dst_unused:UNUSED_PAD src0_sel:WORD_1 src1_sel:DWORD
	v_mul_u32_u24_sdwa v119, v141, v78 dst_sel:DWORD dst_unused:UNUSED_PAD src0_sel:WORD_0 src1_sel:DWORD
	v_mul_u32_u24_sdwa v120, v141, v78 dst_sel:DWORD dst_unused:UNUSED_PAD src0_sel:WORD_1 src1_sel:DWORD
	v_mul_u32_u24_sdwa v121, v142, v78 dst_sel:DWORD dst_unused:UNUSED_PAD src0_sel:WORD_0 src1_sel:DWORD
	v_mul_u32_u24_sdwa v124, v142, v78 dst_sel:DWORD dst_unused:UNUSED_PAD src0_sel:WORD_1 src1_sel:DWORD
	ds_read2_b64 v[139:142], v82 offset0:192 offset1:224
	v_add_co_u32 v148, s0, s47, v44
	v_add_co_ci_u32_e64 v157, null, s46, v45, s0
	ds_read2_b64 v[175:178], v84 offset0:64 offset1:96
	s_waitcnt lgkmcnt(1)
	v_pk_fma_f16 v122, v139, v116, v122
	v_pk_fma_f16 v114, v140, v116, v114
	;; [unrolled: 1-line block ×8, first 2 shown]
	v_add_co_ci_u32_e64 v139, null, s46, v43, vcc_lo
	v_add_co_u32 v144, vcc_lo, v103, v77
	v_pk_fma_f16 v169, v142, v6, v110
	v_pk_fma_f16 v6, v141, v6, v26
	;; [unrolled: 1-line block ×4, first 2 shown]
	v_add_co_ci_u32_e64 v23, null, s46, v47, s1
	v_add_co_ci_u32_e64 v145, null, 0, v139, vcc_lo
	v_add_co_u32 v147, vcc_lo, v148, v77
	v_add_co_ci_u32_e64 v140, null, s46, v49, s2
	v_add_co_ci_u32_e64 v148, null, 0, v157, vcc_lo
	v_add_co_u32 v156, vcc_lo, v156, v77
	v_add_co_ci_u32_e64 v157, null, 0, v23, vcc_lo
	v_add_co_u32 v163, vcc_lo, v163, v77
	v_pk_fma_f16 v165, v141, v115, v122
	v_pk_fma_f16 v167, v142, v115, v114
	;; [unrolled: 1-line block ×4, first 2 shown]
	v_add_co_ci_u32_e64 v164, null, 0, v140, vcc_lo
	ds_read2_b64 v[139:142], v83 offset1:32
	v_mul_u32_u24_sdwa v111, v151, v78 dst_sel:DWORD dst_unused:UNUSED_PAD src0_sel:WORD_0 src1_sel:DWORD
	v_mul_u32_u24_sdwa v112, v151, v78 dst_sel:DWORD dst_unused:UNUSED_PAD src0_sel:WORD_1 src1_sel:DWORD
	v_mul_u32_u24_sdwa v115, v152, v78 dst_sel:DWORD dst_unused:UNUSED_PAD src0_sel:WORD_0 src1_sel:DWORD
	v_mul_u32_u24_sdwa v122, v152, v78 dst_sel:DWORD dst_unused:UNUSED_PAD src0_sel:WORD_1 src1_sel:DWORD
	;; [unrolled: 2-line block ×4, first 2 shown]
	ds_read2_b64 v[151:154], v83 offset0:192 offset1:224
	s_waitcnt lgkmcnt(1)
	v_pk_fma_f16 v23, v139, v15, v165
	v_pk_fma_f16 v15, v140, v15, v167
	;; [unrolled: 1-line block ×14, first 2 shown]
	ds_read2_b64 v[8:11], v83 offset0:64 offset1:96
	v_pk_fma_f16 v26, v142, v7, v26
	v_pk_fma_f16 v5, v141, v7, v5
	ds_read2_b64 v[139:142], v83 offset0:128 offset1:160
	s_waitcnt lgkmcnt(1)
	v_pk_fma_f16 v7, v8, v22, v12
	v_pk_fma_f16 v12, v9, v22, v13
	;; [unrolled: 1-line block ×14, first 2 shown]
	ds_read2_b64 v[18:21], v84 offset1:32
	v_pk_fma_f16 v9, v11, v17, v9
	s_waitcnt lgkmcnt(1)
	v_pk_fma_f16 v7, v139, v128, v7
	v_pk_fma_f16 v8, v140, v128, v8
	;; [unrolled: 1-line block ×32, first 2 shown]
	s_waitcnt lgkmcnt(0)
	v_pk_fma_f16 v22, v18, v174, v22
	v_pk_fma_f16 v23, v19, v174, v23
	;; [unrolled: 1-line block ×6, first 2 shown]
	ds_read2_b64 v[25:28], v84 offset0:192 offset1:224
	ds_read2_b64 v[139:142], v85 offset1:32
	ds_read2_b64 v[13:16], v85 offset0:64 offset1:96
	ds_read2_b64 v[9:12], v85 offset0:128 offset1:160
	v_pk_fma_f16 v103, v153, v130, v5
	ds_read2_b64 v[5:8], v85 offset0:192 offset1:224
	s_waitcnt lgkmcnt(0)
	s_barrier
	buffer_gl0_inv
	s_clause 0x1
	global_load_dwordx4 v[131:134], v[144:145], off
	global_load_dwordx4 v[151:154], v[147:148], off
	v_pk_fma_f16 v17, v19, v161, v17
	v_pk_fma_f16 v19, v20, v170, v22
	;; [unrolled: 1-line block ×3, first 2 shown]
	global_load_dwordx4 v[167:170], v[156:157], off
	v_pk_fma_f16 v23, v21, v158, v24
	v_pk_fma_f16 v24, v21, v159, v29
	;; [unrolled: 1-line block ×4, first 2 shown]
	global_load_dwordx4 v[156:159], v[163:164], off
	v_pk_fma_f16 v18, v18, v161, v103
	v_pk_fma_f16 v17, v21, v137, v17
	;; [unrolled: 1-line block ×89, first 2 shown]
	s_waitcnt vmcnt(3)
	ds_write_b128 v70, v[131:134]
	s_waitcnt vmcnt(2)
	ds_write_b128 v72, v[151:154]
	;; [unrolled: 2-line block ×4, first 2 shown]
	s_waitcnt lgkmcnt(0)
	s_barrier
	buffer_gl0_inv
	ds_read_b128 v[28:31], v71 offset:512
	ds_read_b128 v[24:27], v71 offset:528
	;; [unrolled: 1-line block ×12, first 2 shown]
	v_pk_fma_f16 v103, v9, v118, v103
	v_pk_fma_f16 v9, v9, v123, v13
	;; [unrolled: 1-line block ×13, first 2 shown]
	s_waitcnt lgkmcnt(9)
	v_mul_u32_u24_sdwa v208, v22, v78 dst_sel:DWORD dst_unused:UNUSED_PAD src0_sel:WORD_0 src1_sel:DWORD
	v_mul_u32_u24_sdwa v209, v22, v78 dst_sel:DWORD dst_unused:UNUSED_PAD src0_sel:WORD_1 src1_sel:DWORD
	v_pk_fma_f16 v13, v6, v111, v117
	v_pk_fma_f16 v22, v6, v112, v118
	;; [unrolled: 1-line block ×8, first 2 shown]
	ds_read_b128 v[9:12], v71 offset:704
	v_mul_u32_u24_sdwa v125, v28, v78 dst_sel:DWORD dst_unused:UNUSED_PAD src0_sel:WORD_0 src1_sel:DWORD
	v_mul_u32_u24_sdwa v126, v28, v78 dst_sel:DWORD dst_unused:UNUSED_PAD src0_sel:WORD_1 src1_sel:DWORD
	v_mul_u32_u24_sdwa v148, v24, v78 dst_sel:DWORD dst_unused:UNUSED_PAD src0_sel:WORD_0 src1_sel:DWORD
	v_mul_u32_u24_sdwa v197, v24, v78 dst_sel:DWORD dst_unused:UNUSED_PAD src0_sel:WORD_1 src1_sel:DWORD
	;; [unrolled: 2-line block ×3, first 2 shown]
	s_waitcnt lgkmcnt(8)
	v_mul_u32_u24_sdwa v14, v134, v78 dst_sel:DWORD dst_unused:UNUSED_PAD src0_sel:WORD_0 src1_sel:DWORD
	v_mul_u32_u24_sdwa v20, v134, v78 dst_sel:DWORD dst_unused:UNUSED_PAD src0_sel:WORD_1 src1_sel:DWORD
	s_waitcnt lgkmcnt(7)
	v_mul_u32_u24_sdwa v123, v137, v78 dst_sel:DWORD dst_unused:UNUSED_PAD src0_sel:WORD_0 src1_sel:DWORD
	v_mul_u32_u24_sdwa v134, v137, v78 dst_sel:DWORD dst_unused:UNUSED_PAD src0_sel:WORD_1 src1_sel:DWORD
	;; [unrolled: 3-line block ×3, first 2 shown]
	v_mul_u32_u24_sdwa v24, v145, v78 dst_sel:DWORD dst_unused:UNUSED_PAD src0_sel:WORD_0 src1_sel:DWORD
	v_mul_u32_u24_sdwa v108, v145, v78 dst_sel:DWORD dst_unused:UNUSED_PAD src0_sel:WORD_1 src1_sel:DWORD
	v_pk_fma_f16 v13, v8, v113, v13
	v_pk_fma_f16 v22, v8, v114, v22
	;; [unrolled: 1-line block ×5, first 2 shown]
	ds_read_b128 v[5:8], v71 offset:720
	s_waitcnt lgkmcnt(1)
	v_mul_u32_u24_sdwa v137, v9, v78 dst_sel:DWORD dst_unused:UNUSED_PAD src0_sel:WORD_0 src1_sel:DWORD
	v_mul_u32_u24_sdwa v130, v9, v78 dst_sel:DWORD dst_unused:UNUSED_PAD src0_sel:WORD_1 src1_sel:DWORD
	v_mul_u32_u24_sdwa v124, v10, v78 dst_sel:DWORD dst_unused:UNUSED_PAD src0_sel:WORD_0 src1_sel:DWORD
	v_mul_u32_u24_sdwa v145, v10, v78 dst_sel:DWORD dst_unused:UNUSED_PAD src0_sel:WORD_1 src1_sel:DWORD
	;; [unrolled: 2-line block ×4, first 2 shown]
	ds_read2_b64 v[9:12], v52 offset1:32
	v_mul_u32_u24_sdwa v139, v29, v78 dst_sel:DWORD dst_unused:UNUSED_PAD src0_sel:WORD_1 src1_sel:DWORD
	v_mul_u32_u24_sdwa v127, v29, v78 dst_sel:DWORD dst_unused:UNUSED_PAD src0_sel:WORD_0 src1_sel:DWORD
	v_mul_u32_u24_sdwa v140, v30, v78 dst_sel:DWORD dst_unused:UNUSED_PAD src0_sel:WORD_0 src1_sel:DWORD
	v_mul_u32_u24_sdwa v146, v30, v78 dst_sel:DWORD dst_unused:UNUSED_PAD src0_sel:WORD_1 src1_sel:DWORD
	v_mul_u32_u24_sdwa v147, v31, v78 dst_sel:DWORD dst_unused:UNUSED_PAD src0_sel:WORD_0 src1_sel:DWORD
	v_mul_u32_u24_sdwa v31, v31, v78 dst_sel:DWORD dst_unused:UNUSED_PAD src0_sel:WORD_1 src1_sel:DWORD
	;; [unrolled: 2-line block ×7, first 2 shown]
	s_waitcnt lgkmcnt(1)
	v_mul_u32_u24_sdwa v131, v5, v78 dst_sel:DWORD dst_unused:UNUSED_PAD src0_sel:WORD_1 src1_sel:DWORD
	v_mul_u32_u24_sdwa v138, v8, v78 dst_sel:DWORD dst_unused:UNUSED_PAD src0_sel:WORD_1 src1_sel:DWORD
	;; [unrolled: 1-line block ×3, first 2 shown]
	s_waitcnt lgkmcnt(0)
	v_pk_fma_f16 v111, v9, v139, v111
	v_pk_fma_f16 v112, v10, v139, v112
	;; [unrolled: 1-line block ×13, first 2 shown]
	v_mul_u32_u24_sdwa v31, v5, v78 dst_sel:DWORD dst_unused:UNUSED_PAD src0_sel:WORD_0 src1_sel:DWORD
	v_mul_u32_u24_sdwa v125, v6, v78 dst_sel:DWORD dst_unused:UNUSED_PAD src0_sel:WORD_0 src1_sel:DWORD
	v_mul_u32_u24_sdwa v146, v6, v78 dst_sel:DWORD dst_unused:UNUSED_PAD src0_sel:WORD_1 src1_sel:DWORD
	v_mul_u32_u24_sdwa v114, v7, v78 dst_sel:DWORD dst_unused:UNUSED_PAD src0_sel:WORD_0 src1_sel:DWORD
	v_mul_u32_u24_sdwa v115, v7, v78 dst_sel:DWORD dst_unused:UNUSED_PAD src0_sel:WORD_1 src1_sel:DWORD
	v_mul_u32_u24_sdwa v22, v8, v78 dst_sel:DWORD dst_unused:UNUSED_PAD src0_sel:WORD_0 src1_sel:DWORD
	ds_read2_b64 v[5:8], v52 offset0:64 offset1:96
	v_pk_fma_f16 v13, v12, v140, v13
	v_pk_fma_f16 v10, v12, v147, v10
	;; [unrolled: 1-line block ×3, first 2 shown]
	v_mul_u32_u24_sdwa v200, v26, v78 dst_sel:DWORD dst_unused:UNUSED_PAD src0_sel:WORD_0 src1_sel:DWORD
	v_mul_u32_u24_sdwa v201, v26, v78 dst_sel:DWORD dst_unused:UNUSED_PAD src0_sel:WORD_1 src1_sel:DWORD
	v_mul_u32_u24_sdwa v202, v27, v78 dst_sel:DWORD dst_unused:UNUSED_PAD src0_sel:WORD_0 src1_sel:DWORD
	v_mul_u32_u24_sdwa v206, v21, v78 dst_sel:DWORD dst_unused:UNUSED_PAD src0_sel:WORD_0 src1_sel:DWORD
	v_mul_u32_u24_sdwa v207, v21, v78 dst_sel:DWORD dst_unused:UNUSED_PAD src0_sel:WORD_1 src1_sel:DWORD
	v_mul_u32_u24_sdwa v212, v16, v78 dst_sel:DWORD dst_unused:UNUSED_PAD src0_sel:WORD_0 src1_sel:DWORD
	v_mul_u32_u24_sdwa v213, v16, v78 dst_sel:DWORD dst_unused:UNUSED_PAD src0_sel:WORD_1 src1_sel:DWORD
	;; [unrolled: 2-line block ×6, first 2 shown]
	v_mul_u32_u24_sdwa v210, v23, v78 dst_sel:DWORD dst_unused:UNUSED_PAD src0_sel:WORD_0 src1_sel:DWORD
	s_waitcnt lgkmcnt(0)
	v_pk_fma_f16 v11, v5, v199, v110
	v_pk_fma_f16 v12, v6, v199, v111
	;; [unrolled: 1-line block ×10, first 2 shown]
	ds_read_b128 v[9:12], v71 offset:736
	v_pk_fma_f16 v13, v8, v200, v13
	v_pk_fma_f16 v111, v8, v201, v111
	;; [unrolled: 1-line block ×6, first 2 shown]
	ds_read_b128 v[5:8], v71 offset:752
	v_mul_u32_u24_sdwa v211, v23, v78 dst_sel:DWORD dst_unused:UNUSED_PAD src0_sel:WORD_1 src1_sel:DWORD
	v_mul_u32_u24_sdwa v180, v185, v78 dst_sel:DWORD dst_unused:UNUSED_PAD src0_sel:WORD_0 src1_sel:DWORD
	v_mul_u32_u24_sdwa v179, v185, v78 dst_sel:DWORD dst_unused:UNUSED_PAD src0_sel:WORD_1 src1_sel:DWORD
	v_mul_u32_u24_sdwa v178, v186, v78 dst_sel:DWORD dst_unused:UNUSED_PAD src0_sel:WORD_0 src1_sel:DWORD
	;; [unrolled: 2-line block ×6, first 2 shown]
	s_waitcnt lgkmcnt(1)
	v_mul_u32_u24_sdwa v139, v9, v78 dst_sel:DWORD dst_unused:UNUSED_PAD src0_sel:WORD_0 src1_sel:DWORD
	v_mul_u32_u24_sdwa v132, v9, v78 dst_sel:DWORD dst_unused:UNUSED_PAD src0_sel:WORD_1 src1_sel:DWORD
	v_mul_u32_u24_sdwa v126, v10, v78 dst_sel:DWORD dst_unused:UNUSED_PAD src0_sel:WORD_0 src1_sel:DWORD
	v_mul_u32_u24_sdwa v147, v10, v78 dst_sel:DWORD dst_unused:UNUSED_PAD src0_sel:WORD_1 src1_sel:DWORD
	;; [unrolled: 2-line block ×4, first 2 shown]
	ds_read2_b64 v[9:12], v52 offset0:128 offset1:160
	s_waitcnt lgkmcnt(1)
	v_mul_u32_u24_sdwa v148, v6, v78 dst_sel:DWORD dst_unused:UNUSED_PAD src0_sel:WORD_1 src1_sel:DWORD
	v_mul_u32_u24_sdwa v140, v8, v78 dst_sel:DWORD dst_unused:UNUSED_PAD src0_sel:WORD_1 src1_sel:DWORD
	;; [unrolled: 1-line block ×3, first 2 shown]
	v_mul_u32_u24_sdwa v23, v196, v78 dst_sel:DWORD dst_unused:UNUSED_PAD src0_sel:WORD_0 src1_sel:DWORD
	v_mul_u32_u24_sdwa v142, v196, v78 dst_sel:DWORD dst_unused:UNUSED_PAD src0_sel:WORD_1 src1_sel:DWORD
	v_mul_u32_u24_sdwa v149, v135, v78 dst_sel:DWORD dst_unused:UNUSED_PAD src0_sel:WORD_0 src1_sel:DWORD
	v_mul_u32_u24_sdwa v141, v135, v78 dst_sel:DWORD dst_unused:UNUSED_PAD src0_sel:WORD_1 src1_sel:DWORD
	;; [unrolled: 2-line block ×8, first 2 shown]
	s_waitcnt lgkmcnt(0)
	v_pk_fma_f16 v112, v9, v207, v112
	v_pk_fma_f16 v117, v10, v207, v117
	;; [unrolled: 1-line block ×13, first 2 shown]
	v_mul_u32_u24_sdwa v103, v5, v78 dst_sel:DWORD dst_unused:UNUSED_PAD src0_sel:WORD_0 src1_sel:DWORD
	v_mul_u32_u24_sdwa v133, v5, v78 dst_sel:DWORD dst_unused:UNUSED_PAD src0_sel:WORD_1 src1_sel:DWORD
	v_mul_u32_u24_sdwa v127, v6, v78 dst_sel:DWORD dst_unused:UNUSED_PAD src0_sel:WORD_0 src1_sel:DWORD
	v_mul_u32_u24_sdwa v117, v7, v78 dst_sel:DWORD dst_unused:UNUSED_PAD src0_sel:WORD_0 src1_sel:DWORD
	v_mul_u32_u24_sdwa v118, v7, v78 dst_sel:DWORD dst_unused:UNUSED_PAD src0_sel:WORD_1 src1_sel:DWORD
	v_mul_u32_u24_sdwa v5, v8, v78 dst_sel:DWORD dst_unused:UNUSED_PAD src0_sel:WORD_0 src1_sel:DWORD
	ds_read2_b64 v[6:9], v52 offset0:192 offset1:224
	v_pk_fma_f16 v13, v12, v208, v13
	v_pk_fma_f16 v111, v12, v209, v111
	;; [unrolled: 1-line block ×3, first 2 shown]
	v_mul_u32_u24_sdwa v162, v155, v78 dst_sel:DWORD dst_unused:UNUSED_PAD src0_sel:WORD_0 src1_sel:DWORD
	v_mul_u32_u24_sdwa v174, v155, v78 dst_sel:DWORD dst_unused:UNUSED_PAD src0_sel:WORD_1 src1_sel:DWORD
	v_mul_u32_u24_sdwa v161, v156, v78 dst_sel:DWORD dst_unused:UNUSED_PAD src0_sel:WORD_0 src1_sel:DWORD
	v_mul_u32_u24_sdwa v160, v156, v78 dst_sel:DWORD dst_unused:UNUSED_PAD src0_sel:WORD_1 src1_sel:DWORD
	;; [unrolled: 2-line block ×8, first 2 shown]
	s_waitcnt lgkmcnt(0)
	v_pk_fma_f16 v12, v6, v215, v112
	v_pk_fma_f16 v112, v7, v215, v185
	;; [unrolled: 1-line block ×9, first 2 shown]
	ds_read_b128 v[185:188], v71 offset:768
	ds_read_b128 v[189:192], v71 offset:784
	v_pk_fma_f16 v6, v6, v214, v11
	v_mul_u32_u24_sdwa v129, v194, v78 dst_sel:DWORD dst_unused:UNUSED_PAD src0_sel:WORD_0 src1_sel:DWORD
	v_mul_u32_u24_sdwa v150, v194, v78 dst_sel:DWORD dst_unused:UNUSED_PAD src0_sel:WORD_1 src1_sel:DWORD
	v_pk_fma_f16 v193, v8, v219, v12
	v_pk_fma_f16 v194, v9, v216, v13
	;; [unrolled: 1-line block ×6, first 2 shown]
	s_waitcnt lgkmcnt(1)
	v_mul_u32_u24_sdwa v11, v185, v78 dst_sel:DWORD dst_unused:UNUSED_PAD src0_sel:WORD_0 src1_sel:DWORD
	v_mul_u32_u24_sdwa v10, v185, v78 dst_sel:DWORD dst_unused:UNUSED_PAD src0_sel:WORD_1 src1_sel:DWORD
	v_mul_u32_u24_sdwa v9, v186, v78 dst_sel:DWORD dst_unused:UNUSED_PAD src0_sel:WORD_0 src1_sel:DWORD
	v_mul_u32_u24_sdwa v13, v186, v78 dst_sel:DWORD dst_unused:UNUSED_PAD src0_sel:WORD_1 src1_sel:DWORD
	;; [unrolled: 2-line block ×4, first 2 shown]
	ds_read2_b64 v[185:188], v79 offset1:32
	s_waitcnt lgkmcnt(0)
	v_pk_fma_f16 v193, v185, v21, v193
	v_pk_fma_f16 v21, v186, v21, v112
	;; [unrolled: 1-line block ×16, first 2 shown]
	ds_read2_b64 v[185:188], v79 offset0:64 offset1:96
	v_mul_u32_u24_sdwa v14, v189, v78 dst_sel:DWORD dst_unused:UNUSED_PAD src0_sel:WORD_0 src1_sel:DWORD
	v_mul_u32_u24_sdwa v19, v189, v78 dst_sel:DWORD dst_unused:UNUSED_PAD src0_sel:WORD_1 src1_sel:DWORD
	v_mul_u32_u24_sdwa v18, v190, v78 dst_sel:DWORD dst_unused:UNUSED_PAD src0_sel:WORD_0 src1_sel:DWORD
	v_mul_u32_u24_sdwa v21, v190, v78 dst_sel:DWORD dst_unused:UNUSED_PAD src0_sel:WORD_1 src1_sel:DWORD
	;; [unrolled: 2-line block ×4, first 2 shown]
	s_waitcnt lgkmcnt(0)
	v_pk_fma_f16 v189, v185, v184, v193
	v_pk_fma_f16 v184, v186, v184, v194
	;; [unrolled: 1-line block ×10, first 2 shown]
	ds_read_b128 v[183:186], v71 offset:800
	v_pk_fma_f16 v192, v188, v123, v112
	v_pk_fma_f16 v194, v188, v134, v111
	;; [unrolled: 1-line block ×6, first 2 shown]
	ds_read_b128 v[187:190], v71 offset:816
	s_waitcnt lgkmcnt(1)
	v_mul_u32_u24_sdwa v134, v183, v78 dst_sel:DWORD dst_unused:UNUSED_PAD src0_sel:WORD_0 src1_sel:DWORD
	v_mul_u32_u24_sdwa v135, v183, v78 dst_sel:DWORD dst_unused:UNUSED_PAD src0_sel:WORD_1 src1_sel:DWORD
	v_mul_u32_u24_sdwa v123, v184, v78 dst_sel:DWORD dst_unused:UNUSED_PAD src0_sel:WORD_0 src1_sel:DWORD
	v_mul_u32_u24_sdwa v149, v184, v78 dst_sel:DWORD dst_unused:UNUSED_PAD src0_sel:WORD_1 src1_sel:DWORD
	;; [unrolled: 2-line block ×4, first 2 shown]
	ds_read2_b64 v[183:186], v79 offset0:128 offset1:160
	s_waitcnt lgkmcnt(0)
	v_pk_fma_f16 v191, v183, v128, v191
	v_pk_fma_f16 v128, v184, v128, v193
	;; [unrolled: 1-line block ×16, first 2 shown]
	ds_read2_b64 v[183:186], v79 offset0:192 offset1:224
	v_mul_u32_u24_sdwa v28, v187, v78 dst_sel:DWORD dst_unused:UNUSED_PAD src0_sel:WORD_0 src1_sel:DWORD
	v_mul_u32_u24_sdwa v108, v187, v78 dst_sel:DWORD dst_unused:UNUSED_PAD src0_sel:WORD_1 src1_sel:DWORD
	v_mul_u32_u24_sdwa v29, v188, v78 dst_sel:DWORD dst_unused:UNUSED_PAD src0_sel:WORD_0 src1_sel:DWORD
	v_mul_u32_u24_sdwa v128, v188, v78 dst_sel:DWORD dst_unused:UNUSED_PAD src0_sel:WORD_1 src1_sel:DWORD
	;; [unrolled: 2-line block ×4, first 2 shown]
	s_waitcnt lgkmcnt(0)
	v_pk_fma_f16 v187, v183, v175, v191
	v_pk_fma_f16 v188, v184, v171, v192
	;; [unrolled: 1-line block ×8, first 2 shown]
	ds_read_b128 v[187:190], v71 offset:832
	v_pk_fma_f16 v169, v183, v169, v196
	v_pk_fma_f16 v184, v184, v168, v197
	;; [unrolled: 1-line block ×8, first 2 shown]
	ds_read_b128 v[183:186], v71 offset:848
	s_waitcnt lgkmcnt(1)
	v_mul_u32_u24_sdwa v171, v187, v78 dst_sel:DWORD dst_unused:UNUSED_PAD src0_sel:WORD_0 src1_sel:DWORD
	v_mul_u32_u24_sdwa v172, v187, v78 dst_sel:DWORD dst_unused:UNUSED_PAD src0_sel:WORD_1 src1_sel:DWORD
	v_mul_u32_u24_sdwa v168, v188, v78 dst_sel:DWORD dst_unused:UNUSED_PAD src0_sel:WORD_0 src1_sel:DWORD
	v_mul_u32_u24_sdwa v175, v188, v78 dst_sel:DWORD dst_unused:UNUSED_PAD src0_sel:WORD_1 src1_sel:DWORD
	;; [unrolled: 2-line block ×4, first 2 shown]
	ds_read2_b64 v[187:190], v80 offset1:32
	s_waitcnt lgkmcnt(0)
	v_pk_fma_f16 v191, v187, v174, v191
	v_pk_fma_f16 v174, v188, v174, v193
	;; [unrolled: 1-line block ×16, first 2 shown]
	v_mul_u32_u24_sdwa v167, v183, v78 dst_sel:DWORD dst_unused:UNUSED_PAD src0_sel:WORD_0 src1_sel:DWORD
	v_mul_u32_u24_sdwa v170, v183, v78 dst_sel:DWORD dst_unused:UNUSED_PAD src0_sel:WORD_1 src1_sel:DWORD
	v_mul_u32_u24_sdwa v162, v184, v78 dst_sel:DWORD dst_unused:UNUSED_PAD src0_sel:WORD_0 src1_sel:DWORD
	v_mul_u32_u24_sdwa v174, v184, v78 dst_sel:DWORD dst_unused:UNUSED_PAD src0_sel:WORD_1 src1_sel:DWORD
	;; [unrolled: 2-line block ×4, first 2 shown]
	ds_read2_b64 v[183:186], v80 offset0:64 offset1:96
	s_waitcnt lgkmcnt(0)
	v_pk_fma_f16 v187, v183, v182, v187
	v_pk_fma_f16 v182, v184, v182, v191
	;; [unrolled: 1-line block ×12, first 2 shown]
	ds_read_b128 v[181:184], v71 offset:864
	ds_read2_b64 v[189:192], v80 offset0:128 offset1:160
	v_pk_fma_f16 v197, v185, v176, v180
	v_pk_fma_f16 v198, v185, v177, v179
	;; [unrolled: 1-line block ×4, first 2 shown]
	ds_read_b128 v[185:188], v71 offset:880
	s_waitcnt lgkmcnt(2)
	v_mul_u32_u24_sdwa v178, v181, v78 dst_sel:DWORD dst_unused:UNUSED_PAD src0_sel:WORD_0 src1_sel:DWORD
	v_mul_u32_u24_sdwa v179, v181, v78 dst_sel:DWORD dst_unused:UNUSED_PAD src0_sel:WORD_1 src1_sel:DWORD
	v_mul_u32_u24_sdwa v173, v183, v78 dst_sel:DWORD dst_unused:UNUSED_PAD src0_sel:WORD_0 src1_sel:DWORD
	v_mul_u32_u24_sdwa v176, v183, v78 dst_sel:DWORD dst_unused:UNUSED_PAD src0_sel:WORD_1 src1_sel:DWORD
	;; [unrolled: 2-line block ×3, first 2 shown]
	s_waitcnt lgkmcnt(1)
	v_pk_fma_f16 v183, v189, v158, v193
	v_pk_fma_f16 v158, v190, v158, v195
	;; [unrolled: 1-line block ×15, first 2 shown]
	s_waitcnt lgkmcnt(0)
	v_mul_u32_u24_sdwa v151, v185, v78 dst_sel:DWORD dst_unused:UNUSED_PAD src0_sel:WORD_0 src1_sel:DWORD
	v_mul_u32_u24_sdwa v155, v185, v78 dst_sel:DWORD dst_unused:UNUSED_PAD src0_sel:WORD_1 src1_sel:DWORD
	v_mul_u32_u24_sdwa v156, v186, v78 dst_sel:DWORD dst_unused:UNUSED_PAD src0_sel:WORD_0 src1_sel:DWORD
	v_mul_u32_u24_sdwa v158, v186, v78 dst_sel:DWORD dst_unused:UNUSED_PAD src0_sel:WORD_1 src1_sel:DWORD
	ds_read2_b64 v[183:186], v80 offset0:192 offset1:224
	v_pk_fma_f16 v193, v192, v152, v193
	v_mul_u32_u24_sdwa v152, v187, v78 dst_sel:DWORD dst_unused:UNUSED_PAD src0_sel:WORD_0 src1_sel:DWORD
	v_mul_u32_u24_sdwa v153, v187, v78 dst_sel:DWORD dst_unused:UNUSED_PAD src0_sel:WORD_1 src1_sel:DWORD
	v_mul_u32_u24_sdwa v154, v188, v78 dst_sel:DWORD dst_unused:UNUSED_PAD src0_sel:WORD_0 src1_sel:DWORD
	v_mul_u32_u24_sdwa v157, v188, v78 dst_sel:DWORD dst_unused:UNUSED_PAD src0_sel:WORD_1 src1_sel:DWORD
	;; [unrolled: 2-line block ×3, first 2 shown]
	s_waitcnt lgkmcnt(0)
	v_pk_fma_f16 v187, v183, v150, v189
	v_pk_fma_f16 v188, v184, v107, v195
	;; [unrolled: 1-line block ×9, first 2 shown]
	ds_read_b128 v[187:190], v71 offset:896
	v_pk_fma_f16 v107, v183, v107, v196
	v_pk_fma_f16 v136, v183, v136, v197
	;; [unrolled: 1-line block ×7, first 2 shown]
	ds_read_b128 v[183:186], v71 offset:912
	s_waitcnt lgkmcnt(1)
	v_mul_u32_u24_sdwa v120, v187, v78 dst_sel:DWORD dst_unused:UNUSED_PAD src0_sel:WORD_0 src1_sel:DWORD
	v_mul_u32_u24_sdwa v129, v187, v78 dst_sel:DWORD dst_unused:UNUSED_PAD src0_sel:WORD_1 src1_sel:DWORD
	v_mul_u32_u24_sdwa v136, v188, v78 dst_sel:DWORD dst_unused:UNUSED_PAD src0_sel:WORD_0 src1_sel:DWORD
	v_mul_u32_u24_sdwa v150, v188, v78 dst_sel:DWORD dst_unused:UNUSED_PAD src0_sel:WORD_1 src1_sel:DWORD
	;; [unrolled: 2-line block ×4, first 2 shown]
	ds_read2_b64 v[187:190], v81 offset1:32
	s_waitcnt lgkmcnt(0)
	v_pk_fma_f16 v191, v187, v145, v191
	v_pk_fma_f16 v145, v188, v145, v193
	;; [unrolled: 1-line block ×16, first 2 shown]
	v_mul_u32_u24_sdwa v109, v183, v78 dst_sel:DWORD dst_unused:UNUSED_PAD src0_sel:WORD_0 src1_sel:DWORD
	v_mul_u32_u24_sdwa v130, v183, v78 dst_sel:DWORD dst_unused:UNUSED_PAD src0_sel:WORD_1 src1_sel:DWORD
	v_mul_u32_u24_sdwa v137, v184, v78 dst_sel:DWORD dst_unused:UNUSED_PAD src0_sel:WORD_0 src1_sel:DWORD
	v_mul_u32_u24_sdwa v145, v184, v78 dst_sel:DWORD dst_unused:UNUSED_PAD src0_sel:WORD_1 src1_sel:DWORD
	;; [unrolled: 2-line block ×4, first 2 shown]
	ds_read2_b64 v[183:186], v81 offset0:64 offset1:96
	s_waitcnt lgkmcnt(0)
	v_pk_fma_f16 v187, v183, v146, v187
	v_pk_fma_f16 v190, v184, v31, v192
	;; [unrolled: 1-line block ×8, first 2 shown]
	ds_read_b128 v[187:190], v71 offset:928
	v_pk_fma_f16 v31, v183, v31, v194
	v_pk_fma_f16 v131, v183, v131, v195
	;; [unrolled: 1-line block ×8, first 2 shown]
	ds_read_b128 v[183:186], v71 offset:944
	s_waitcnt lgkmcnt(1)
	v_mul_u32_u24_sdwa v115, v187, v78 dst_sel:DWORD dst_unused:UNUSED_PAD src0_sel:WORD_0 src1_sel:DWORD
	v_mul_u32_u24_sdwa v125, v187, v78 dst_sel:DWORD dst_unused:UNUSED_PAD src0_sel:WORD_1 src1_sel:DWORD
	v_mul_u32_u24_sdwa v131, v188, v78 dst_sel:DWORD dst_unused:UNUSED_PAD src0_sel:WORD_0 src1_sel:DWORD
	v_mul_u32_u24_sdwa v146, v188, v78 dst_sel:DWORD dst_unused:UNUSED_PAD src0_sel:WORD_1 src1_sel:DWORD
	v_mul_u32_u24_sdwa v22, v189, v78 dst_sel:DWORD dst_unused:UNUSED_PAD src0_sel:WORD_0 src1_sel:DWORD
	v_mul_u32_u24_sdwa v31, v189, v78 dst_sel:DWORD dst_unused:UNUSED_PAD src0_sel:WORD_1 src1_sel:DWORD
	v_mul_u32_u24_sdwa v114, v190, v78 dst_sel:DWORD dst_unused:UNUSED_PAD src0_sel:WORD_0 src1_sel:DWORD
	v_mul_u32_u24_sdwa v138, v190, v78 dst_sel:DWORD dst_unused:UNUSED_PAD src0_sel:WORD_1 src1_sel:DWORD
	ds_read2_b64 v[187:190], v81 offset0:128 offset1:160
	s_waitcnt lgkmcnt(0)
	v_pk_fma_f16 v192, v187, v147, v192
	v_pk_fma_f16 v147, v188, v147, v194
	;; [unrolled: 1-line block ×16, first 2 shown]
	v_mul_u32_u24_sdwa v110, v183, v78 dst_sel:DWORD dst_unused:UNUSED_PAD src0_sel:WORD_0 src1_sel:DWORD
	v_mul_u32_u24_sdwa v132, v183, v78 dst_sel:DWORD dst_unused:UNUSED_PAD src0_sel:WORD_1 src1_sel:DWORD
	v_mul_u32_u24_sdwa v139, v184, v78 dst_sel:DWORD dst_unused:UNUSED_PAD src0_sel:WORD_0 src1_sel:DWORD
	v_mul_u32_u24_sdwa v147, v184, v78 dst_sel:DWORD dst_unused:UNUSED_PAD src0_sel:WORD_1 src1_sel:DWORD
	;; [unrolled: 2-line block ×4, first 2 shown]
	ds_read2_b64 v[183:186], v81 offset0:192 offset1:224
	s_waitcnt lgkmcnt(0)
	v_pk_fma_f16 v187, v183, v148, v187
	v_pk_fma_f16 v148, v184, v148, v192
	;; [unrolled: 1-line block ×14, first 2 shown]
	ds_read_b128 v[187:190], v71 offset:960
	v_pk_fma_f16 v118, v186, v5, v184
	v_pk_fma_f16 v5, v185, v5, v127
	ds_read_b128 v[183:186], v71 offset:976
	s_waitcnt lgkmcnt(1)
	v_mul_u32_u24_sdwa v127, v187, v78 dst_sel:DWORD dst_unused:UNUSED_PAD src0_sel:WORD_0 src1_sel:DWORD
	v_mul_u32_u24_sdwa v133, v187, v78 dst_sel:DWORD dst_unused:UNUSED_PAD src0_sel:WORD_1 src1_sel:DWORD
	v_mul_u32_u24_sdwa v191, v188, v78 dst_sel:DWORD dst_unused:UNUSED_PAD src0_sel:WORD_0 src1_sel:DWORD
	v_mul_u32_u24_sdwa v194, v188, v78 dst_sel:DWORD dst_unused:UNUSED_PAD src0_sel:WORD_1 src1_sel:DWORD
	v_mul_u32_u24_sdwa v195, v189, v78 dst_sel:DWORD dst_unused:UNUSED_PAD src0_sel:WORD_0 src1_sel:DWORD
	v_mul_u32_u24_sdwa v196, v189, v78 dst_sel:DWORD dst_unused:UNUSED_PAD src0_sel:WORD_1 src1_sel:DWORD
	v_mul_u32_u24_sdwa v197, v190, v78 dst_sel:DWORD dst_unused:UNUSED_PAD src0_sel:WORD_0 src1_sel:DWORD
	v_mul_u32_u24_sdwa v198, v190, v78 dst_sel:DWORD dst_unused:UNUSED_PAD src0_sel:WORD_1 src1_sel:DWORD
	s_waitcnt lgkmcnt(0)
	v_mul_u32_u24_sdwa v199, v183, v78 dst_sel:DWORD dst_unused:UNUSED_PAD src0_sel:WORD_0 src1_sel:DWORD
	v_mul_u32_u24_sdwa v200, v183, v78 dst_sel:DWORD dst_unused:UNUSED_PAD src0_sel:WORD_1 src1_sel:DWORD
	v_mul_u32_u24_sdwa v201, v184, v78 dst_sel:DWORD dst_unused:UNUSED_PAD src0_sel:WORD_0 src1_sel:DWORD
	v_mul_u32_u24_sdwa v202, v184, v78 dst_sel:DWORD dst_unused:UNUSED_PAD src0_sel:WORD_1 src1_sel:DWORD
	;; [unrolled: 2-line block ×4, first 2 shown]
	ds_read_b128 v[183:186], v71 offset:992
	ds_read_b128 v[187:190], v71 offset:1008
	ds_read2_b64 v[86:89], v82 offset1:32
	s_waitcnt lgkmcnt(2)
	v_mul_u32_u24_sdwa v207, v183, v78 dst_sel:DWORD dst_unused:UNUSED_PAD src0_sel:WORD_0 src1_sel:DWORD
	v_mul_u32_u24_sdwa v183, v183, v78 dst_sel:DWORD dst_unused:UNUSED_PAD src0_sel:WORD_1 src1_sel:DWORD
	s_waitcnt lgkmcnt(0)
	v_pk_fma_f16 v90, v86, v13, v192
	v_pk_fma_f16 v13, v87, v13, v140
	;; [unrolled: 1-line block ×16, first 2 shown]
	ds_read2_b64 v[5:8], v82 offset0:64 offset1:96
	v_mul_u32_u24_sdwa v208, v184, v78 dst_sel:DWORD dst_unused:UNUSED_PAD src0_sel:WORD_0 src1_sel:DWORD
	v_mul_u32_u24_sdwa v184, v184, v78 dst_sel:DWORD dst_unused:UNUSED_PAD src0_sel:WORD_1 src1_sel:DWORD
	v_mul_u32_u24_sdwa v209, v185, v78 dst_sel:DWORD dst_unused:UNUSED_PAD src0_sel:WORD_0 src1_sel:DWORD
	v_mul_u32_u24_sdwa v185, v185, v78 dst_sel:DWORD dst_unused:UNUSED_PAD src0_sel:WORD_1 src1_sel:DWORD
	v_mul_u32_u24_sdwa v210, v186, v78 dst_sel:DWORD dst_unused:UNUSED_PAD src0_sel:WORD_0 src1_sel:DWORD
	v_mul_u32_u24_sdwa v186, v186, v78 dst_sel:DWORD dst_unused:UNUSED_PAD src0_sel:WORD_1 src1_sel:DWORD
	v_mul_u32_u24_sdwa v211, v187, v78 dst_sel:DWORD dst_unused:UNUSED_PAD src0_sel:WORD_0 src1_sel:DWORD
	v_mul_u32_u24_sdwa v187, v187, v78 dst_sel:DWORD dst_unused:UNUSED_PAD src0_sel:WORD_1 src1_sel:DWORD
	v_mul_u32_u24_sdwa v212, v188, v78 dst_sel:DWORD dst_unused:UNUSED_PAD src0_sel:WORD_0 src1_sel:DWORD
	v_mul_u32_u24_sdwa v188, v188, v78 dst_sel:DWORD dst_unused:UNUSED_PAD src0_sel:WORD_1 src1_sel:DWORD
	v_mul_u32_u24_sdwa v213, v189, v78 dst_sel:DWORD dst_unused:UNUSED_PAD src0_sel:WORD_0 src1_sel:DWORD
	v_mul_u32_u24_sdwa v189, v189, v78 dst_sel:DWORD dst_unused:UNUSED_PAD src0_sel:WORD_1 src1_sel:DWORD
	v_mul_u32_u24_sdwa v214, v190, v78 dst_sel:DWORD dst_unused:UNUSED_PAD src0_sel:WORD_0 src1_sel:DWORD
	v_mul_u32_u24_sdwa v190, v190, v78 dst_sel:DWORD dst_unused:UNUSED_PAD src0_sel:WORD_1 src1_sel:DWORD
	s_waitcnt lgkmcnt(0)
	v_pk_fma_f16 v89, v5, v21, v9
	v_pk_fma_f16 v21, v6, v21, v12
	v_pk_fma_f16 v13, v6, v14, v13
	v_pk_fma_f16 v86, v6, v19, v86
	v_pk_fma_f16 v14, v5, v14, v11
	v_pk_fma_f16 v19, v5, v19, v10
	ds_read2_b64 v[9:12], v82 offset0:128 offset1:160
	v_pk_fma_f16 v6, v6, v18, v87
	v_pk_fma_f16 v5, v5, v18, v88
	;; [unrolled: 1-line block ×8, first 2 shown]
	ds_read2_b64 v[16:19], v82 offset0:192 offset1:224
	v_pk_fma_f16 v90, v8, v15, v6
	v_pk_fma_f16 v15, v7, v15, v5
	ds_read2_b64 v[5:8], v83 offset1:32
	s_waitcnt lgkmcnt(2)
	v_pk_fma_f16 v91, v9, v149, v87
	v_pk_fma_f16 v20, v10, v149, v20
	v_pk_fma_f16 v13, v10, v134, v13
	v_pk_fma_f16 v21, v10, v135, v21
	v_pk_fma_f16 v14, v9, v134, v14
	v_pk_fma_f16 v92, v9, v135, v86
	v_pk_fma_f16 v10, v10, v123, v90
	v_pk_fma_f16 v9, v9, v123, v15
	v_pk_fma_f16 v15, v11, v141, v91
	v_pk_fma_f16 v20, v12, v141, v20
	v_pk_fma_f16 v13, v12, v111, v13
	v_pk_fma_f16 v21, v12, v112, v21
	v_pk_fma_f16 v14, v11, v111, v14
	v_pk_fma_f16 v94, v11, v112, v92
	v_pk_fma_f16 v98, v12, v25, v10
	v_pk_fma_f16 v25, v11, v25, v9
	ds_read2_b64 v[86:89], v83 offset0:64 offset1:96
	s_waitcnt lgkmcnt(2)
	v_pk_fma_f16 v15, v16, v128, v15
	v_pk_fma_f16 v20, v17, v128, v20
	v_pk_fma_f16 v13, v17, v28, v13
	v_pk_fma_f16 v21, v17, v108, v21
	v_pk_fma_f16 v14, v16, v28, v14
	v_pk_fma_f16 v28, v16, v108, v94
	v_pk_fma_f16 v17, v17, v29, v98
	v_pk_fma_f16 v25, v16, v29, v25
	v_pk_fma_f16 v29, v18, v30, v15
	v_pk_fma_f16 v98, v19, v26, v13
	v_pk_fma_f16 v30, v19, v30, v20
	v_pk_fma_f16 v21, v19, v27, v21
	v_pk_fma_f16 v26, v18, v26, v14
	v_pk_fma_f16 v27, v18, v27, v28
	v_pk_fma_f16 v28, v19, v24, v17
	v_pk_fma_f16 v99, v18, v24, v25
	ds_read2_b64 v[90:93], v83 offset0:128 offset1:160
	;; [unrolled: 18-line block ×3, first 2 shown]
	s_waitcnt lgkmcnt(2)
	v_pk_fma_f16 v28, v86, v174, v28
	v_pk_fma_f16 v29, v87, v174, v29
	;; [unrolled: 1-line block ×16, first 2 shown]
	ds_read2_b64 v[94:97], v84 offset1:32
	s_waitcnt lgkmcnt(2)
	v_pk_fma_f16 v28, v90, v182, v28
	v_pk_fma_f16 v30, v91, v178, v30
	v_pk_fma_f16 v29, v91, v182, v29
	v_pk_fma_f16 v21, v91, v179, v21
	v_pk_fma_f16 v87, v91, v180, v87
	v_pk_fma_f16 v88, v90, v178, v106
	v_pk_fma_f16 v89, v90, v179, v108
	v_pk_fma_f16 v86, v90, v180, v86
	v_pk_fma_f16 v28, v92, v181, v28
	v_pk_fma_f16 v30, v93, v173, v30
	v_pk_fma_f16 v29, v93, v181, v29
	v_pk_fma_f16 v21, v93, v176, v21
	v_pk_fma_f16 v87, v93, v177, v87
	v_pk_fma_f16 v88, v92, v173, v88
	v_pk_fma_f16 v89, v92, v176, v89
	v_pk_fma_f16 v86, v92, v177, v86
	ds_read2_b64 v[13:16], v84 offset0:64 offset1:96
	s_waitcnt lgkmcnt(2)
	v_pk_fma_f16 v28, v9, v158, v28
	v_pk_fma_f16 v30, v10, v151, v30
	v_pk_fma_f16 v29, v10, v158, v29
	v_pk_fma_f16 v21, v10, v155, v21
	v_pk_fma_f16 v10, v10, v156, v87
	v_pk_fma_f16 v87, v9, v151, v88
	v_pk_fma_f16 v88, v9, v155, v89
	v_pk_fma_f16 v9, v9, v156, v86
	v_pk_fma_f16 v28, v11, v157, v28
	v_pk_fma_f16 v30, v12, v152, v30
	v_pk_fma_f16 v29, v12, v157, v29
	v_pk_fma_f16 v21, v12, v153, v21
	v_pk_fma_f16 v10, v12, v154, v10
	v_pk_fma_f16 v12, v11, v152, v87
	v_pk_fma_f16 v86, v11, v153, v88
	v_pk_fma_f16 v9, v11, v154, v9
	ds_read2_b64 v[17:20], v84 offset0:128 offset1:160
	;; [unrolled: 18-line block ×3, first 2 shown]
	s_waitcnt lgkmcnt(2)
	v_pk_fma_f16 v11, v13, v145, v11
	v_pk_fma_f16 v28, v14, v109, v28
	;; [unrolled: 1-line block ×16, first 2 shown]
	ds_read2_b64 v[98:101], v85 offset1:32
	s_waitcnt lgkmcnt(2)
	v_pk_fma_f16 v11, v17, v146, v11
	v_pk_fma_f16 v13, v18, v115, v13
	v_pk_fma_f16 v15, v18, v125, v21
	v_pk_fma_f16 v10, v18, v131, v10
	v_pk_fma_f16 v14, v18, v146, v14
	v_pk_fma_f16 v12, v17, v115, v12
	v_pk_fma_f16 v16, v17, v125, v16
	v_pk_fma_f16 v9, v17, v131, v9
	v_pk_fma_f16 v11, v19, v138, v11
	v_pk_fma_f16 v13, v20, v22, v13
	v_pk_fma_f16 v15, v20, v31, v15
	v_pk_fma_f16 v10, v20, v114, v10
	v_pk_fma_f16 v14, v20, v138, v14
	v_pk_fma_f16 v12, v19, v22, v12
	v_pk_fma_f16 v16, v19, v31, v16
	v_pk_fma_f16 v9, v19, v114, v9
	ds_read2_b64 v[5:8], v85 offset0:64 offset1:96
	s_waitcnt lgkmcnt(2)
	v_pk_fma_f16 v11, v24, v147, v11
	v_pk_fma_f16 v13, v25, v110, v13
	v_pk_fma_f16 v15, v25, v132, v15
	v_pk_fma_f16 v10, v25, v139, v10
	v_pk_fma_f16 v14, v25, v147, v14
	v_pk_fma_f16 v12, v24, v110, v12
	v_pk_fma_f16 v16, v24, v132, v16
	v_pk_fma_f16 v9, v24, v139, v9
	v_pk_fma_f16 v11, v26, v144, v11
	v_pk_fma_f16 v13, v27, v116, v13
	v_pk_fma_f16 v15, v27, v122, v15
	v_pk_fma_f16 v10, v27, v126, v10
	v_pk_fma_f16 v14, v27, v144, v14
	v_pk_fma_f16 v12, v26, v116, v12
	v_pk_fma_f16 v16, v26, v122, v16
	v_pk_fma_f16 v9, v26, v126, v9
	ds_read2_b64 v[102:105], v85 offset0:128 offset1:160
	;; [unrolled: 18-line block ×3, first 2 shown]
	s_waitcnt lgkmcnt(2)
	v_pk_fma_f16 v11, v5, v202, v11
	v_pk_fma_f16 v13, v6, v199, v13
	;; [unrolled: 1-line block ×8, first 2 shown]
	s_waitcnt lgkmcnt(0)
	s_barrier
	buffer_gl0_inv
	s_load_dword s0, s[22:23], 0x4
	v_pk_fma_f16 v9, v7, v206, v11
	v_pk_fma_f16 v11, v8, v203, v13
	;; [unrolled: 1-line block ×32, first 2 shown]
	s_waitcnt lgkmcnt(0)
	s_lshl_b32 s0, s0, 7
	v_pk_fma_f16 v22, v162, v190, v7
	v_pk_fma_f16 v28, v163, v213, v9
	;; [unrolled: 1-line block ×8, first 2 shown]
	s_add_i32 s26, s0, s26
	s_cmp_ge_i32 s26, s40
	s_cbranch_scc0 .LBB5_9
; %bb.10:
	v_mov_b32_e32 v5, v53
.LBB5_11:
	v_cmp_lt_i32_e32 vcc_lo, v59, v54
	s_cmp_lg_u64 s[24:25], 0
	s_cselect_b32 s0, -1, 0
	s_cmp_eq_u32 s34, 0
	v_cndmask_b32_e32 v6, v5, v59, vcc_lo
	v_cmp_lt_i32_e32 vcc_lo, v58, v54
	s_cselect_b32 s1, -1, 0
	s_and_b32 s0, s1, s0
	v_lshlrev_b32_e32 v6, 2, v6
	v_cndmask_b32_e32 v10, v5, v58, vcc_lo
	v_cmp_lt_i32_e32 vcc_lo, v57, v54
	ds_bpermute_b32 v7, v6, v63
	ds_bpermute_b32 v8, v6, v62
	;; [unrolled: 1-line block ×4, first 2 shown]
	v_lshlrev_b32_e32 v10, 2, v10
	v_cndmask_b32_e32 v14, v5, v57, vcc_lo
	v_cmp_lt_i32_e32 vcc_lo, v56, v54
	v_lshlrev_b32_e32 v14, 2, v14
	s_waitcnt lgkmcnt(3)
	v_add_f32_e32 v7, v63, v7
	s_waitcnt lgkmcnt(2)
	v_add_f32_e32 v8, v62, v8
	;; [unrolled: 2-line block ×4, first 2 shown]
	ds_bpermute_b32 v11, v10, v7
	ds_bpermute_b32 v12, v10, v8
	;; [unrolled: 1-line block ×4, first 2 shown]
	s_waitcnt lgkmcnt(3)
	v_add_f32_e32 v7, v7, v11
	s_waitcnt lgkmcnt(2)
	v_add_f32_e32 v8, v8, v12
	;; [unrolled: 2-line block ×4, first 2 shown]
	ds_bpermute_b32 v10, v14, v7
	ds_bpermute_b32 v11, v14, v8
	;; [unrolled: 1-line block ×4, first 2 shown]
	v_cndmask_b32_e32 v14, v5, v56, vcc_lo
	v_cmp_lt_i32_e32 vcc_lo, v55, v54
	v_lshlrev_b32_e32 v14, 2, v14
	v_cndmask_b32_e32 v5, v5, v55, vcc_lo
	s_and_b32 vcc_lo, exec_lo, s0
	v_lshlrev_b32_e32 v5, 2, v5
	s_waitcnt lgkmcnt(3)
	v_add_f32_e32 v7, v7, v10
	s_waitcnt lgkmcnt(2)
	v_add_f32_e32 v8, v8, v11
	;; [unrolled: 2-line block ×4, first 2 shown]
	ds_bpermute_b32 v10, v14, v7
	ds_bpermute_b32 v11, v14, v8
	;; [unrolled: 1-line block ×4, first 2 shown]
	s_waitcnt lgkmcnt(3)
	v_add_f32_e32 v7, v7, v10
	s_waitcnt lgkmcnt(2)
	v_add_f32_e32 v8, v8, v11
	;; [unrolled: 2-line block ×4, first 2 shown]
	ds_bpermute_b32 v6, v5, v7
	ds_bpermute_b32 v11, v5, v8
	;; [unrolled: 1-line block ×4, first 2 shown]
	s_waitcnt lgkmcnt(3)
	v_add_f32_e32 v5, v7, v6
	s_waitcnt lgkmcnt(2)
	v_add_f32_e32 v6, v8, v11
	;; [unrolled: 2-line block ×4, first 2 shown]
	s_cbranch_vccz .LBB5_14
; %bb.12:
	v_add_nc_u32_e32 v9, s35, v51
	v_max_f32_e32 v13, v1, v1
	v_max_f32_e32 v14, v2, v2
	v_max_f32_e32 v15, v3, v3
	v_max_f32_e32 v17, v4, v4
	v_ashrrev_i32_e32 v10, 31, v9
	v_mov_b32_e32 v29, 0x10001
	v_lshlrev_b64 v[9:10], 2, v[9:10]
	v_add_co_u32 v9, vcc_lo, s24, v9
	v_add_co_ci_u32_e64 v10, null, s25, v10, vcc_lo
	global_load_dwordx4 v[9:12], v[9:10], off
	s_waitcnt vmcnt(0)
	v_max_f32_e32 v16, v9, v9
	v_max_f32_e32 v18, v10, v10
	;; [unrolled: 1-line block ×8, first 2 shown]
	v_sub_f32_e32 v17, v1, v13
	v_sub_f32_e32 v18, v2, v14
	;; [unrolled: 1-line block ×4, first 2 shown]
	v_mov_b32_e32 v1, v13
	v_sub_f32_e32 v9, v9, v13
	v_mov_b32_e32 v2, v14
	v_mov_b32_e32 v3, v15
	;; [unrolled: 1-line block ×3, first 2 shown]
	v_mul_f32_e32 v13, 0x3fb8aa3b, v17
	v_sub_f32_e32 v10, v10, v14
	v_mul_f32_e32 v14, 0x3fb8aa3b, v9
	v_sub_f32_e32 v11, v11, v15
	v_mul_f32_e32 v15, 0x3fb8aa3b, v18
	v_fma_f32 v35, 0x3fb8aa3b, v17, -v13
	v_rndne_f32_e32 v36, v13
	v_fma_f32 v37, 0x3fb8aa3b, v9, -v14
	v_rndne_f32_e32 v38, v14
	v_sub_f32_e32 v12, v12, v16
	v_fmac_f32_e32 v35, 0x32a5705f, v17
	v_sub_f32_e32 v13, v13, v36
	v_mul_f32_e32 v16, 0x3fb8aa3b, v10
	v_fma_f32 v39, 0x3fb8aa3b, v18, -v15
	v_rndne_f32_e32 v40, v15
	v_fmac_f32_e32 v37, 0x32a5705f, v9
	v_sub_f32_e32 v14, v14, v38
	v_add_f32_e32 v13, v13, v35
	v_mul_f32_e32 v30, 0x3fb8aa3b, v19
	v_fma_f32 v41, 0x3fb8aa3b, v10, -v16
	v_rndne_f32_e32 v42, v16
	v_fmac_f32_e32 v39, 0x32a5705f, v18
	v_sub_f32_e32 v15, v15, v40
	v_add_f32_e32 v14, v14, v37
	v_exp_f32_e32 v13, v13
	v_mul_f32_e32 v31, 0x3fb8aa3b, v11
	v_fma_f32 v43, 0x3fb8aa3b, v19, -v30
	v_rndne_f32_e32 v44, v30
	v_cvt_i32_f32_e32 v36, v36
	v_fmac_f32_e32 v41, 0x32a5705f, v10
	v_sub_f32_e32 v16, v16, v42
	v_add_f32_e32 v15, v15, v39
	v_exp_f32_e32 v14, v14
	v_mul_f32_e32 v33, 0x3fb8aa3b, v20
	v_fma_f32 v45, 0x3fb8aa3b, v11, -v31
	v_rndne_f32_e32 v46, v31
	v_cvt_i32_f32_e32 v38, v38
	v_fmac_f32_e32 v43, 0x32a5705f, v19
	v_sub_f32_e32 v30, v30, v44
	v_add_f32_e32 v16, v16, v41
	v_exp_f32_e32 v15, v15
	v_ldexp_f32 v13, v13, v36
	v_cmp_ngt_f32_e32 vcc_lo, 0xc2ce8ed0, v17
	v_mul_f32_e32 v34, 0x3fb8aa3b, v12
	v_fma_f32 v47, 0x3fb8aa3b, v20, -v33
	v_rndne_f32_e32 v48, v33
	v_cvt_i32_f32_e32 v40, v40
	v_fmac_f32_e32 v45, 0x32a5705f, v11
	v_sub_f32_e32 v31, v31, v46
	v_add_f32_e32 v30, v30, v43
	v_exp_f32_e32 v16, v16
	v_ldexp_f32 v14, v14, v38
	v_cndmask_b32_e32 v13, 0, v13, vcc_lo
	v_cmp_ngt_f32_e32 vcc_lo, 0xc2ce8ed0, v9
	v_fma_f32 v49, 0x3fb8aa3b, v12, -v34
	v_rndne_f32_e32 v52, v34
	v_cvt_i32_f32_e32 v42, v42
	v_fmac_f32_e32 v47, 0x32a5705f, v20
	v_sub_f32_e32 v33, v33, v48
	v_add_f32_e32 v31, v31, v45
	v_exp_f32_e32 v30, v30
	v_ldexp_f32 v15, v15, v40
	v_cndmask_b32_e32 v14, 0, v14, vcc_lo
	v_cmp_ngt_f32_e32 vcc_lo, 0xc2ce8ed0, v18
	v_cvt_i32_f32_e32 v44, v44
	v_fmac_f32_e32 v49, 0x32a5705f, v12
	v_sub_f32_e32 v34, v34, v52
	v_add_f32_e32 v33, v33, v47
	v_exp_f32_e32 v31, v31
	v_ldexp_f32 v16, v16, v42
	v_cndmask_b32_e32 v15, 0, v15, vcc_lo
	v_cmp_ngt_f32_e32 vcc_lo, 0xc2ce8ed0, v10
	v_cvt_i32_f32_e32 v46, v46
	v_add_f32_e32 v34, v34, v49
	v_exp_f32_e32 v33, v33
	v_ldexp_f32 v30, v30, v44
	v_cndmask_b32_e32 v16, 0, v16, vcc_lo
	v_cmp_ngt_f32_e32 vcc_lo, 0xc2ce8ed0, v19
	v_exp_f32_e32 v34, v34
	v_cvt_i32_f32_e32 v35, v48
	v_ldexp_f32 v31, v31, v46
	v_cvt_i32_f32_e32 v37, v52
	v_cndmask_b32_e32 v30, 0, v30, vcc_lo
	v_cmp_ngt_f32_e32 vcc_lo, 0xc2ce8ed0, v11
	v_ldexp_f32 v33, v33, v35
	v_cndmask_b32_e32 v31, 0, v31, vcc_lo
	v_cmp_ngt_f32_e32 vcc_lo, 0xc2ce8ed0, v20
	v_ldexp_f32 v34, v34, v37
	v_cndmask_b32_e32 v33, 0, v33, vcc_lo
	v_cmp_ngt_f32_e32 vcc_lo, 0xc2ce8ed0, v12
	v_cndmask_b32_e32 v34, 0, v34, vcc_lo
	v_cmp_nlt_f32_e32 vcc_lo, 0x42b17218, v17
	v_cndmask_b32_e32 v13, 0x7f800000, v13, vcc_lo
	v_cmp_nlt_f32_e32 vcc_lo, 0x42b17218, v9
	;; [unrolled: 2-line block ×3, first 2 shown]
	v_fmac_f32_e32 v9, v5, v13
	v_cndmask_b32_e32 v14, 0x7f800000, v15, vcc_lo
	v_cmp_nlt_f32_e32 vcc_lo, 0x42b17218, v10
	v_cvt_f16_f32_e32 v5, v13
	v_cndmask_b32_e32 v10, 0x7f800000, v16, vcc_lo
	v_cmp_nlt_f32_e32 vcc_lo, 0x42b17218, v19
	v_fmac_f32_e32 v10, v6, v14
	v_cndmask_b32_e32 v15, 0x7f800000, v30, vcc_lo
	v_cmp_nlt_f32_e32 vcc_lo, 0x42b17218, v11
	v_cvt_f16_f32_e32 v6, v14
	v_cndmask_b32_e32 v11, 0x7f800000, v31, vcc_lo
	v_cmp_nlt_f32_e32 vcc_lo, 0x42b17218, v20
	v_mul_u32_u24_sdwa v14, v6, v29 dst_sel:DWORD dst_unused:UNUSED_PAD src0_sel:WORD_0 src1_sel:DWORD
	v_mov_b32_e32 v6, v10
	v_fmac_f32_e32 v11, v7, v15
	v_cndmask_b32_e32 v16, 0x7f800000, v33, vcc_lo
	v_cmp_nlt_f32_e32 vcc_lo, 0x42b17218, v12
	v_cvt_f16_f32_e32 v7, v15
	v_pk_mul_f16 v26, v26, v14
	v_pk_mul_f16 v25, v25, v14
	v_cvt_f16_f32_e32 v13, v16
	v_cndmask_b32_e32 v12, 0x7f800000, v34, vcc_lo
	v_mul_u32_u24_sdwa v15, v7, v29 dst_sel:DWORD dst_unused:UNUSED_PAD src0_sel:WORD_0 src1_sel:DWORD
	v_mov_b32_e32 v7, v11
	v_mul_u32_u24_sdwa v13, v13, v29 dst_sel:DWORD dst_unused:UNUSED_PAD src0_sel:WORD_0 src1_sel:DWORD
	v_fmac_f32_e32 v12, v8, v16
	v_mul_u32_u24_sdwa v8, v5, v29 dst_sel:DWORD dst_unused:UNUSED_PAD src0_sel:WORD_0 src1_sel:DWORD
	v_mov_b32_e32 v5, v9
	v_pk_mul_f16 v24, v24, v15
	v_pk_mul_f16 v23, v23, v15
	;; [unrolled: 1-line block ×6, first 2 shown]
	v_mov_b32_e32 v8, v12
	s_mov_b32 s0, exec_lo
	v_cmpx_gt_i32_e64 s38, v32
	s_cbranch_execnz .LBB5_15
.LBB5_13:
	s_endpgm
.LBB5_14:
	v_mov_b32_e32 v12, v8
	v_mov_b32_e32 v11, v7
	v_mov_b32_e32 v10, v6
	v_mov_b32_e32 v9, v5
	s_mov_b32 s0, exec_lo
	v_cmpx_gt_i32_e64 s38, v32
	s_cbranch_execz .LBB5_13
.LBB5_15:
	s_load_dword s1, s[4:5], 0xd4
	v_mov_b32_e32 v15, 1.0
	s_waitcnt lgkmcnt(0)
	s_cmp_lg_u32 s1, 1
	s_cselect_b32 s3, -1, 0
	s_cmp_eq_u32 s1, 1
	s_cselect_b32 s2, -1, 0
	s_and_b32 vcc_lo, exec_lo, s3
	s_cbranch_vccnz .LBB5_17
; %bb.16:
	v_div_scale_f32 v13, null, v5, v5, 1.0
	v_rcp_f32_e32 v14, v13
	v_fma_f32 v15, -v13, v14, 1.0
	v_fmac_f32_e32 v14, v15, v14
	v_div_scale_f32 v15, vcc_lo, 1.0, v5, 1.0
	v_mul_f32_e32 v16, v15, v14
	v_fma_f32 v17, -v13, v16, v15
	v_fmac_f32_e32 v16, v17, v14
	v_fma_f32 v13, -v13, v16, v15
	v_div_fmas_f32 v13, v13, v14, v16
	v_div_fixup_f32 v15, v13, v5, 1.0
.LBB5_17:
	v_mad_u64_u32 v[13:14], null, s33, s38, v[32:33]
	v_mov_b32_e32 v17, 0
	v_cmp_eq_u32_e32 vcc_lo, 0, v0
	v_cvt_f32_f16_e32 v0, v27
	v_cvt_f32_f16_sdwa v19, v28 dst_sel:DWORD dst_unused:UNUSED_PAD src0_sel:WORD_1
	v_mul_lo_u32 v5, v13, s39
	v_mul_f32_e32 v19, v15, v19
	v_add3_u32 v5, s35, v51, v5
	v_mad_u64_u32 v[13:14], null, s1, v5, s[34:35]
	v_cvt_f32_f16_sdwa v5, v27 dst_sel:DWORD dst_unused:UNUSED_PAD src0_sel:WORD_1
	v_cvt_f32_f16_e32 v14, v28
	v_mul_f32_e32 v18, v15, v14
	v_lshl_add_u32 v16, v13, 7, v50
	v_lshlrev_b64 v[27:28], 2, v[16:17]
	v_mul_f32_e32 v16, v15, v0
	v_mul_f32_e32 v17, v15, v5
	v_add_co_u32 v14, s0, s28, v27
	v_add_co_ci_u32_e64 v15, null, s29, v28, s0
	s_and_b32 s0, vcc_lo, s3
	global_store_dwordx4 v[14:15], v[16:19], off
	s_and_saveexec_b32 s3, s0
	s_cbranch_execz .LBB5_19
; %bb.18:
	v_ashrrev_i32_e32 v14, 31, v13
	v_mov_b32_e32 v0, v1
	v_mov_b32_e32 v1, v9
	v_lshlrev_b64 v[14:15], 3, v[13:14]
	v_add_co_u32 v14, vcc_lo, s30, v14
	v_add_co_ci_u32_e64 v15, null, s31, v15, vcc_lo
	global_store_dwordx2 v[14:15], v[0:1], off
.LBB5_19:
	s_or_b32 exec_lo, exec_lo, s3
	v_cndmask_b32_e64 v5, 0, 1, s2
	v_mov_b32_e32 v1, 1.0
	s_andn2_b32 vcc_lo, exec_lo, s2
	s_cbranch_vccnz .LBB5_21
; %bb.20:
	v_div_scale_f32 v0, null, v6, v6, 1.0
	v_rcp_f32_e32 v1, v0
	v_fma_f32 v9, -v0, v1, 1.0
	v_fmac_f32_e32 v1, v9, v1
	v_div_scale_f32 v9, vcc_lo, 1.0, v6, 1.0
	v_mul_f32_e32 v14, v9, v1
	v_fma_f32 v15, -v0, v14, v9
	v_fmac_f32_e32 v14, v15, v1
	v_fma_f32 v0, -v0, v14, v9
	v_div_fmas_f32 v0, v0, v1, v14
	v_div_fixup_f32 v1, v0, v6, 1.0
.LBB5_21:
	v_add_nc_u32_e32 v0, s1, v13
	v_mov_b32_e32 v14, 0
	v_cvt_f32_f16_e32 v6, v26
	v_cvt_f32_f16_sdwa v9, v26 dst_sel:DWORD dst_unused:UNUSED_PAD src0_sel:WORD_1
	v_cvt_f32_f16_e32 v15, v25
	v_lshl_add_u32 v13, v0, 7, v50
	v_cvt_f32_f16_sdwa v16, v25 dst_sel:DWORD dst_unused:UNUSED_PAD src0_sel:WORD_1
	v_mul_f32_e32 v15, v1, v15
	v_lshlrev_b64 v[17:18], 2, v[13:14]
	v_mul_f32_e32 v13, v1, v6
	v_mul_f32_e32 v14, v1, v9
	;; [unrolled: 1-line block ×3, first 2 shown]
	v_add_co_u32 v17, vcc_lo, s28, v17
	v_add_co_ci_u32_e64 v18, null, s29, v18, vcc_lo
	global_store_dwordx4 v[17:18], v[13:16], off
	s_and_saveexec_b32 s2, s0
	s_cbranch_execz .LBB5_23
; %bb.22:
	v_ashrrev_i32_e32 v1, 31, v0
	v_mov_b32_e32 v9, v2
	v_lshlrev_b64 v[13:14], 3, v[0:1]
	v_add_co_u32 v13, vcc_lo, s30, v13
	v_add_co_ci_u32_e64 v14, null, s31, v14, vcc_lo
	global_store_dwordx2 v[13:14], v[9:10], off
.LBB5_23:
	s_or_b32 exec_lo, exec_lo, s2
	v_cmp_ne_u32_e32 vcc_lo, 1, v5
	v_mov_b32_e32 v1, 1.0
	s_cbranch_vccnz .LBB5_25
; %bb.24:
	v_div_scale_f32 v1, null, v7, v7, 1.0
	v_rcp_f32_e32 v2, v1
	v_fma_f32 v6, -v1, v2, 1.0
	v_fmac_f32_e32 v2, v6, v2
	v_div_scale_f32 v6, vcc_lo, 1.0, v7, 1.0
	v_mul_f32_e32 v9, v6, v2
	v_fma_f32 v10, -v1, v9, v6
	v_fmac_f32_e32 v9, v10, v2
	v_fma_f32 v1, -v1, v9, v6
	v_div_fmas_f32 v1, v1, v2, v9
	v_div_fixup_f32 v1, v1, v7, 1.0
.LBB5_25:
	v_add_nc_u32_e32 v0, s1, v0
	v_mov_b32_e32 v7, 0
	v_cvt_f32_f16_e32 v2, v24
	v_cvt_f32_f16_sdwa v9, v24 dst_sel:DWORD dst_unused:UNUSED_PAD src0_sel:WORD_1
	v_cvt_f32_f16_e32 v10, v23
	v_lshl_add_u32 v6, v0, 7, v50
	v_cvt_f32_f16_sdwa v16, v23 dst_sel:DWORD dst_unused:UNUSED_PAD src0_sel:WORD_1
	v_mul_f32_e32 v13, v1, v2
	v_mul_f32_e32 v14, v1, v9
	;; [unrolled: 1-line block ×3, first 2 shown]
	v_lshlrev_b64 v[6:7], 2, v[6:7]
	v_mul_f32_e32 v16, v1, v16
	v_add_co_u32 v1, vcc_lo, s28, v6
	v_add_co_ci_u32_e64 v2, null, s29, v7, vcc_lo
	global_store_dwordx4 v[1:2], v[13:16], off
	s_and_saveexec_b32 s2, s0
	s_cbranch_execz .LBB5_27
; %bb.26:
	v_ashrrev_i32_e32 v1, 31, v0
	v_mov_b32_e32 v10, v3
	v_lshlrev_b64 v[1:2], 3, v[0:1]
	v_add_co_u32 v1, vcc_lo, s30, v1
	v_add_co_ci_u32_e64 v2, null, s31, v2, vcc_lo
	global_store_dwordx2 v[1:2], v[10:11], off
.LBB5_27:
	s_or_b32 exec_lo, exec_lo, s2
	v_cmp_ne_u32_e32 vcc_lo, 1, v5
	v_mov_b32_e32 v1, 1.0
	s_cbranch_vccnz .LBB5_29
; %bb.28:
	v_div_scale_f32 v1, null, v8, v8, 1.0
	v_rcp_f32_e32 v2, v1
	v_fma_f32 v3, -v1, v2, 1.0
	v_fmac_f32_e32 v2, v3, v2
	v_div_scale_f32 v3, vcc_lo, 1.0, v8, 1.0
	v_mul_f32_e32 v5, v3, v2
	v_fma_f32 v6, -v1, v5, v3
	v_fmac_f32_e32 v5, v6, v2
	v_fma_f32 v1, -v1, v5, v3
	v_div_fmas_f32 v1, v1, v2, v5
	v_div_fixup_f32 v1, v1, v8, 1.0
.LBB5_29:
	v_add_nc_u32_e32 v0, s1, v0
	v_mov_b32_e32 v3, 0
	v_cvt_f32_f16_e32 v5, v22
	v_cvt_f32_f16_sdwa v6, v22 dst_sel:DWORD dst_unused:UNUSED_PAD src0_sel:WORD_1
	v_cvt_f32_f16_e32 v7, v21
	v_lshl_add_u32 v2, v0, 7, v50
	v_cvt_f32_f16_sdwa v8, v21 dst_sel:DWORD dst_unused:UNUSED_PAD src0_sel:WORD_1
	v_mul_f32_e32 v5, v1, v5
	v_mul_f32_e32 v6, v1, v6
	;; [unrolled: 1-line block ×3, first 2 shown]
	v_lshlrev_b64 v[2:3], 2, v[2:3]
	v_mul_f32_e32 v8, v1, v8
	v_add_co_u32 v1, vcc_lo, s28, v2
	v_add_co_ci_u32_e64 v2, null, s29, v3, vcc_lo
	global_store_dwordx4 v[1:2], v[5:8], off
	s_and_b32 exec_lo, exec_lo, s0
	s_cbranch_execz .LBB5_13
; %bb.30:
	v_ashrrev_i32_e32 v1, 31, v0
	v_mov_b32_e32 v11, v4
	v_lshlrev_b64 v[0:1], 3, v[0:1]
	v_add_co_u32 v0, vcc_lo, s30, v0
	v_add_co_ci_u32_e64 v1, null, s31, v1, vcc_lo
	global_store_dwordx2 v[0:1], v[11:12], off
	s_endpgm
	.section	.rodata,"a",@progbits
	.p2align	6, 0x0
	.amdhsa_kernel _ZL15flash_attn_tileILi128ELi128ELi4ELi8ELb0EEvPKcS1_S1_S1_S1_PKiPfP15HIP_vector_typeIfLj2EEffffjfiS5_IjLj3EEiiiiiiiiiiiliiliiiiil
		.amdhsa_group_segment_fixed_size 34816
		.amdhsa_private_segment_fixed_size 0
		.amdhsa_kernarg_size 464
		.amdhsa_user_sgpr_count 6
		.amdhsa_user_sgpr_private_segment_buffer 1
		.amdhsa_user_sgpr_dispatch_ptr 0
		.amdhsa_user_sgpr_queue_ptr 0
		.amdhsa_user_sgpr_kernarg_segment_ptr 1
		.amdhsa_user_sgpr_dispatch_id 0
		.amdhsa_user_sgpr_flat_scratch_init 0
		.amdhsa_user_sgpr_private_segment_size 0
		.amdhsa_wavefront_size32 1
		.amdhsa_uses_dynamic_stack 0
		.amdhsa_system_sgpr_private_segment_wavefront_offset 0
		.amdhsa_system_sgpr_workgroup_id_x 1
		.amdhsa_system_sgpr_workgroup_id_y 1
		.amdhsa_system_sgpr_workgroup_id_z 1
		.amdhsa_system_sgpr_workgroup_info 0
		.amdhsa_system_vgpr_workitem_id 1
		.amdhsa_next_free_vgpr 222
		.amdhsa_next_free_sgpr 48
		.amdhsa_reserve_vcc 1
		.amdhsa_reserve_flat_scratch 0
		.amdhsa_float_round_mode_32 0
		.amdhsa_float_round_mode_16_64 0
		.amdhsa_float_denorm_mode_32 3
		.amdhsa_float_denorm_mode_16_64 3
		.amdhsa_dx10_clamp 1
		.amdhsa_ieee_mode 1
		.amdhsa_fp16_overflow 0
		.amdhsa_workgroup_processor_mode 1
		.amdhsa_memory_ordered 1
		.amdhsa_forward_progress 1
		.amdhsa_shared_vgpr_count 0
		.amdhsa_exception_fp_ieee_invalid_op 0
		.amdhsa_exception_fp_denorm_src 0
		.amdhsa_exception_fp_ieee_div_zero 0
		.amdhsa_exception_fp_ieee_overflow 0
		.amdhsa_exception_fp_ieee_underflow 0
		.amdhsa_exception_fp_ieee_inexact 0
		.amdhsa_exception_int_div_zero 0
	.end_amdhsa_kernel
	.section	.text._ZL15flash_attn_tileILi128ELi128ELi4ELi8ELb0EEvPKcS1_S1_S1_S1_PKiPfP15HIP_vector_typeIfLj2EEffffjfiS5_IjLj3EEiiiiiiiiiiiliiliiiiil,"axG",@progbits,_ZL15flash_attn_tileILi128ELi128ELi4ELi8ELb0EEvPKcS1_S1_S1_S1_PKiPfP15HIP_vector_typeIfLj2EEffffjfiS5_IjLj3EEiiiiiiiiiiiliiliiiiil,comdat
.Lfunc_end5:
	.size	_ZL15flash_attn_tileILi128ELi128ELi4ELi8ELb0EEvPKcS1_S1_S1_S1_PKiPfP15HIP_vector_typeIfLj2EEffffjfiS5_IjLj3EEiiiiiiiiiiiliiliiiiil, .Lfunc_end5-_ZL15flash_attn_tileILi128ELi128ELi4ELi8ELb0EEvPKcS1_S1_S1_S1_PKiPfP15HIP_vector_typeIfLj2EEffffjfiS5_IjLj3EEiiiiiiiiiiiliiliiiiil
                                        ; -- End function
	.set _ZL15flash_attn_tileILi128ELi128ELi4ELi8ELb0EEvPKcS1_S1_S1_S1_PKiPfP15HIP_vector_typeIfLj2EEffffjfiS5_IjLj3EEiiiiiiiiiiiliiliiiiil.num_vgpr, 222
	.set _ZL15flash_attn_tileILi128ELi128ELi4ELi8ELb0EEvPKcS1_S1_S1_S1_PKiPfP15HIP_vector_typeIfLj2EEffffjfiS5_IjLj3EEiiiiiiiiiiiliiliiiiil.num_agpr, 0
	.set _ZL15flash_attn_tileILi128ELi128ELi4ELi8ELb0EEvPKcS1_S1_S1_S1_PKiPfP15HIP_vector_typeIfLj2EEffffjfiS5_IjLj3EEiiiiiiiiiiiliiliiiiil.numbered_sgpr, 48
	.set _ZL15flash_attn_tileILi128ELi128ELi4ELi8ELb0EEvPKcS1_S1_S1_S1_PKiPfP15HIP_vector_typeIfLj2EEffffjfiS5_IjLj3EEiiiiiiiiiiiliiliiiiil.num_named_barrier, 0
	.set _ZL15flash_attn_tileILi128ELi128ELi4ELi8ELb0EEvPKcS1_S1_S1_S1_PKiPfP15HIP_vector_typeIfLj2EEffffjfiS5_IjLj3EEiiiiiiiiiiiliiliiiiil.private_seg_size, 0
	.set _ZL15flash_attn_tileILi128ELi128ELi4ELi8ELb0EEvPKcS1_S1_S1_S1_PKiPfP15HIP_vector_typeIfLj2EEffffjfiS5_IjLj3EEiiiiiiiiiiiliiliiiiil.uses_vcc, 1
	.set _ZL15flash_attn_tileILi128ELi128ELi4ELi8ELb0EEvPKcS1_S1_S1_S1_PKiPfP15HIP_vector_typeIfLj2EEffffjfiS5_IjLj3EEiiiiiiiiiiiliiliiiiil.uses_flat_scratch, 0
	.set _ZL15flash_attn_tileILi128ELi128ELi4ELi8ELb0EEvPKcS1_S1_S1_S1_PKiPfP15HIP_vector_typeIfLj2EEffffjfiS5_IjLj3EEiiiiiiiiiiiliiliiiiil.has_dyn_sized_stack, 0
	.set _ZL15flash_attn_tileILi128ELi128ELi4ELi8ELb0EEvPKcS1_S1_S1_S1_PKiPfP15HIP_vector_typeIfLj2EEffffjfiS5_IjLj3EEiiiiiiiiiiiliiliiiiil.has_recursion, 0
	.set _ZL15flash_attn_tileILi128ELi128ELi4ELi8ELb0EEvPKcS1_S1_S1_S1_PKiPfP15HIP_vector_typeIfLj2EEffffjfiS5_IjLj3EEiiiiiiiiiiiliiliiiiil.has_indirect_call, 0
	.section	.AMDGPU.csdata,"",@progbits
; Kernel info:
; codeLenInByte = 44460
; TotalNumSgprs: 50
; NumVgprs: 222
; ScratchSize: 0
; MemoryBound: 0
; FloatMode: 240
; IeeeMode: 1
; LDSByteSize: 34816 bytes/workgroup (compile time only)
; SGPRBlocks: 0
; VGPRBlocks: 27
; NumSGPRsForWavesPerEU: 50
; NumVGPRsForWavesPerEU: 222
; Occupancy: 4
; WaveLimiterHint : 1
; COMPUTE_PGM_RSRC2:SCRATCH_EN: 0
; COMPUTE_PGM_RSRC2:USER_SGPR: 6
; COMPUTE_PGM_RSRC2:TRAP_HANDLER: 0
; COMPUTE_PGM_RSRC2:TGID_X_EN: 1
; COMPUTE_PGM_RSRC2:TGID_Y_EN: 1
; COMPUTE_PGM_RSRC2:TGID_Z_EN: 1
; COMPUTE_PGM_RSRC2:TIDIG_COMP_CNT: 1
	.section	.text._ZL25flash_attn_mask_to_KV_maxILi4EEvPK7__half2Piiii,"axG",@progbits,_ZL25flash_attn_mask_to_KV_maxILi4EEvPK7__half2Piiii,comdat
	.globl	_ZL25flash_attn_mask_to_KV_maxILi4EEvPK7__half2Piiii ; -- Begin function _ZL25flash_attn_mask_to_KV_maxILi4EEvPK7__half2Piiii
	.p2align	8
	.type	_ZL25flash_attn_mask_to_KV_maxILi4EEvPK7__half2Piiii,@function
_ZL25flash_attn_mask_to_KV_maxILi4EEvPK7__half2Piiii: ; @_ZL25flash_attn_mask_to_KV_maxILi4EEvPK7__half2Piiii
; %bb.0:
	s_load_dwordx4 s[8:11], s[4:5], 0x0
	s_mov_b32 s0, exec_lo
	v_cmpx_gt_u32_e32 32, v0
; %bb.1:
	v_lshlrev_b32_e32 v1, 2, v0
	v_mov_b32_e32 v2, 1
	ds_write_b32 v1, v2
; %bb.2:
	s_or_b32 exec_lo, exec_lo, s0
	s_clause 0x1
	s_load_dwordx4 s[12:15], s[4:5], 0x10
	s_load_dword s1, s[4:5], 0x20
	v_and_b32_e32 v1, 31, v0
	v_lshrrev_b32_e32 v5, 3, v0
	v_mov_b32_e32 v2, 0
	v_mov_b32_e32 v6, 0x204
	s_waitcnt lgkmcnt(0)
	v_lshlrev_b32_e32 v7, 2, v1
	s_barrier
	buffer_gl0_inv
	s_mul_i32 s0, s6, s13
	s_mul_i32 s2, s14, s7
	s_lshl_b32 s0, s0, 2
	s_add_i32 s2, s2, s0
	v_cmp_eq_u32_e64 s0, 0, v1
	s_ashr_i32 s3, s2, 31
	s_lshl_b64 s[4:5], s[2:3], 2
	s_add_u32 s3, s8, s4
	s_addc_u32 s4, s9, s5
	s_lshl_b32 s5, s12, 8
	s_branch .LBB6_4
.LBB6_3:                                ;   in Loop: Header=BB6_4 Depth=1
	s_or_b32 exec_lo, exec_lo, s8
	s_waitcnt lgkmcnt(0)
	s_barrier
	buffer_gl0_inv
	ds_read_b32 v1, v7
	s_waitcnt lgkmcnt(0)
	s_barrier
	buffer_gl0_inv
	v_cmp_ne_u32_e32 vcc_lo, 0, v1
	s_cmp_lg_u32 vcc_lo, exec_lo
	s_cselect_b32 s8, -1, 0
	s_and_b32 vcc_lo, exec_lo, s8
	s_cbranch_vccnz .LBB6_20
.LBB6_4:                                ; =>This Inner Loop Header: Depth=1
	s_mov_b32 s2, s5
	s_addk_i32 s5, 0xff00
	s_cmp_lt_i32 s5, 0
	s_cbranch_scc1 .LBB6_19
; %bb.5:                                ;   in Loop: Header=BB6_4 Depth=1
	s_lshr_b32 s8, s5, 1
	v_add_nc_u32_e32 v1, s8, v0
	v_lshlrev_b64 v[3:4], 2, v[1:2]
	v_add_co_u32 v3, vcc_lo, s3, v3
	v_add_co_ci_u32_e64 v4, null, s4, v4, vcc_lo
	global_load_dword v3, v[3:4], off
	s_waitcnt vmcnt(0)
	v_cmp_class_f16_e64 s8, v3, 0x204
	v_cmp_class_f16_sdwa s9, v3, v6 src0_sel:WORD_1 src1_sel:DWORD
	s_and_b32 s12, s8, s9
	s_mov_b32 s9, 0
	s_and_saveexec_b32 s8, s12
	s_cbranch_execz .LBB6_17
; %bb.6:                                ;   in Loop: Header=BB6_4 Depth=1
	v_add_nc_u32_e32 v3, s13, v1
	s_mov_b32 s12, 0
	v_ashrrev_i32_e32 v4, 31, v3
	v_lshlrev_b64 v[8:9], 2, v[3:4]
	v_add_co_u32 v8, vcc_lo, s3, v8
	v_add_co_ci_u32_e64 v9, null, s4, v9, vcc_lo
	global_load_dword v1, v[8:9], off
	s_waitcnt vmcnt(0)
	v_cmp_class_f16_e64 s14, v1, 0x204
	s_and_saveexec_b32 s9, s14
	s_cbranch_execz .LBB6_16
; %bb.7:                                ;   in Loop: Header=BB6_4 Depth=1
	v_cmp_class_f16_sdwa s15, v1, v6 src0_sel:WORD_1 src1_sel:DWORD
	s_mov_b32 s14, 0
	s_and_saveexec_b32 s12, s15
	s_cbranch_execz .LBB6_15
; %bb.8:                                ;   in Loop: Header=BB6_4 Depth=1
	v_add_nc_u32_e32 v3, s13, v3
	s_mov_b32 s15, 0
	v_ashrrev_i32_e32 v4, 31, v3
	v_lshlrev_b64 v[8:9], 2, v[3:4]
	v_add_co_u32 v8, vcc_lo, s3, v8
	v_add_co_ci_u32_e64 v9, null, s4, v9, vcc_lo
	global_load_dword v1, v[8:9], off
	s_waitcnt vmcnt(0)
	v_cmp_class_f16_e64 s16, v1, 0x204
	s_and_saveexec_b32 s14, s16
	s_cbranch_execz .LBB6_14
; %bb.9:                                ;   in Loop: Header=BB6_4 Depth=1
	v_cmp_class_f16_sdwa s17, v1, v6 src0_sel:WORD_1 src1_sel:DWORD
	s_mov_b32 s16, 0
	s_and_saveexec_b32 s15, s17
	s_cbranch_execz .LBB6_13
; %bb.10:                               ;   in Loop: Header=BB6_4 Depth=1
	v_add_nc_u32_e32 v3, s13, v3
	v_ashrrev_i32_e32 v4, 31, v3
	v_lshlrev_b64 v[3:4], 2, v[3:4]
	v_add_co_u32 v3, vcc_lo, s3, v3
	v_add_co_ci_u32_e64 v4, null, s4, v4, vcc_lo
	global_load_dword v1, v[3:4], off
	s_waitcnt vmcnt(0)
	v_cmp_class_f16_e64 s18, v1, 0x204
	s_and_saveexec_b32 s17, s18
; %bb.11:                               ;   in Loop: Header=BB6_4 Depth=1
	v_cmp_class_f16_sdwa s16, v1, v6 src0_sel:WORD_1 src1_sel:DWORD
	s_and_b32 s16, s16, exec_lo
; %bb.12:                               ;   in Loop: Header=BB6_4 Depth=1
	s_or_b32 exec_lo, exec_lo, s17
	s_and_b32 s16, s16, exec_lo
.LBB6_13:                               ;   in Loop: Header=BB6_4 Depth=1
	s_or_b32 exec_lo, exec_lo, s15
	s_and_b32 s15, s16, exec_lo
.LBB6_14:                               ;   in Loop: Header=BB6_4 Depth=1
	s_or_b32 exec_lo, exec_lo, s14
	s_and_b32 s14, s15, exec_lo
.LBB6_15:                               ;   in Loop: Header=BB6_4 Depth=1
	s_or_b32 exec_lo, exec_lo, s12
	s_and_b32 s12, s14, exec_lo
.LBB6_16:                               ;   in Loop: Header=BB6_4 Depth=1
	s_or_b32 exec_lo, exec_lo, s9
	s_and_b32 s9, s12, exec_lo
.LBB6_17:                               ;   in Loop: Header=BB6_4 Depth=1
	s_or_b32 exec_lo, exec_lo, s8
	v_cndmask_b32_e64 v1, 0, 1, s9
	s_mov_b32 s12, exec_lo
	v_cmp_ne_u32_e32 vcc_lo, 0, v1
	s_and_saveexec_b32 s8, s0
	s_cbranch_execz .LBB6_3
; %bb.18:                               ;   in Loop: Header=BB6_4 Depth=1
	s_cmp_eq_u32 vcc_lo, s12
	s_cselect_b32 s9, -1, 0
	v_cndmask_b32_e64 v1, 0, 1, s9
	ds_write_b32 v5, v1
	s_branch .LBB6_3
.LBB6_19:                               ;   in Loop: Header=BB6_4 Depth=1
	s_cbranch_execz .LBB6_4
.LBB6_20:
	s_mov_b32 s0, exec_lo
	v_cmpx_eq_u32_e32 0, v0
	s_cbranch_execz .LBB6_22
; %bb.21:
	s_mul_i32 s0, s1, s7
	v_mov_b32_e32 v0, 0
	s_add_i32 s0, s0, s6
	v_mov_b32_e32 v1, s2
	s_ashr_i32 s1, s0, 31
	s_lshl_b64 s[0:1], s[0:1], 2
	s_add_u32 s0, s10, s0
	s_addc_u32 s1, s11, s1
	global_store_dword v0, v1, s[0:1]
.LBB6_22:
	s_endpgm
	.section	.rodata,"a",@progbits
	.p2align	6, 0x0
	.amdhsa_kernel _ZL25flash_attn_mask_to_KV_maxILi4EEvPK7__half2Piiii
		.amdhsa_group_segment_fixed_size 128
		.amdhsa_private_segment_fixed_size 0
		.amdhsa_kernarg_size 288
		.amdhsa_user_sgpr_count 6
		.amdhsa_user_sgpr_private_segment_buffer 1
		.amdhsa_user_sgpr_dispatch_ptr 0
		.amdhsa_user_sgpr_queue_ptr 0
		.amdhsa_user_sgpr_kernarg_segment_ptr 1
		.amdhsa_user_sgpr_dispatch_id 0
		.amdhsa_user_sgpr_flat_scratch_init 0
		.amdhsa_user_sgpr_private_segment_size 0
		.amdhsa_wavefront_size32 1
		.amdhsa_uses_dynamic_stack 0
		.amdhsa_system_sgpr_private_segment_wavefront_offset 0
		.amdhsa_system_sgpr_workgroup_id_x 1
		.amdhsa_system_sgpr_workgroup_id_y 1
		.amdhsa_system_sgpr_workgroup_id_z 0
		.amdhsa_system_sgpr_workgroup_info 0
		.amdhsa_system_vgpr_workitem_id 0
		.amdhsa_next_free_vgpr 10
		.amdhsa_next_free_sgpr 19
		.amdhsa_reserve_vcc 1
		.amdhsa_reserve_flat_scratch 0
		.amdhsa_float_round_mode_32 0
		.amdhsa_float_round_mode_16_64 0
		.amdhsa_float_denorm_mode_32 3
		.amdhsa_float_denorm_mode_16_64 3
		.amdhsa_dx10_clamp 1
		.amdhsa_ieee_mode 1
		.amdhsa_fp16_overflow 0
		.amdhsa_workgroup_processor_mode 1
		.amdhsa_memory_ordered 1
		.amdhsa_forward_progress 1
		.amdhsa_shared_vgpr_count 0
		.amdhsa_exception_fp_ieee_invalid_op 0
		.amdhsa_exception_fp_denorm_src 0
		.amdhsa_exception_fp_ieee_div_zero 0
		.amdhsa_exception_fp_ieee_overflow 0
		.amdhsa_exception_fp_ieee_underflow 0
		.amdhsa_exception_fp_ieee_inexact 0
		.amdhsa_exception_int_div_zero 0
	.end_amdhsa_kernel
	.section	.text._ZL25flash_attn_mask_to_KV_maxILi4EEvPK7__half2Piiii,"axG",@progbits,_ZL25flash_attn_mask_to_KV_maxILi4EEvPK7__half2Piiii,comdat
.Lfunc_end6:
	.size	_ZL25flash_attn_mask_to_KV_maxILi4EEvPK7__half2Piiii, .Lfunc_end6-_ZL25flash_attn_mask_to_KV_maxILi4EEvPK7__half2Piiii
                                        ; -- End function
	.set _ZL25flash_attn_mask_to_KV_maxILi4EEvPK7__half2Piiii.num_vgpr, 10
	.set _ZL25flash_attn_mask_to_KV_maxILi4EEvPK7__half2Piiii.num_agpr, 0
	.set _ZL25flash_attn_mask_to_KV_maxILi4EEvPK7__half2Piiii.numbered_sgpr, 19
	.set _ZL25flash_attn_mask_to_KV_maxILi4EEvPK7__half2Piiii.num_named_barrier, 0
	.set _ZL25flash_attn_mask_to_KV_maxILi4EEvPK7__half2Piiii.private_seg_size, 0
	.set _ZL25flash_attn_mask_to_KV_maxILi4EEvPK7__half2Piiii.uses_vcc, 1
	.set _ZL25flash_attn_mask_to_KV_maxILi4EEvPK7__half2Piiii.uses_flat_scratch, 0
	.set _ZL25flash_attn_mask_to_KV_maxILi4EEvPK7__half2Piiii.has_dyn_sized_stack, 0
	.set _ZL25flash_attn_mask_to_KV_maxILi4EEvPK7__half2Piiii.has_recursion, 0
	.set _ZL25flash_attn_mask_to_KV_maxILi4EEvPK7__half2Piiii.has_indirect_call, 0
	.section	.AMDGPU.csdata,"",@progbits
; Kernel info:
; codeLenInByte = 708
; TotalNumSgprs: 21
; NumVgprs: 10
; ScratchSize: 0
; MemoryBound: 0
; FloatMode: 240
; IeeeMode: 1
; LDSByteSize: 128 bytes/workgroup (compile time only)
; SGPRBlocks: 0
; VGPRBlocks: 1
; NumSGPRsForWavesPerEU: 21
; NumVGPRsForWavesPerEU: 10
; Occupancy: 16
; WaveLimiterHint : 0
; COMPUTE_PGM_RSRC2:SCRATCH_EN: 0
; COMPUTE_PGM_RSRC2:USER_SGPR: 6
; COMPUTE_PGM_RSRC2:TRAP_HANDLER: 0
; COMPUTE_PGM_RSRC2:TGID_X_EN: 1
; COMPUTE_PGM_RSRC2:TGID_Y_EN: 1
; COMPUTE_PGM_RSRC2:TGID_Z_EN: 0
; COMPUTE_PGM_RSRC2:TIDIG_COMP_CNT: 0
	.section	.text._ZL33flash_attn_stream_k_fixup_uniformILi128ELi4ELi8EEvPfPK15HIP_vector_typeIfLj2EEiiiiiiS1_IjLj3EES5_S5_,"axG",@progbits,_ZL33flash_attn_stream_k_fixup_uniformILi128ELi4ELi8EEvPfPK15HIP_vector_typeIfLj2EEiiiiiiS1_IjLj3EES5_S5_,comdat
	.globl	_ZL33flash_attn_stream_k_fixup_uniformILi128ELi4ELi8EEvPfPK15HIP_vector_typeIfLj2EEiiiiiiS1_IjLj3EES5_S5_ ; -- Begin function _ZL33flash_attn_stream_k_fixup_uniformILi128ELi4ELi8EEvPfPK15HIP_vector_typeIfLj2EEiiiiiiS1_IjLj3EES5_S5_
	.p2align	8
	.type	_ZL33flash_attn_stream_k_fixup_uniformILi128ELi4ELi8EEvPfPK15HIP_vector_typeIfLj2EEiiiiiiS1_IjLj3EES5_S5_,@function
_ZL33flash_attn_stream_k_fixup_uniformILi128ELi4ELi8EEvPfPK15HIP_vector_typeIfLj2EEiiiiiiS1_IjLj3EES5_S5_: ; @_ZL33flash_attn_stream_k_fixup_uniformILi128ELi4ELi8EEvPfPK15HIP_vector_typeIfLj2EEiiiiiiS1_IjLj3EES5_S5_
; %bb.0:
	s_clause 0x2
	s_load_dwordx8 s[12:19], s[4:5], 0x1c
	s_load_dwordx4 s[20:23], s[4:5], 0x3c
	s_load_dwordx2 s[10:11], s[4:5], 0x10
	s_waitcnt lgkmcnt(0)
	s_mul_hi_u32 s0, s15, s6
	s_add_i32 s0, s6, s0
	s_lshr_b32 s0, s0, s16
	s_mul_i32 s1, s0, s17
	s_sub_i32 s2, s6, s1
	s_mul_hi_u32 s1, s2, s18
	s_add_i32 s1, s2, s1
	s_lshr_b32 s1, s1, s19
	s_mul_i32 s3, s1, s20
	s_sub_i32 s2, s2, s3
	s_mul_hi_u32 s3, s2, s21
	s_add_i32 s3, s2, s3
	s_lshr_b32 s3, s3, s22
	s_mul_i32 s9, s3, s23
	s_lshl_b32 s15, s3, 3
	s_sub_i32 s9, s2, s9
	s_lshl_b32 s2, s9, 2
	s_add_i32 s2, s2, s7
	s_cmp_lt_i32 s2, s10
	s_cselect_b32 s2, -1, 0
	s_add_i32 s3, s15, s8
	s_cmp_lt_i32 s3, s13
	s_cselect_b32 s3, -1, 0
	s_and_b32 s2, s2, s3
	s_andn2_b32 vcc_lo, exec_lo, s2
	s_cbranch_vccnz .LBB7_6
; %bb.1:
	s_mul_i32 s0, s0, s10
	s_mul_i32 s10, s1, s13
	s_add_i32 s0, s0, s7
	s_mul_i32 s0, s0, s11
	s_add_i32 s13, s0, s8
	s_load_dwordx4 s[0:3], s[4:5], 0x0
	s_add_i32 s4, s13, s10
	s_mul_i32 s5, s11, s9
	s_add_i32 s4, s4, s15
	s_lshl_b32 s5, s5, 9
	s_lshl_b32 s4, s4, 7
	;; [unrolled: 1-line block ×3, first 2 shown]
	s_add_i32 s5, s5, s4
	s_mul_i32 s4, s14, s6
	v_or_b32_e32 v1, s5, v0
	s_add_i32 s11, s4, s14
	v_ashrrev_i32_e32 v2, 31, v1
	v_lshlrev_b64 v[1:2], 2, v[1:2]
	s_waitcnt lgkmcnt(0)
	v_add_co_u32 v1, vcc_lo, s0, v1
	v_add_co_ci_u32_e64 v2, null, s1, v2, vcc_lo
	s_add_i32 s0, s10, s8
	s_lshl_b32 s1, s11, 5
	s_add_i32 s0, s0, s1
	global_load_dword v5, v[1:2], off
	s_sub_i32 s0, s0, 32
	s_ashr_i32 s1, s0, 31
	s_lshl_b64 s[0:1], s[0:1], 3
	s_add_u32 s0, s2, s0
	s_addc_u32 s1, s3, s1
	s_add_i32 s5, s11, -2
	s_load_dword s13, s[0:1], 0x4
	s_cmp_lt_i32 s5, s4
	s_cbranch_scc1 .LBB7_4
; %bb.2:
	s_lshl_b32 s16, s12, 7
	s_load_dword s15, s[0:1], 0x0
	s_ashr_i32 s17, s16, 31
	s_waitcnt lgkmcnt(0)
	v_mov_b32_e32 v6, s13
	s_lshl_b64 s[0:1], s[16:17], 2
	s_add_u32 s5, s2, s0
	s_addc_u32 s9, s3, s1
	s_add_i32 s6, s6, 1
	s_lshl_b32 s0, s7, 10
	s_lshl_b32 s1, s8, 7
	s_mul_i32 s6, s14, s6
	s_add_i32 s0, s1, s0
	s_lshl_b32 s1, s6, 12
	s_add_i32 s0, s0, s1
	s_lshl_b32 s1, s6, 5
	v_or_b32_e32 v0, s0, v0
	s_lshl_b32 s0, s12, 5
	s_add_i32 s1, s8, s1
	s_add_i32 s6, s11, -1
	s_add_i32 s0, s1, s0
	v_add_nc_u32_e32 v3, 0xffffe000, v0
	v_mov_b32_e32 v0, s15
	s_add_i32 s0, s0, s10
	s_sub_i32 s0, s0, 64
.LBB7_3:                                ; =>This Inner Loop Header: Depth=1
	v_ashrrev_i32_e32 v4, 31, v3
	s_ashr_i32 s1, s0, 31
	s_lshl_b64 s[10:11], s[0:1], 3
	s_add_u32 s10, s2, s10
	v_lshlrev_b64 v[7:8], 2, v[3:4]
	s_addc_u32 s11, s3, s11
	v_add_nc_u32_e32 v3, 0xfffff000, v3
	s_add_i32 s6, s6, -1
	s_sub_i32 s0, s0, 32
	s_cmp_le_i32 s6, s4
	v_add_co_u32 v7, vcc_lo, s5, v7
	v_add_co_ci_u32_e64 v8, null, s9, v8, vcc_lo
	s_load_dwordx2 s[10:11], s[10:11], 0x0
	global_load_dword v4, v[7:8], off
	v_max_f32_e32 v7, v0, v0
	s_waitcnt lgkmcnt(0)
	v_max_f32_e64 v8, s10, s10
	v_max_f32_e32 v7, v7, v8
	v_sub_f32_e32 v8, s10, v7
	v_sub_f32_e32 v0, v0, v7
	v_mul_f32_e32 v9, 0x3fb8aa3b, v8
	v_mul_f32_e32 v12, 0x3fb8aa3b, v0
	v_cmp_ngt_f32_e32 vcc_lo, 0xc2ce8ed0, v8
	v_fma_f32 v10, 0x3fb8aa3b, v8, -v9
	v_rndne_f32_e32 v11, v9
	v_fma_f32 v13, 0x3fb8aa3b, v0, -v12
	v_rndne_f32_e32 v14, v12
	v_fmac_f32_e32 v10, 0x32a5705f, v8
	v_sub_f32_e32 v9, v9, v11
	v_fmac_f32_e32 v13, 0x32a5705f, v0
	v_cvt_i32_f32_e32 v11, v11
	v_add_f32_e32 v9, v9, v10
	v_sub_f32_e32 v10, v12, v14
	v_exp_f32_e32 v9, v9
	v_add_f32_e32 v10, v10, v13
	v_exp_f32_e32 v10, v10
	v_ldexp_f32 v9, v9, v11
	v_cvt_i32_f32_e32 v11, v14
	v_cndmask_b32_e32 v9, 0, v9, vcc_lo
	v_cmp_nlt_f32_e32 vcc_lo, 0x42b17218, v8
	v_ldexp_f32 v10, v10, v11
	v_mov_b32_e32 v11, v6
	v_cndmask_b32_e32 v9, 0x7f800000, v9, vcc_lo
	v_cmp_ngt_f32_e32 vcc_lo, 0xc2ce8ed0, v0
	v_cndmask_b32_e32 v10, 0, v10, vcc_lo
	v_cmp_le_f32_e32 vcc_lo, 0xc1a00000, v8
	v_cndmask_b32_e32 v8, 0, v9, vcc_lo
	v_cmp_nlt_f32_e32 vcc_lo, 0x42b17218, v0
	s_waitcnt vmcnt(1)
	v_mov_b32_e32 v9, v5
	v_cndmask_b32_e32 v5, 0x7f800000, v10, vcc_lo
	v_mul_f32_e32 v10, s11, v8
	v_cmp_le_f32_e32 vcc_lo, 0xc1a00000, v0
	v_mov_b32_e32 v0, v7
	v_mov_b32_e32 v6, v10
	v_cndmask_b32_e32 v12, 0, v5, vcc_lo
	v_fmac_f32_e32 v6, v11, v12
	s_waitcnt vmcnt(0)
	v_mul_f32_e32 v5, v4, v8
	v_fmac_f32_e32 v5, v9, v12
	s_cbranch_scc0 .LBB7_3
	s_branch .LBB7_5
.LBB7_4:
	s_waitcnt lgkmcnt(0)
	v_mov_b32_e32 v6, s13
.LBB7_5:
	s_waitcnt vmcnt(0)
	v_div_scale_f32 v0, null, v6, v6, v5
	v_rcp_f32_e32 v3, v0
	v_fma_f32 v4, -v0, v3, 1.0
	v_fmac_f32_e32 v3, v4, v3
	v_div_scale_f32 v4, vcc_lo, v5, v6, v5
	v_mul_f32_e32 v7, v4, v3
	v_fma_f32 v8, -v0, v7, v4
	v_fmac_f32_e32 v7, v8, v3
	v_fma_f32 v0, -v0, v7, v4
	v_div_fmas_f32 v0, v0, v3, v7
	v_div_fixup_f32 v0, v0, v6, v5
	global_store_dword v[1:2], v0, off
.LBB7_6:
	s_endpgm
	.section	.rodata,"a",@progbits
	.p2align	6, 0x0
	.amdhsa_kernel _ZL33flash_attn_stream_k_fixup_uniformILi128ELi4ELi8EEvPfPK15HIP_vector_typeIfLj2EEiiiiiiS1_IjLj3EES5_S5_
		.amdhsa_group_segment_fixed_size 0
		.amdhsa_private_segment_fixed_size 0
		.amdhsa_kernarg_size 76
		.amdhsa_user_sgpr_count 6
		.amdhsa_user_sgpr_private_segment_buffer 1
		.amdhsa_user_sgpr_dispatch_ptr 0
		.amdhsa_user_sgpr_queue_ptr 0
		.amdhsa_user_sgpr_kernarg_segment_ptr 1
		.amdhsa_user_sgpr_dispatch_id 0
		.amdhsa_user_sgpr_flat_scratch_init 0
		.amdhsa_user_sgpr_private_segment_size 0
		.amdhsa_wavefront_size32 1
		.amdhsa_uses_dynamic_stack 0
		.amdhsa_system_sgpr_private_segment_wavefront_offset 0
		.amdhsa_system_sgpr_workgroup_id_x 1
		.amdhsa_system_sgpr_workgroup_id_y 1
		.amdhsa_system_sgpr_workgroup_id_z 1
		.amdhsa_system_sgpr_workgroup_info 0
		.amdhsa_system_vgpr_workitem_id 0
		.amdhsa_next_free_vgpr 15
		.amdhsa_next_free_sgpr 24
		.amdhsa_reserve_vcc 1
		.amdhsa_reserve_flat_scratch 0
		.amdhsa_float_round_mode_32 0
		.amdhsa_float_round_mode_16_64 0
		.amdhsa_float_denorm_mode_32 3
		.amdhsa_float_denorm_mode_16_64 3
		.amdhsa_dx10_clamp 1
		.amdhsa_ieee_mode 1
		.amdhsa_fp16_overflow 0
		.amdhsa_workgroup_processor_mode 1
		.amdhsa_memory_ordered 1
		.amdhsa_forward_progress 1
		.amdhsa_shared_vgpr_count 0
		.amdhsa_exception_fp_ieee_invalid_op 0
		.amdhsa_exception_fp_denorm_src 0
		.amdhsa_exception_fp_ieee_div_zero 0
		.amdhsa_exception_fp_ieee_overflow 0
		.amdhsa_exception_fp_ieee_underflow 0
		.amdhsa_exception_fp_ieee_inexact 0
		.amdhsa_exception_int_div_zero 0
	.end_amdhsa_kernel
	.section	.text._ZL33flash_attn_stream_k_fixup_uniformILi128ELi4ELi8EEvPfPK15HIP_vector_typeIfLj2EEiiiiiiS1_IjLj3EES5_S5_,"axG",@progbits,_ZL33flash_attn_stream_k_fixup_uniformILi128ELi4ELi8EEvPfPK15HIP_vector_typeIfLj2EEiiiiiiS1_IjLj3EES5_S5_,comdat
.Lfunc_end7:
	.size	_ZL33flash_attn_stream_k_fixup_uniformILi128ELi4ELi8EEvPfPK15HIP_vector_typeIfLj2EEiiiiiiS1_IjLj3EES5_S5_, .Lfunc_end7-_ZL33flash_attn_stream_k_fixup_uniformILi128ELi4ELi8EEvPfPK15HIP_vector_typeIfLj2EEiiiiiiS1_IjLj3EES5_S5_
                                        ; -- End function
	.set _ZL33flash_attn_stream_k_fixup_uniformILi128ELi4ELi8EEvPfPK15HIP_vector_typeIfLj2EEiiiiiiS1_IjLj3EES5_S5_.num_vgpr, 15
	.set _ZL33flash_attn_stream_k_fixup_uniformILi128ELi4ELi8EEvPfPK15HIP_vector_typeIfLj2EEiiiiiiS1_IjLj3EES5_S5_.num_agpr, 0
	.set _ZL33flash_attn_stream_k_fixup_uniformILi128ELi4ELi8EEvPfPK15HIP_vector_typeIfLj2EEiiiiiiS1_IjLj3EES5_S5_.numbered_sgpr, 24
	.set _ZL33flash_attn_stream_k_fixup_uniformILi128ELi4ELi8EEvPfPK15HIP_vector_typeIfLj2EEiiiiiiS1_IjLj3EES5_S5_.num_named_barrier, 0
	.set _ZL33flash_attn_stream_k_fixup_uniformILi128ELi4ELi8EEvPfPK15HIP_vector_typeIfLj2EEiiiiiiS1_IjLj3EES5_S5_.private_seg_size, 0
	.set _ZL33flash_attn_stream_k_fixup_uniformILi128ELi4ELi8EEvPfPK15HIP_vector_typeIfLj2EEiiiiiiS1_IjLj3EES5_S5_.uses_vcc, 1
	.set _ZL33flash_attn_stream_k_fixup_uniformILi128ELi4ELi8EEvPfPK15HIP_vector_typeIfLj2EEiiiiiiS1_IjLj3EES5_S5_.uses_flat_scratch, 0
	.set _ZL33flash_attn_stream_k_fixup_uniformILi128ELi4ELi8EEvPfPK15HIP_vector_typeIfLj2EEiiiiiiS1_IjLj3EES5_S5_.has_dyn_sized_stack, 0
	.set _ZL33flash_attn_stream_k_fixup_uniformILi128ELi4ELi8EEvPfPK15HIP_vector_typeIfLj2EEiiiiiiS1_IjLj3EES5_S5_.has_recursion, 0
	.set _ZL33flash_attn_stream_k_fixup_uniformILi128ELi4ELi8EEvPfPK15HIP_vector_typeIfLj2EEiiiiiiS1_IjLj3EES5_S5_.has_indirect_call, 0
	.section	.AMDGPU.csdata,"",@progbits
; Kernel info:
; codeLenInByte = 848
; TotalNumSgprs: 26
; NumVgprs: 15
; ScratchSize: 0
; MemoryBound: 0
; FloatMode: 240
; IeeeMode: 1
; LDSByteSize: 0 bytes/workgroup (compile time only)
; SGPRBlocks: 0
; VGPRBlocks: 1
; NumSGPRsForWavesPerEU: 26
; NumVGPRsForWavesPerEU: 15
; Occupancy: 16
; WaveLimiterHint : 0
; COMPUTE_PGM_RSRC2:SCRATCH_EN: 0
; COMPUTE_PGM_RSRC2:USER_SGPR: 6
; COMPUTE_PGM_RSRC2:TRAP_HANDLER: 0
; COMPUTE_PGM_RSRC2:TGID_X_EN: 1
; COMPUTE_PGM_RSRC2:TGID_Y_EN: 1
; COMPUTE_PGM_RSRC2:TGID_Z_EN: 1
; COMPUTE_PGM_RSRC2:TIDIG_COMP_CNT: 0
	.section	.text._ZL33flash_attn_stream_k_fixup_generalILi128ELi4ELi8EEvPfPK15HIP_vector_typeIfLj2EEiiiiS1_IjLj3EES5_S5_S5_,"axG",@progbits,_ZL33flash_attn_stream_k_fixup_generalILi128ELi4ELi8EEvPfPK15HIP_vector_typeIfLj2EEiiiiS1_IjLj3EES5_S5_S5_,comdat
	.globl	_ZL33flash_attn_stream_k_fixup_generalILi128ELi4ELi8EEvPfPK15HIP_vector_typeIfLj2EEiiiiS1_IjLj3EES5_S5_S5_ ; -- Begin function _ZL33flash_attn_stream_k_fixup_generalILi128ELi4ELi8EEvPfPK15HIP_vector_typeIfLj2EEiiiiS1_IjLj3EES5_S5_S5_
	.p2align	8
	.type	_ZL33flash_attn_stream_k_fixup_generalILi128ELi4ELi8EEvPfPK15HIP_vector_typeIfLj2EEiiiiS1_IjLj3EES5_S5_S5_,@function
_ZL33flash_attn_stream_k_fixup_generalILi128ELi4ELi8EEvPfPK15HIP_vector_typeIfLj2EEiiiiS1_IjLj3EES5_S5_S5_: ; @_ZL33flash_attn_stream_k_fixup_generalILi128ELi4ELi8EEvPfPK15HIP_vector_typeIfLj2EEiiiiS1_IjLj3EES5_S5_S5_
; %bb.0:
	s_clause 0x1
	s_load_dwordx4 s[0:3], s[4:5], 0x10
	s_load_dword s9, s[4:5], 0x50
	s_mov_b32 s16, 0
	s_waitcnt lgkmcnt(0)
	s_mul_hi_i32 s17, s3, s6
	s_mul_i32 s18, s3, s6
	s_cmp_lg_u64 s[16:17], 0
	s_cbranch_scc0 .LBB8_21
; %bb.1:
	s_add_u32 s10, s9, 0
	s_addc_u32 s11, 0, 0
	s_xor_b64 s[10:11], s[10:11], 0
	v_cvt_f32_u32_e32 v1, s10
	v_cvt_f32_u32_e32 v2, s11
	s_sub_u32 s14, 0, s10
	s_subb_u32 s15, 0, s11
	v_fmamk_f32 v1, v2, 0x4f800000, v1
	v_rcp_f32_e32 v1, v1
	v_mul_f32_e32 v1, 0x5f7ffffc, v1
	v_mul_f32_e32 v2, 0x2f800000, v1
	v_trunc_f32_e32 v2, v2
	v_fmamk_f32 v1, v2, 0xcf800000, v1
	v_cvt_u32_f32_e32 v2, v2
	v_cvt_u32_f32_e32 v1, v1
	v_readfirstlane_b32 s12, v2
	v_readfirstlane_b32 s13, v1
	s_mul_i32 s19, s14, s12
	s_mul_hi_u32 s21, s14, s13
	s_mul_i32 s20, s15, s13
	s_add_i32 s19, s21, s19
	s_mul_i32 s22, s14, s13
	s_add_i32 s19, s19, s20
	s_mul_hi_u32 s21, s13, s22
	s_mul_i32 s24, s13, s19
	s_mul_hi_u32 s23, s12, s22
	s_mul_i32 s20, s12, s22
	s_mul_hi_u32 s22, s13, s19
	s_add_u32 s21, s21, s24
	s_addc_u32 s22, 0, s22
	s_mul_hi_u32 s25, s12, s19
	s_add_u32 s20, s21, s20
	s_mul_i32 s19, s12, s19
	s_addc_u32 s20, s22, s23
	s_addc_u32 s21, s25, 0
	s_add_u32 s19, s20, s19
	s_addc_u32 s20, 0, s21
	s_add_u32 s13, s13, s19
	s_cselect_b32 s19, -1, 0
	s_mul_hi_u32 s21, s14, s13
	s_cmp_lg_u32 s19, 0
	s_mul_i32 s19, s14, s13
	s_addc_u32 s12, s12, s20
	s_mul_i32 s15, s15, s13
	s_mul_i32 s14, s14, s12
	s_mul_hi_u32 s20, s13, s19
	s_add_i32 s14, s21, s14
	s_mul_hi_u32 s21, s12, s19
	s_add_i32 s14, s14, s15
	s_mul_i32 s15, s12, s19
	s_mul_i32 s23, s13, s14
	s_mul_hi_u32 s22, s13, s14
	s_add_u32 s20, s20, s23
	s_addc_u32 s22, 0, s22
	s_mul_hi_u32 s19, s12, s14
	s_add_u32 s15, s20, s15
	s_mul_i32 s14, s12, s14
	s_addc_u32 s15, s22, s21
	s_addc_u32 s19, s19, 0
	s_add_u32 s14, s15, s14
	s_addc_u32 s15, 0, s19
	s_add_u32 s19, s13, s14
	s_cselect_b32 s13, -1, 0
	s_cmp_lg_u32 s13, 0
	s_addc_u32 s20, s12, s15
	s_ashr_i32 s12, s17, 31
	s_add_u32 s14, s18, s12
	s_mov_b32 s13, s12
	s_addc_u32 s15, s17, s12
	s_xor_b64 s[14:15], s[14:15], s[12:13]
	s_mul_i32 s21, s14, s20
	s_mul_hi_u32 s22, s14, s19
	s_mul_hi_u32 s17, s14, s20
	;; [unrolled: 1-line block ×3, first 2 shown]
	s_mul_i32 s19, s15, s19
	s_add_u32 s21, s22, s21
	s_addc_u32 s17, 0, s17
	s_mul_hi_u32 s23, s15, s20
	s_add_u32 s19, s21, s19
	s_mul_i32 s20, s15, s20
	s_addc_u32 s17, s17, s24
	s_addc_u32 s19, s23, 0
	s_add_u32 s17, s17, s20
	s_addc_u32 s19, 0, s19
	s_mul_hi_u32 s20, s10, s17
	s_mul_i32 s21, s10, s19
	s_mul_i32 s22, s11, s17
	s_add_i32 s20, s20, s21
	s_mul_i32 s21, s10, s17
	s_add_i32 s20, s20, s22
	s_sub_i32 s22, s15, s20
	s_sub_u32 s14, s14, s21
	s_cselect_b32 s21, -1, 0
	s_cmp_lg_u32 s21, 0
	s_subb_u32 s22, s22, s11
	s_sub_u32 s23, s14, s10
	s_cselect_b32 s24, -1, 0
	s_cmp_lg_u32 s24, 0
	s_subb_u32 s22, s22, 0
	s_cmp_ge_u32 s22, s11
	s_cselect_b32 s24, -1, 0
	s_cmp_ge_u32 s23, s10
	s_cselect_b32 s23, -1, 0
	s_cmp_eq_u32 s22, s11
	s_cselect_b32 s22, s23, s24
	s_add_u32 s23, s17, 1
	s_addc_u32 s24, s19, 0
	s_add_u32 s25, s17, 2
	s_addc_u32 s26, s19, 0
	s_cmp_lg_u32 s22, 0
	s_cselect_b32 s22, s25, s23
	s_cselect_b32 s23, s26, s24
	s_cmp_lg_u32 s21, 0
	s_subb_u32 s15, s15, s20
	s_cmp_ge_u32 s15, s11
	s_cselect_b32 s20, -1, 0
	s_cmp_ge_u32 s14, s10
	s_cselect_b32 s10, -1, 0
	s_cmp_eq_u32 s15, s11
	s_cselect_b32 s10, s10, s20
	s_cmp_lg_u32 s10, 0
	s_cselect_b32 s11, s23, s19
	s_cselect_b32 s10, s22, s17
	s_xor_b64 s[12:13], s[12:13], 0
	s_xor_b64 s[10:11], s[10:11], s[12:13]
	s_sub_u32 s10, s10, s12
	s_load_dwordx4 s[12:15], s[4:5], 0x44
	s_andn2_b32 vcc_lo, exec_lo, s16
	s_cbranch_vccnz .LBB8_3
.LBB8_2:
	v_cvt_f32_u32_e32 v1, s9
	s_sub_i32 s11, 0, s9
	v_rcp_iflag_f32_e32 v1, v1
	v_mul_f32_e32 v1, 0x4f7ffffe, v1
	v_cvt_u32_f32_e32 v1, v1
	v_readfirstlane_b32 s10, v1
	s_mul_i32 s11, s11, s10
	s_mul_hi_u32 s11, s10, s11
	s_add_i32 s10, s10, s11
	s_mul_hi_u32 s10, s18, s10
	s_mul_i32 s11, s10, s9
	s_waitcnt lgkmcnt(0)
	s_add_i32 s15, s10, 1
	s_sub_i32 s11, s18, s11
	s_sub_i32 s16, s11, s9
	s_cmp_ge_u32 s11, s9
	s_cselect_b32 s10, s15, s10
	s_cselect_b32 s11, s16, s11
	s_add_i32 s15, s10, 1
	s_cmp_ge_u32 s11, s9
	s_cselect_b32 s10, s15, s10
.LBB8_3:
	s_add_i32 s11, s6, 1
	s_mov_b32 s16, 0
	s_mul_hi_i32 s17, s3, s11
	s_mul_i32 s11, s3, s11
	s_cmp_lg_u64 s[16:17], 0
	s_cbranch_scc0 .LBB8_22
; %bb.4:
	s_add_u32 s18, s9, 0
	s_addc_u32 s19, 0, 0
	s_xor_b64 s[18:19], s[18:19], 0
	v_cvt_f32_u32_e32 v1, s18
	v_cvt_f32_u32_e32 v2, s19
	s_sub_u32 s21, 0, s18
	s_subb_u32 s22, 0, s19
	v_fmamk_f32 v1, v2, 0x4f800000, v1
	v_rcp_f32_e32 v1, v1
	v_mul_f32_e32 v1, 0x5f7ffffc, v1
	v_mul_f32_e32 v2, 0x2f800000, v1
	v_trunc_f32_e32 v2, v2
	v_fmamk_f32 v1, v2, 0xcf800000, v1
	v_cvt_u32_f32_e32 v2, v2
	v_cvt_u32_f32_e32 v1, v1
	s_waitcnt lgkmcnt(0)
	v_readfirstlane_b32 s15, v2
	v_readfirstlane_b32 s20, v1
	s_mul_i32 s23, s21, s15
	s_mul_hi_u32 s25, s21, s20
	s_mul_i32 s24, s22, s20
	s_add_i32 s23, s25, s23
	s_mul_i32 s26, s21, s20
	s_add_i32 s23, s23, s24
	s_mul_hi_u32 s25, s20, s26
	s_mul_i32 s28, s20, s23
	s_mul_hi_u32 s27, s15, s26
	s_mul_i32 s24, s15, s26
	s_mul_hi_u32 s26, s20, s23
	s_add_u32 s25, s25, s28
	s_addc_u32 s26, 0, s26
	s_mul_hi_u32 s29, s15, s23
	s_add_u32 s24, s25, s24
	s_mul_i32 s23, s15, s23
	s_addc_u32 s24, s26, s27
	s_addc_u32 s25, s29, 0
	s_add_u32 s23, s24, s23
	s_addc_u32 s24, 0, s25
	s_add_u32 s20, s20, s23
	s_cselect_b32 s23, -1, 0
	s_mul_hi_u32 s25, s21, s20
	s_cmp_lg_u32 s23, 0
	s_mul_i32 s23, s21, s20
	s_addc_u32 s15, s15, s24
	s_mul_i32 s22, s22, s20
	s_mul_i32 s21, s21, s15
	s_mul_hi_u32 s24, s20, s23
	s_add_i32 s21, s25, s21
	s_mul_hi_u32 s25, s15, s23
	s_add_i32 s21, s21, s22
	s_mul_i32 s22, s15, s23
	s_mul_i32 s27, s20, s21
	s_mul_hi_u32 s26, s20, s21
	s_add_u32 s24, s24, s27
	s_addc_u32 s26, 0, s26
	s_mul_hi_u32 s23, s15, s21
	s_add_u32 s22, s24, s22
	s_mul_i32 s21, s15, s21
	s_addc_u32 s22, s26, s25
	s_addc_u32 s23, s23, 0
	s_add_u32 s21, s22, s21
	s_addc_u32 s22, 0, s23
	s_add_u32 s24, s20, s21
	s_cselect_b32 s20, -1, 0
	s_cmp_lg_u32 s20, 0
	s_addc_u32 s15, s15, s22
	s_ashr_i32 s20, s17, 31
	s_add_u32 s22, s11, s20
	s_mov_b32 s21, s20
	s_addc_u32 s23, s17, s20
	s_xor_b64 s[22:23], s[22:23], s[20:21]
	s_mul_i32 s25, s22, s15
	s_mul_hi_u32 s26, s22, s24
	s_mul_hi_u32 s17, s22, s15
	;; [unrolled: 1-line block ×3, first 2 shown]
	s_mul_i32 s24, s23, s24
	s_add_u32 s25, s26, s25
	s_addc_u32 s17, 0, s17
	s_mul_hi_u32 s27, s23, s15
	s_add_u32 s24, s25, s24
	s_mul_i32 s15, s23, s15
	s_addc_u32 s17, s17, s28
	s_addc_u32 s24, s27, 0
	s_add_u32 s15, s17, s15
	s_addc_u32 s17, 0, s24
	s_mul_hi_u32 s24, s18, s15
	s_mul_i32 s25, s18, s17
	s_mul_i32 s26, s19, s15
	s_add_i32 s24, s24, s25
	s_mul_i32 s25, s18, s15
	s_add_i32 s24, s24, s26
	s_sub_i32 s26, s23, s24
	s_sub_u32 s22, s22, s25
	s_cselect_b32 s25, -1, 0
	s_cmp_lg_u32 s25, 0
	s_subb_u32 s26, s26, s19
	s_sub_u32 s27, s22, s18
	s_cselect_b32 s28, -1, 0
	s_cmp_lg_u32 s28, 0
	s_subb_u32 s26, s26, 0
	s_cmp_ge_u32 s26, s19
	s_cselect_b32 s28, -1, 0
	s_cmp_ge_u32 s27, s18
	s_cselect_b32 s27, -1, 0
	s_cmp_eq_u32 s26, s19
	s_cselect_b32 s26, s27, s28
	s_add_u32 s27, s15, 1
	s_addc_u32 s28, s17, 0
	s_add_u32 s29, s15, 2
	s_addc_u32 s30, s17, 0
	s_cmp_lg_u32 s26, 0
	s_cselect_b32 s26, s29, s27
	s_cselect_b32 s27, s30, s28
	s_cmp_lg_u32 s25, 0
	s_subb_u32 s23, s23, s24
	s_cmp_ge_u32 s23, s19
	s_cselect_b32 s24, -1, 0
	s_cmp_ge_u32 s22, s18
	s_cselect_b32 s18, -1, 0
	s_cmp_eq_u32 s23, s19
	s_cselect_b32 s18, s18, s24
	s_cmp_lg_u32 s18, 0
	s_cselect_b32 s19, s27, s17
	s_cselect_b32 s18, s26, s15
	s_xor_b64 s[20:21], s[20:21], 0
	s_xor_b64 s[18:19], s[18:19], s[20:21]
	s_sub_u32 s18, s18, s20
	s_andn2_b32 vcc_lo, exec_lo, s16
	s_cbranch_vccnz .LBB8_6
.LBB8_5:
	v_cvt_f32_u32_e32 v1, s9
	s_sub_i32 s16, 0, s9
	v_rcp_iflag_f32_e32 v1, v1
	v_mul_f32_e32 v1, 0x4f7ffffe, v1
	v_cvt_u32_f32_e32 v1, v1
	s_waitcnt lgkmcnt(0)
	v_readfirstlane_b32 s15, v1
	s_mul_i32 s16, s16, s15
	s_mul_hi_u32 s16, s15, s16
	s_add_i32 s15, s15, s16
	s_mul_hi_u32 s15, s11, s15
	s_mul_i32 s16, s15, s9
	s_sub_i32 s11, s11, s16
	s_add_i32 s16, s15, 1
	s_sub_i32 s17, s11, s9
	s_cmp_ge_u32 s11, s9
	s_cselect_b32 s15, s16, s15
	s_cselect_b32 s11, s17, s11
	s_add_i32 s16, s15, 1
	s_cmp_ge_u32 s11, s9
	s_cselect_b32 s18, s16, s15
.LBB8_6:
	s_cmp_eq_u32 s10, s18
	s_waitcnt lgkmcnt(0)
	s_mul_hi_u32 s11, s10, s12
	s_cselect_b32 s15, -1, 0
	s_add_i32 s11, s11, s10
	s_lshr_b32 s11, s11, s13
	s_mul_i32 s16, s11, s14
	s_cmp_eq_u32 s16, s10
	s_mul_hi_u32 s16, s18, s12
	s_cselect_b32 s17, -1, 0
	s_add_i32 s16, s16, s18
	s_lshr_b32 s16, s16, s13
	s_cmp_eq_u32 s11, s16
	s_mul_i32 s16, s16, s14
	s_cselect_b32 s19, -1, 0
	s_cmp_lg_u32 s16, s18
	s_cselect_b32 s16, -1, 0
	s_or_b32 s15, s15, s17
	s_and_b32 s16, s19, s16
	s_or_b32 s15, s15, s16
	s_and_b32 vcc_lo, exec_lo, s15
	s_cbranch_vccnz .LBB8_24
; %bb.7:
	s_clause 0x1
	s_load_dwordx8 s[20:27], s[4:5], 0x20
	s_load_dword s16, s[4:5], 0x40
	s_waitcnt lgkmcnt(0)
	s_mul_hi_u32 s15, s10, s20
	s_add_i32 s15, s15, s10
	s_lshr_b32 s15, s15, s21
	s_mul_i32 s17, s15, s22
	s_sub_i32 s17, s10, s17
	s_mul_hi_u32 s18, s17, s23
	s_add_i32 s18, s17, s18
	s_lshr_b32 s22, s18, s24
	s_mul_i32 s18, s22, s25
	s_sub_i32 s17, s17, s18
	s_mul_hi_u32 s18, s17, s26
	s_add_i32 s18, s17, s18
	s_lshr_b32 s18, s18, s27
	s_mul_i32 s16, s18, s16
	s_lshl_b32 s24, s18, 3
	s_sub_i32 s16, s17, s16
	s_mul_hi_u32 s17, s16, s12
	s_add_i32 s16, s16, s17
	s_lshr_b32 s23, s16, s13
	s_lshl_b32 s16, s23, 2
	s_add_i32 s16, s16, s7
	s_cmp_lt_i32 s16, s0
	s_cselect_b32 s16, -1, 0
	s_add_i32 s17, s24, s8
	s_cmp_lt_i32 s17, s2
	s_cselect_b32 s17, -1, 0
	s_and_b32 s16, s16, s17
	s_andn2_b32 vcc_lo, exec_lo, s16
	s_cbranch_vccnz .LBB8_24
; %bb.8:
	s_load_dwordx4 s[16:19], s[4:5], 0x0
	s_mov_b32 s4, 0
	s_lshl_b32 s20, s9, 7
	s_mov_b32 s21, s4
	s_lshl_b32 s5, s7, 3
	s_lshl_b64 s[20:21], s[20:21], 2
	s_mul_i32 s0, s15, s0
	s_add_i32 s15, s5, s8
	s_mul_i32 s22, s22, s2
	v_cvt_f32_u32_e32 v4, s9
	v_rcp_iflag_f32_e32 v4, v4
	s_waitcnt lgkmcnt(0)
	s_add_u32 s20, s18, s20
	s_addc_u32 s21, s19, s21
	s_add_i32 s0, s0, s7
	s_mul_i32 s0, s0, s1
	s_mul_i32 s1, s1, s23
	s_add_i32 s0, s0, s8
	s_lshl_b32 s1, s1, 9
	s_add_i32 s0, s0, s22
	v_mul_f32_e32 v4, 0x4f7ffffe, v4
	s_add_i32 s0, s0, s24
	s_lshl_b32 s0, s0, 7
	s_add_i32 s1, s1, s0
	s_lshl_b32 s0, s6, 5
	v_or_b32_e32 v1, s1, v0
	s_add_i32 s0, s15, s0
	v_lshl_or_b32 v0, s15, 7, v0
	s_ashr_i32 s1, s0, 31
	v_cvt_u32_f32_e32 v4, v4
	v_ashrrev_i32_e32 v2, 31, v1
	s_lshl_b64 s[0:1], s[0:1], 3
	s_add_u32 s0, s18, s0
	s_addc_u32 s1, s19, s1
	v_lshlrev_b64 v[1:2], 2, v[1:2]
	s_load_dwordx2 s[0:1], s[0:1], 0x0
	s_add_i32 s8, s6, -1
	s_sub_i32 s2, 0, s9
	v_add_co_u32 v1, vcc_lo, s16, v1
	v_add_co_ci_u32_e64 v2, null, s17, v2, vcc_lo
	global_load_dword v3, v[1:2], off
	s_waitcnt lgkmcnt(0)
	v_mov_b32_e32 v5, s1
	v_mov_b32_e32 v6, s0
.LBB8_9:                                ; =>This Inner Loop Header: Depth=1
	s_mul_hi_i32 s5, s8, s3
	s_mul_i32 s6, s8, s3
	s_cmp_lg_u64 s[4:5], 0
	s_mov_b32 s7, -1
                                        ; implicit-def: $sgpr0_sgpr1
	s_cbranch_scc0 .LBB8_11
; %bb.10:                               ;   in Loop: Header=BB8_9 Depth=1
	s_add_u32 s0, s9, 0
	s_addc_u32 s1, 0, 0
	s_xor_b64 s[0:1], s[0:1], 0
	v_cvt_f32_u32_e32 v7, s0
	v_cvt_f32_u32_e32 v8, s1
	s_sub_u32 s17, 0, s0
	s_subb_u32 s22, 0, s1
	v_fmac_f32_e32 v7, 0x4f800000, v8
	v_rcp_f32_e32 v7, v7
	v_mul_f32_e32 v7, 0x5f7ffffc, v7
	v_mul_f32_e32 v8, 0x2f800000, v7
	v_trunc_f32_e32 v8, v8
	v_fmac_f32_e32 v7, 0xcf800000, v8
	v_cvt_u32_f32_e32 v8, v8
	v_cvt_u32_f32_e32 v7, v7
	v_readfirstlane_b32 s7, v8
	v_readfirstlane_b32 s16, v7
	s_mul_i32 s23, s17, s7
	s_mul_hi_u32 s25, s17, s16
	s_mul_i32 s24, s22, s16
	s_add_i32 s23, s25, s23
	s_mul_i32 s26, s17, s16
	s_add_i32 s23, s23, s24
	s_mul_hi_u32 s25, s16, s26
	s_mul_i32 s28, s16, s23
	s_mul_hi_u32 s27, s7, s26
	s_mul_i32 s24, s7, s26
	s_mul_hi_u32 s26, s16, s23
	s_add_u32 s25, s25, s28
	s_addc_u32 s26, 0, s26
	s_mul_hi_u32 s29, s7, s23
	s_add_u32 s24, s25, s24
	s_mul_i32 s23, s7, s23
	s_addc_u32 s24, s26, s27
	s_addc_u32 s25, s29, 0
	s_add_u32 s23, s24, s23
	s_addc_u32 s24, 0, s25
	s_add_u32 s16, s16, s23
	s_cselect_b32 s23, -1, 0
	s_mul_hi_u32 s25, s17, s16
	s_cmp_lg_u32 s23, 0
	s_mul_i32 s23, s17, s16
	s_addc_u32 s7, s7, s24
	s_mul_i32 s22, s22, s16
	s_mul_i32 s17, s17, s7
	s_mul_hi_u32 s24, s16, s23
	s_add_i32 s17, s25, s17
	s_mul_hi_u32 s25, s7, s23
	s_add_i32 s17, s17, s22
	s_mul_i32 s22, s7, s23
	s_mul_i32 s27, s16, s17
	s_mul_hi_u32 s26, s16, s17
	s_add_u32 s24, s24, s27
	s_addc_u32 s26, 0, s26
	s_mul_hi_u32 s23, s7, s17
	s_add_u32 s22, s24, s22
	s_mul_i32 s17, s7, s17
	s_addc_u32 s22, s26, s25
	s_addc_u32 s23, s23, 0
	s_add_u32 s17, s22, s17
	s_addc_u32 s22, 0, s23
	s_add_u32 s24, s16, s17
	s_cselect_b32 s16, -1, 0
	s_cmp_lg_u32 s16, 0
	s_addc_u32 s7, s7, s22
	s_ashr_i32 s16, s5, 31
	s_add_u32 s22, s6, s16
	s_mov_b32 s17, s16
	s_addc_u32 s23, s5, s16
	s_xor_b64 s[22:23], s[22:23], s[16:17]
	s_mul_i32 s25, s22, s7
	s_mul_hi_u32 s26, s22, s24
	s_mul_hi_u32 s5, s22, s7
	;; [unrolled: 1-line block ×3, first 2 shown]
	s_mul_i32 s24, s23, s24
	s_add_u32 s25, s26, s25
	s_addc_u32 s5, 0, s5
	s_mul_hi_u32 s27, s23, s7
	s_add_u32 s24, s25, s24
	s_mul_i32 s7, s23, s7
	s_addc_u32 s5, s5, s28
	s_addc_u32 s24, s27, 0
	s_add_u32 s5, s5, s7
	s_addc_u32 s7, 0, s24
	s_mul_hi_u32 s24, s0, s5
	s_mul_i32 s25, s0, s7
	s_mul_i32 s26, s1, s5
	s_add_i32 s24, s24, s25
	s_mul_i32 s25, s0, s5
	s_add_i32 s24, s24, s26
	s_sub_i32 s26, s23, s24
	s_sub_u32 s22, s22, s25
	s_cselect_b32 s25, -1, 0
	s_cmp_lg_u32 s25, 0
	s_subb_u32 s26, s26, s1
	s_sub_u32 s27, s22, s0
	s_cselect_b32 s28, -1, 0
	s_cmp_lg_u32 s28, 0
	s_subb_u32 s26, s26, 0
	s_cmp_ge_u32 s26, s1
	s_cselect_b32 s28, -1, 0
	s_cmp_ge_u32 s27, s0
	s_cselect_b32 s27, -1, 0
	s_cmp_eq_u32 s26, s1
	s_cselect_b32 s26, s27, s28
	s_add_u32 s27, s5, 1
	s_addc_u32 s28, s7, 0
	s_add_u32 s29, s5, 2
	s_addc_u32 s30, s7, 0
	s_cmp_lg_u32 s26, 0
	s_cselect_b32 s26, s29, s27
	s_cselect_b32 s27, s30, s28
	s_cmp_lg_u32 s25, 0
	s_subb_u32 s23, s23, s24
	s_cmp_ge_u32 s23, s1
	s_cselect_b32 s24, -1, 0
	s_cmp_ge_u32 s22, s0
	s_cselect_b32 s0, -1, 0
	s_cmp_eq_u32 s23, s1
	s_cselect_b32 s0, s0, s24
	s_cmp_lg_u32 s0, 0
	s_cselect_b32 s1, s27, s7
	s_cselect_b32 s0, s26, s5
	s_xor_b64 s[16:17], s[16:17], 0
	s_mov_b32 s7, 0
	s_xor_b64 s[0:1], s[0:1], s[16:17]
	s_sub_u32 s0, s0, s16
.LBB8_11:                               ;   in Loop: Header=BB8_9 Depth=1
	s_andn2_b32 vcc_lo, exec_lo, s7
	s_cbranch_vccnz .LBB8_13
; %bb.12:                               ;   in Loop: Header=BB8_9 Depth=1
	v_readfirstlane_b32 s0, v4
	s_mul_i32 s1, s2, s0
	s_mul_hi_u32 s1, s0, s1
	s_add_i32 s0, s0, s1
	s_mul_hi_u32 s0, s6, s0
	s_mul_i32 s1, s0, s9
	s_add_i32 s5, s0, 1
	s_sub_i32 s1, s6, s1
	s_sub_i32 s6, s1, s9
	s_cmp_ge_u32 s1, s9
	s_cselect_b32 s0, s5, s0
	s_cselect_b32 s1, s6, s1
	s_add_i32 s5, s0, 1
	s_cmp_ge_u32 s1, s9
	s_cselect_b32 s0, s5, s0
.LBB8_13:                               ;   in Loop: Header=BB8_9 Depth=1
	s_cmp_lg_u32 s10, s0
	s_mov_b32 s6, -1
                                        ; implicit-def: $sgpr5
                                        ; implicit-def: $vgpr8
                                        ; implicit-def: $vgpr7
                                        ; implicit-def: $vgpr9
                                        ; implicit-def: $sgpr1
                                        ; implicit-def: $sgpr16
	s_cbranch_scc0 .LBB8_18
; %bb.14:                               ;   in Loop: Header=BB8_9 Depth=1
	s_add_i32 s1, s8, s9
	s_mov_b32 s7, s4
	s_lshl_b32 s1, s1, 5
	s_mov_b32 s16, s10
	s_add_i32 s6, s1, s15
	s_mul_hi_u32 s1, s0, s12
	s_lshl_b64 s[6:7], s[6:7], 3
	s_add_u32 s6, s18, s6
	s_addc_u32 s7, s19, s7
	s_add_i32 s1, s1, s0
	s_lshr_b32 s1, s1, s13
	s_mul_i32 s5, s1, s14
	s_cmp_eq_u32 s5, s0
	s_cselect_b32 s5, -1, 0
	s_cmp_lt_u32 s1, s11
	s_cselect_b32 s1, -1, 0
	s_or_b32 s1, s1, s5
	s_mov_b32 s5, -1
	s_and_b32 vcc_lo, exec_lo, s1
	s_mov_b32 s1, s8
	s_cbranch_vccnz .LBB8_16
; %bb.15:                               ;   in Loop: Header=BB8_9 Depth=1
	s_add_i32 s1, s8, -1
	s_mov_b32 s5, 0
	s_mov_b32 s16, s0
.LBB8_16:                               ;   in Loop: Header=BB8_9 Depth=1
	v_lshl_add_u32 v7, s8, 12, v0
	s_load_dwordx2 s[6:7], s[6:7], 0x0
	v_ashrrev_i32_e32 v8, 31, v7
	v_lshlrev_b64 v[7:8], 2, v[7:8]
	v_add_co_u32 v7, vcc_lo, s20, v7
	v_add_co_ci_u32_e64 v8, null, s21, v8, vcc_lo
	s_waitcnt lgkmcnt(0)
	v_max_f32_e64 v9, s6, s6
	global_load_dword v8, v[7:8], off
	v_max_f32_e32 v7, v6, v6
	v_max_f32_e32 v7, v7, v9
	v_sub_f32_e32 v9, s6, v7
	v_sub_f32_e32 v10, v6, v7
	v_mul_f32_e32 v11, 0x3fb8aa3b, v9
	v_mul_f32_e32 v12, 0x3fb8aa3b, v10
	v_cmp_ngt_f32_e32 vcc_lo, 0xc2ce8ed0, v9
	v_fma_f32 v13, 0x3fb8aa3b, v9, -v11
	v_rndne_f32_e32 v14, v11
	v_fma_f32 v15, 0x3fb8aa3b, v10, -v12
	v_rndne_f32_e32 v16, v12
	v_fmac_f32_e32 v13, 0x32a5705f, v9
	v_sub_f32_e32 v11, v11, v14
	v_fmac_f32_e32 v15, 0x32a5705f, v10
	v_sub_f32_e32 v12, v12, v16
	v_add_f32_e32 v11, v11, v13
	v_cvt_i32_f32_e32 v13, v14
	v_add_f32_e32 v12, v12, v15
	v_cvt_i32_f32_e32 v14, v16
	v_exp_f32_e32 v11, v11
	v_exp_f32_e32 v12, v12
	v_ldexp_f32 v11, v11, v13
	v_ldexp_f32 v12, v12, v14
	v_cndmask_b32_e32 v11, 0, v11, vcc_lo
	v_cmp_ngt_f32_e32 vcc_lo, 0xc2ce8ed0, v10
	v_cndmask_b32_e32 v12, 0, v12, vcc_lo
	v_cmp_nlt_f32_e32 vcc_lo, 0x42b17218, v9
	v_cndmask_b32_e32 v11, 0x7f800000, v11, vcc_lo
	v_cmp_nlt_f32_e32 vcc_lo, 0x42b17218, v10
	v_cndmask_b32_e32 v12, 0x7f800000, v12, vcc_lo
	v_cmp_le_f32_e32 vcc_lo, 0xc1a00000, v9
	v_cndmask_b32_e32 v9, 0, v11, vcc_lo
	v_cmp_le_f32_e32 vcc_lo, 0xc1a00000, v10
	v_cndmask_b32_e32 v10, 0, v12, vcc_lo
	s_waitcnt vmcnt(0)
	v_mul_f32_e32 v8, v8, v9
	v_mul_f32_e32 v9, s7, v9
	v_fmac_f32_e32 v8, v3, v10
	v_fmac_f32_e32 v9, v5, v10
	s_cbranch_execz .LBB8_19
.LBB8_17:                               ;   in Loop: Header=BB8_9 Depth=1
	s_andn2_b32 vcc_lo, exec_lo, s5
	s_cbranch_vccnz .LBB8_20
	s_branch .LBB8_23
.LBB8_18:                               ;   in Loop: Header=BB8_9 Depth=1
	s_andn2_b32 vcc_lo, exec_lo, s6
	s_cbranch_vccnz .LBB8_17
.LBB8_19:                               ;   in Loop: Header=BB8_9 Depth=1
	v_mov_b32_e32 v9, v5
	v_mov_b32_e32 v7, v6
	s_waitcnt vmcnt(0)
	v_mov_b32_e32 v8, v3
	s_add_i32 s1, s8, -1
	s_mov_b32 s16, s10
	s_cbranch_execz .LBB8_23
.LBB8_20:                               ;   in Loop: Header=BB8_9 Depth=1
	v_mov_b32_e32 v5, v9
	v_mov_b32_e32 v6, v7
	s_waitcnt vmcnt(0)
	v_mov_b32_e32 v3, v8
	s_mov_b32 s10, s16
	s_mov_b32 s8, s1
	s_branch .LBB8_9
.LBB8_21:
                                        ; implicit-def: $sgpr10_sgpr11
	s_load_dwordx4 s[12:15], s[4:5], 0x44
	s_branch .LBB8_2
.LBB8_22:
                                        ; implicit-def: $sgpr18_sgpr19
	s_branch .LBB8_5
.LBB8_23:
	v_div_scale_f32 v0, null, v9, v9, v8
	s_waitcnt vmcnt(0)
	v_rcp_f32_e32 v3, v0
	v_fma_f32 v4, -v0, v3, 1.0
	v_fmac_f32_e32 v3, v4, v3
	v_div_scale_f32 v4, vcc_lo, v8, v9, v8
	v_mul_f32_e32 v5, v4, v3
	v_fma_f32 v6, -v0, v5, v4
	v_fmac_f32_e32 v5, v6, v3
	v_fma_f32 v0, -v0, v5, v4
	v_div_fmas_f32 v0, v0, v3, v5
	v_div_fixup_f32 v0, v0, v9, v8
	global_store_dword v[1:2], v0, off
.LBB8_24:
	s_endpgm
	.section	.rodata,"a",@progbits
	.p2align	6, 0x0
	.amdhsa_kernel _ZL33flash_attn_stream_k_fixup_generalILi128ELi4ELi8EEvPfPK15HIP_vector_typeIfLj2EEiiiiS1_IjLj3EES5_S5_S5_
		.amdhsa_group_segment_fixed_size 0
		.amdhsa_private_segment_fixed_size 0
		.amdhsa_kernarg_size 336
		.amdhsa_user_sgpr_count 6
		.amdhsa_user_sgpr_private_segment_buffer 1
		.amdhsa_user_sgpr_dispatch_ptr 0
		.amdhsa_user_sgpr_queue_ptr 0
		.amdhsa_user_sgpr_kernarg_segment_ptr 1
		.amdhsa_user_sgpr_dispatch_id 0
		.amdhsa_user_sgpr_flat_scratch_init 0
		.amdhsa_user_sgpr_private_segment_size 0
		.amdhsa_wavefront_size32 1
		.amdhsa_uses_dynamic_stack 0
		.amdhsa_system_sgpr_private_segment_wavefront_offset 0
		.amdhsa_system_sgpr_workgroup_id_x 1
		.amdhsa_system_sgpr_workgroup_id_y 1
		.amdhsa_system_sgpr_workgroup_id_z 1
		.amdhsa_system_sgpr_workgroup_info 0
		.amdhsa_system_vgpr_workitem_id 0
		.amdhsa_next_free_vgpr 17
		.amdhsa_next_free_sgpr 31
		.amdhsa_reserve_vcc 1
		.amdhsa_reserve_flat_scratch 0
		.amdhsa_float_round_mode_32 0
		.amdhsa_float_round_mode_16_64 0
		.amdhsa_float_denorm_mode_32 3
		.amdhsa_float_denorm_mode_16_64 3
		.amdhsa_dx10_clamp 1
		.amdhsa_ieee_mode 1
		.amdhsa_fp16_overflow 0
		.amdhsa_workgroup_processor_mode 1
		.amdhsa_memory_ordered 1
		.amdhsa_forward_progress 1
		.amdhsa_shared_vgpr_count 0
		.amdhsa_exception_fp_ieee_invalid_op 0
		.amdhsa_exception_fp_denorm_src 0
		.amdhsa_exception_fp_ieee_div_zero 0
		.amdhsa_exception_fp_ieee_overflow 0
		.amdhsa_exception_fp_ieee_underflow 0
		.amdhsa_exception_fp_ieee_inexact 0
		.amdhsa_exception_int_div_zero 0
	.end_amdhsa_kernel
	.section	.text._ZL33flash_attn_stream_k_fixup_generalILi128ELi4ELi8EEvPfPK15HIP_vector_typeIfLj2EEiiiiS1_IjLj3EES5_S5_S5_,"axG",@progbits,_ZL33flash_attn_stream_k_fixup_generalILi128ELi4ELi8EEvPfPK15HIP_vector_typeIfLj2EEiiiiS1_IjLj3EES5_S5_S5_,comdat
.Lfunc_end8:
	.size	_ZL33flash_attn_stream_k_fixup_generalILi128ELi4ELi8EEvPfPK15HIP_vector_typeIfLj2EEiiiiS1_IjLj3EES5_S5_S5_, .Lfunc_end8-_ZL33flash_attn_stream_k_fixup_generalILi128ELi4ELi8EEvPfPK15HIP_vector_typeIfLj2EEiiiiS1_IjLj3EES5_S5_S5_
                                        ; -- End function
	.set _ZL33flash_attn_stream_k_fixup_generalILi128ELi4ELi8EEvPfPK15HIP_vector_typeIfLj2EEiiiiS1_IjLj3EES5_S5_S5_.num_vgpr, 17
	.set _ZL33flash_attn_stream_k_fixup_generalILi128ELi4ELi8EEvPfPK15HIP_vector_typeIfLj2EEiiiiS1_IjLj3EES5_S5_S5_.num_agpr, 0
	.set _ZL33flash_attn_stream_k_fixup_generalILi128ELi4ELi8EEvPfPK15HIP_vector_typeIfLj2EEiiiiS1_IjLj3EES5_S5_S5_.numbered_sgpr, 31
	.set _ZL33flash_attn_stream_k_fixup_generalILi128ELi4ELi8EEvPfPK15HIP_vector_typeIfLj2EEiiiiS1_IjLj3EES5_S5_S5_.num_named_barrier, 0
	.set _ZL33flash_attn_stream_k_fixup_generalILi128ELi4ELi8EEvPfPK15HIP_vector_typeIfLj2EEiiiiS1_IjLj3EES5_S5_S5_.private_seg_size, 0
	.set _ZL33flash_attn_stream_k_fixup_generalILi128ELi4ELi8EEvPfPK15HIP_vector_typeIfLj2EEiiiiS1_IjLj3EES5_S5_S5_.uses_vcc, 1
	.set _ZL33flash_attn_stream_k_fixup_generalILi128ELi4ELi8EEvPfPK15HIP_vector_typeIfLj2EEiiiiS1_IjLj3EES5_S5_S5_.uses_flat_scratch, 0
	.set _ZL33flash_attn_stream_k_fixup_generalILi128ELi4ELi8EEvPfPK15HIP_vector_typeIfLj2EEiiiiS1_IjLj3EES5_S5_S5_.has_dyn_sized_stack, 0
	.set _ZL33flash_attn_stream_k_fixup_generalILi128ELi4ELi8EEvPfPK15HIP_vector_typeIfLj2EEiiiiS1_IjLj3EES5_S5_S5_.has_recursion, 0
	.set _ZL33flash_attn_stream_k_fixup_generalILi128ELi4ELi8EEvPfPK15HIP_vector_typeIfLj2EEiiiiS1_IjLj3EES5_S5_S5_.has_indirect_call, 0
	.section	.AMDGPU.csdata,"",@progbits
; Kernel info:
; codeLenInByte = 2944
; TotalNumSgprs: 33
; NumVgprs: 17
; ScratchSize: 0
; MemoryBound: 0
; FloatMode: 240
; IeeeMode: 1
; LDSByteSize: 0 bytes/workgroup (compile time only)
; SGPRBlocks: 0
; VGPRBlocks: 2
; NumSGPRsForWavesPerEU: 33
; NumVGPRsForWavesPerEU: 17
; Occupancy: 16
; WaveLimiterHint : 0
; COMPUTE_PGM_RSRC2:SCRATCH_EN: 0
; COMPUTE_PGM_RSRC2:USER_SGPR: 6
; COMPUTE_PGM_RSRC2:TRAP_HANDLER: 0
; COMPUTE_PGM_RSRC2:TGID_X_EN: 1
; COMPUTE_PGM_RSRC2:TGID_Y_EN: 1
; COMPUTE_PGM_RSRC2:TGID_Z_EN: 1
; COMPUTE_PGM_RSRC2:TIDIG_COMP_CNT: 0
	.section	.text._ZL15flash_attn_tileILi128ELi128ELi2ELi8ELb0EEvPKcS1_S1_S1_S1_PKiPfP15HIP_vector_typeIfLj2EEffffjfiS5_IjLj3EEiiiiiiiiiiiliiliiiiil,"axG",@progbits,_ZL15flash_attn_tileILi128ELi128ELi2ELi8ELb0EEvPKcS1_S1_S1_S1_PKiPfP15HIP_vector_typeIfLj2EEffffjfiS5_IjLj3EEiiiiiiiiiiiliiliiiiil,comdat
	.globl	_ZL15flash_attn_tileILi128ELi128ELi2ELi8ELb0EEvPKcS1_S1_S1_S1_PKiPfP15HIP_vector_typeIfLj2EEffffjfiS5_IjLj3EEiiiiiiiiiiiliiliiiiil ; -- Begin function _ZL15flash_attn_tileILi128ELi128ELi2ELi8ELb0EEvPKcS1_S1_S1_S1_PKiPfP15HIP_vector_typeIfLj2EEffffjfiS5_IjLj3EEiiiiiiiiiiiliiliiiiil
	.p2align	8
	.type	_ZL15flash_attn_tileILi128ELi128ELi2ELi8ELb0EEvPKcS1_S1_S1_S1_PKiPfP15HIP_vector_typeIfLj2EEffffjfiS5_IjLj3EEiiiiiiiiiiiliiliiiiil,@function
_ZL15flash_attn_tileILi128ELi128ELi2ELi8ELb0EEvPKcS1_S1_S1_S1_PKiPfP15HIP_vector_typeIfLj2EEffffjfiS5_IjLj3EEiiiiiiiiiiiliiliiiiil: ; @_ZL15flash_attn_tileILi128ELi128ELi2ELi8ELb0EEvPKcS1_S1_S1_S1_PKiPfP15HIP_vector_typeIfLj2EEffffjfiS5_IjLj3EEiiiiiiiiiiiliiliiiiil
; %bb.0:
	s_clause 0x1
	s_load_dwordx4 s[36:39], s[4:5], 0x5c
	s_load_dwordx2 s[40:41], s[4:5], 0x80
	s_mov_b32 s34, s7
	s_mov_b64 s[42:43], 0
	s_waitcnt lgkmcnt(0)
	s_ashr_i32 s0, s39, 31
	s_lshr_b32 s0, s0, 29
	s_add_i32 s0, s39, s0
	s_ashr_i32 s0, s0, 3
	v_cvt_f32_u32_e32 v2, s0
	s_sub_i32 s2, 0, s0
	v_rcp_iflag_f32_e32 v2, v2
	v_mul_f32_e32 v2, 0x4f7ffffe, v2
	v_cvt_u32_f32_e32 v2, v2
	v_readfirstlane_b32 s1, v2
	s_mul_i32 s2, s2, s1
	s_mul_hi_u32 s2, s1, s2
	s_add_i32 s1, s1, s2
	s_mul_hi_u32 s1, s8, s1
	s_mul_i32 s2, s1, s0
	s_add_i32 s3, s1, 1
	s_sub_i32 s2, s8, s2
	s_sub_i32 s7, s2, s0
	s_cmp_ge_u32 s2, s0
	s_cselect_b32 s1, s3, s1
	s_cselect_b32 s2, s7, s2
	s_add_i32 s3, s1, 1
	s_cmp_ge_u32 s2, s0
	s_cselect_b32 s33, s3, s1
	s_abs_i32 s0, s41
	s_lshl_b32 s3, s8, 3
	v_cvt_f32_u32_e32 v2, s0
	s_sub_i32 s2, 0, s0
	s_abs_i32 s8, s39
	s_mul_i32 s7, s33, s39
	v_rcp_iflag_f32_e32 v2, v2
	s_sub_i32 s35, s3, s7
	v_mul_f32_e32 v2, 0x4f7ffffe, v2
	v_cvt_u32_f32_e32 v2, v2
	v_readfirstlane_b32 s1, v2
	s_mul_i32 s2, s2, s1
	s_mul_hi_u32 s2, s1, s2
	s_add_i32 s1, s1, s2
	s_xor_b32 s2, s39, s41
	s_mul_hi_u32 s1, s8, s1
	s_ashr_i32 s2, s2, 31
	s_mul_i32 s3, s1, s0
	s_add_i32 s7, s1, 1
	s_sub_i32 s3, s8, s3
	s_sub_i32 s8, s3, s0
	s_cmp_ge_u32 s3, s0
	s_cselect_b32 s1, s7, s1
	s_cselect_b32 s3, s8, s3
	s_add_i32 s7, s1, 1
	s_cmp_ge_u32 s3, s0
	s_clause 0x1
	s_load_dwordx16 s[16:31], s[4:5], 0x0
	s_load_dwordx2 s[8:9], s[4:5], 0xb8
	s_cselect_b32 s0, s7, s1
	s_xor_b32 s0, s0, s2
	s_sub_i32 s10, s0, s2
	s_abs_i32 s7, s10
	v_cvt_f32_u32_e32 v2, s7
	v_rcp_iflag_f32_e32 v2, v2
	s_waitcnt lgkmcnt(0)
	s_cmp_eq_u64 s[22:23], 0
	v_mul_f32_e32 v2, 0x4f7ffffe, v2
	v_cvt_u32_f32_e32 v2, v2
	v_readfirstlane_b32 s11, v2
	s_cbranch_scc1 .LBB9_2
; %bb.1:
	s_abs_i32 s2, s8
	s_abs_i32 s3, s33
	v_cvt_f32_u32_e32 v2, s2
	s_sub_i32 s1, 0, s2
	v_rcp_iflag_f32_e32 v2, v2
	v_mul_f32_e32 v2, 0x4f7ffffe, v2
	v_cvt_u32_f32_e32 v2, v2
	v_readfirstlane_b32 s0, v2
	s_mul_i32 s1, s1, s0
	s_mul_hi_u32 s1, s0, s1
	s_add_i32 s0, s0, s1
	s_mul_hi_u32 s8, s3, s0
	s_load_dwordx2 s[0:1], s[4:5], 0xc8
	s_mul_i32 s8, s8, s2
	s_sub_i32 s3, s3, s8
	s_ashr_i32 s8, s33, 31
	s_sub_i32 s12, s3, s2
	s_cmp_ge_u32 s3, s2
	s_cselect_b32 s3, s12, s3
	s_sub_i32 s12, s3, s2
	s_cmp_ge_u32 s3, s2
	s_cselect_b32 s2, s12, s3
	s_xor_b32 s2, s2, s8
	s_sub_i32 s2, s2, s8
	s_ashr_i32 s3, s2, 31
	s_waitcnt lgkmcnt(0)
	s_mul_hi_u32 s8, s0, s2
	s_mul_i32 s3, s0, s3
	s_mul_i32 s1, s1, s2
	s_add_i32 s3, s8, s3
	s_mul_i32 s0, s0, s2
	s_add_i32 s3, s3, s1
	s_add_u32 s42, s22, s0
	s_addc_u32 s43, s23, s3
.LBB9_2:
	v_lshrrev_b32_e32 v2, 2, v1
	s_load_dwordx4 s[0:3], s[4:5], 0x70
	v_lshlrev_b32_e32 v3, 1, v1
	v_lshlrev_b32_e32 v95, 3, v0
	;; [unrolled: 1-line block ×3, first 2 shown]
	v_lshl_add_u32 v57, s6, 1, v2
	v_and_b32_e32 v93, 6, v3
	v_or_b32_e32 v13, 1, v3
	v_mul_hi_u32 v2, s36, v57
	v_and_b32_e32 v14, 7, v13
	v_add_nc_u32_e32 v2, v57, v2
	s_waitcnt lgkmcnt(0)
	s_mul_i32 s3, s33, s2
	s_mul_i32 s8, s35, s1
	v_lshrrev_b32_e32 v2, s37, v2
	s_ashr_i32 s12, s3, 31
	s_add_u32 s3, s16, s3
	s_addc_u32 s12, s17, s12
	s_ashr_i32 s13, s8, 31
	v_mul_lo_u32 v2, v2, s38
	s_add_u32 s8, s3, s8
	s_mov_b32 s2, s1
	s_addc_u32 s14, s12, s13
	s_ashr_i32 s3, s1, 31
	s_ashr_i32 s1, s0, 31
	s_lshr_b64 s[12:13], s[0:1], 2
	v_sub_nc_u32_e32 v2, v57, v2
	s_lshr_b32 s0, s1, 2
	v_mad_u64_u32 v[4:5], null, s12, v2, 0
	s_lshr_b64 s[12:13], s[2:3], 2
	v_mad_u64_u32 v[6:7], null, s12, v93, 0
	v_mad_u64_u32 v[8:9], null, s12, v14, 0
	;; [unrolled: 1-line block ×3, first 2 shown]
	v_mov_b32_e32 v5, v7
	s_lshr_b32 s0, s3, 2
	v_mov_b32_e32 v7, v9
	s_cmp_eq_u64 s[26:27], 0
	v_mad_u64_u32 v[11:12], null, s0, v93, v[5:6]
	v_mov_b32_e32 v5, v10
	v_mad_u64_u32 v[9:10], null, s0, v14, v[7:8]
	v_lshlrev_b32_e32 v10, 4, v0
	s_load_dword s0, s[4:5], 0x40
	v_lshlrev_b64 v[4:5], 2, v[4:5]
	v_mov_b32_e32 v7, v11
	v_add_co_u32 v11, vcc_lo, s8, v4
	v_add_co_ci_u32_e64 v12, null, s14, v5, vcc_lo
	v_lshlrev_b64 v[4:5], 2, v[6:7]
	v_add_co_u32 v10, vcc_lo, v11, v10
	v_lshlrev_b64 v[6:7], 2, v[8:9]
	v_add_co_ci_u32_e64 v11, null, 0, v12, vcc_lo
	v_add_co_u32 v4, vcc_lo, v10, v4
	v_or_b32_e32 v12, 0x9800, v95
	v_add_co_ci_u32_e64 v5, null, v11, v5, vcc_lo
	v_add_co_u32 v8, vcc_lo, v10, v6
	v_add_co_ci_u32_e64 v9, null, v11, v7, vcc_lo
	s_clause 0x1
	global_load_dwordx4 v[4:7], v[4:5], off
	global_load_dwordx4 v[8:11], v[8:9], off
	v_add_nc_u32_e32 v14, v12, v1
	s_waitcnt vmcnt(1) lgkmcnt(0)
	v_fma_mixlo_f16 v4, s0, v4, 0
	v_fma_mixlo_f16 v5, s0, v5, 0
	s_waitcnt vmcnt(0)
	v_fma_mixlo_f16 v8, s0, v8, 0
	v_fma_mixlo_f16 v9, s0, v9, 0
	;; [unrolled: 1-line block ×4, first 2 shown]
	v_lshlrev_b32_e32 v5, 16, v5
	v_and_b32_e32 v4, 0xffff, v4
	v_fma_mixlo_f16 v10, s0, v10, 0
	v_fma_mixlo_f16 v11, s0, v11, 0
	v_lshlrev_b32_e32 v9, 16, v9
	v_and_b32_e32 v8, 0xffff, v8
	v_lshlrev_b32_e32 v7, 16, v7
	v_and_b32_e32 v6, 0xffff, v6
	v_or_b32_e32 v4, v5, v4
	v_lshlrev_b32_e32 v11, 16, v11
	v_and_b32_e32 v10, 0xffff, v10
	v_or_b32_e32 v8, v9, v8
	v_or3_b32 v5, v7, v6, 0
	v_or3_b32 v4, 0, 0, v4
	v_lshl_add_u32 v9, v13, 8, v12
	v_or3_b32 v7, v11, v10, 0
	v_or3_b32 v6, 0, 0, v8
	ds_write_b64 v14, v[4:5]
	ds_write_b64 v9, v[6:7]
	s_waitcnt lgkmcnt(0)
	s_barrier
	buffer_gl0_inv
	s_cbranch_scc1 .LBB9_4
; %bb.3:
	s_load_dword s0, s[4:5], 0xd0
	s_mov_b32 s1, 0
	s_waitcnt lgkmcnt(0)
	s_mul_i32 s0, s0, s33
	s_add_i32 s0, s0, s6
	s_lshl_b64 s[0:1], s[0:1], 2
	s_add_u32 s0, s26, s0
	s_addc_u32 s1, s27, s1
	s_load_dword s40, s[0:1], 0x0
.LBB9_4:
	v_mbcnt_lo_u32_b32 v96, -1, 0
	s_lshl_b32 s26, s34, 7
	s_waitcnt lgkmcnt(0)
	s_cmp_lt_i32 s26, s40
	s_cbranch_scc1 .LBB9_7
; %bb.5:
	v_mbcnt_lo_u32_b32 v4, -1, 0
	v_mov_b32_e32 v97, 32
	v_xor_b32_e32 v105, 16, v4
	v_xor_b32_e32 v101, 8, v4
	;; [unrolled: 1-line block ×5, first 2 shown]
	v_lshlrev_b32_e32 v94, 2, v0
	s_cbranch_execz .LBB9_8
; %bb.6:
	v_mov_b32_e32 v23, 0
	v_mov_b32_e32 v19, 0
	;; [unrolled: 1-line block ×8, first 2 shown]
	s_branch .LBB9_11
.LBB9_7:
                                        ; implicit-def: $vgpr4
                                        ; implicit-def: $vgpr97
                                        ; implicit-def: $vgpr105
                                        ; implicit-def: $vgpr101
                                        ; implicit-def: $vgpr100
                                        ; implicit-def: $vgpr99
                                        ; implicit-def: $vgpr98
	v_lshlrev_b32_e32 v94, 2, v0
.LBB9_8:
	s_clause 0x1
	s_load_dwordx4 s[0:3], s[4:5], 0x98
	s_load_dwordx2 s[12:13], s[4:5], 0x8c
	s_sub_i32 s6, 0, s7
	s_abs_i32 s8, s35
	s_mul_i32 s6, s6, s11
	s_ashr_i32 s16, s35, 31
	s_mul_hi_u32 s6, s11, s6
	s_ashr_i32 s10, s10, 31
	s_add_i32 s11, s11, s6
	s_ashr_i32 s6, s9, 1
	s_mul_hi_u32 s9, s8, s11
	s_ashr_i32 s11, s33, 31
	s_load_dwordx2 s[14:15], s[4:5], 0xa8
	s_mul_i32 s17, s9, s7
	v_lshrrev_b32_e32 v4, 4, v0
	v_add_nc_u32_e32 v102, 0x9800, v1
	v_mad_u64_u32 v[58:59], null, v2, s6, v[0:1]
	v_add_nc_u32_e32 v114, 0x8800, v1
	v_add_nc_u32_e32 v4, v4, v3
	s_waitcnt lgkmcnt(0)
	s_ashr_i32 s27, s2, 2
	s_ashr_i32 s36, s12, 2
	s_mul_hi_u32 s2, s0, s33
	s_mul_i32 s12, s0, s11
	s_mul_i32 s1, s1, s33
	s_add_i32 s2, s2, s12
	s_mul_i32 s0, s0, s33
	s_add_i32 s2, s2, s1
	s_add_u32 s0, s18, s0
	s_addc_u32 s1, s19, s2
	s_sub_i32 s8, s8, s17
	s_xor_b32 s2, s16, s10
	s_add_i32 s10, s9, 1
	s_sub_i32 s12, s8, s7
	s_cmp_ge_u32 s8, s7
	v_mul_lo_u32 v3, s36, v4
	s_cselect_b32 s9, s10, s9
	s_cselect_b32 s8, s12, s8
	s_add_i32 s10, s9, 1
	s_cmp_ge_u32 s8, s7
	s_mul_hi_u32 s8, s14, s33
	s_cselect_b32 s7, s10, s9
	s_mul_i32 s9, s14, s11
	s_xor_b32 s7, s7, s2
	v_mul_lo_u32 v11, s27, v4
	s_sub_i32 s2, s7, s2
	s_mul_i32 s7, s15, s33
	s_mul_i32 s10, s2, s13
	;; [unrolled: 1-line block ×3, first 2 shown]
	s_ashr_i32 s12, s10, 31
	s_add_u32 s37, s0, s10
	s_addc_u32 s41, s1, s12
	s_add_i32 s0, s8, s9
	s_mul_i32 s2, s2, s3
	s_add_i32 s0, s0, s7
	s_add_u32 s1, s20, s11
	s_addc_u32 s0, s21, s0
	s_ashr_i32 s3, s2, 31
	s_add_u32 s21, s1, s2
	s_addc_u32 s44, s0, s3
	s_lshl_b32 s0, s36, 4
	s_lshl_b32 s1, s27, 4
	v_add_nc_u32_e32 v5, s0, v3
	v_add_nc_u32_e32 v15, s1, v11
	v_and_b32_e32 v19, 60, v94
	v_ashrrev_i32_e32 v12, 31, v11
	v_mov_b32_e32 v20, 0
	v_add_nc_u32_e32 v7, s0, v5
	v_add_nc_u32_e32 v21, s1, v15
	v_lshlrev_b32_e32 v6, 2, v19
	v_ashrrev_i32_e32 v16, 31, v15
	v_lshlrev_b64 v[75:76], 2, v[11:12]
	v_add_nc_u32_e32 v9, s0, v7
	v_add_nc_u32_e32 v25, s1, v21
	v_mad_u32_u24 v103, 0x110, v4, v6
	v_lshl_or_b32 v106, v4, 8, v6
	v_ashrrev_i32_e32 v4, 31, v3
	v_add_nc_u32_e32 v13, s0, v9
	v_add_nc_u32_e32 v29, s1, v25
	v_ashrrev_i32_e32 v6, 31, v5
	v_ashrrev_i32_e32 v8, 31, v7
	v_ashrrev_i32_e32 v10, 31, v9
	v_add_nc_u32_e32 v17, s0, v13
	v_add_nc_u32_e32 v1, s1, v29
	v_ashrrev_i32_e32 v14, 31, v13
	v_ashrrev_i32_e32 v22, 31, v21
	;; [unrolled: 5-line block ×4, first 2 shown]
	v_lshlrev_b64 v[59:60], 2, v[3:4]
	v_ashrrev_i32_e32 v28, 31, v27
	v_ashrrev_i32_e32 v34, 31, v33
	v_lshlrev_b64 v[61:62], 2, v[5:6]
	v_lshlrev_b64 v[63:64], 2, v[7:8]
	;; [unrolled: 1-line block ×14, first 2 shown]
	v_mul_u32_u24_e32 v104, 0x110, v0
	v_add_nc_u32_e32 v107, 0x1100, v103
	v_add_nc_u32_e32 v108, 0x2200, v103
	;; [unrolled: 1-line block ×14, first 2 shown]
	v_mov_b32_e32 v91, 0xfeffffff
	v_lshlrev_b32_e32 v122, 2, v19
	v_mov_b32_e32 v97, 32
	v_xor_b32_e32 v105, 16, v96
	v_xor_b32_e32 v101, 8, v96
	v_xor_b32_e32 v100, 4, v96
	v_xor_b32_e32 v99, 2, v96
	v_xor_b32_e32 v98, 1, v96
	v_add_nc_u32_e32 v123, v114, v94
	v_mov_b32_e32 v124, 0x10001
	v_add_nc_u32_e32 v125, 0x800, v95
	v_add_nc_u32_e32 v126, 0x1000, v95
	;; [unrolled: 1-line block ×15, first 2 shown]
	v_mov_b32_e32 v21, 0
	v_mov_b32_e32 v22, 0
	;; [unrolled: 1-line block ×6, first 2 shown]
	s_add_u32 s22, s4, 0xd0
	s_addc_u32 s23, s5, 0
.LBB9_9:                                ; =>This Inner Loop Header: Depth=1
	s_mul_hi_i32 s7, s26, s36
	s_mul_i32 s6, s26, s36
	v_add_nc_u32_e32 v1, s26, v58
	v_cmp_gt_i32_e32 vcc_lo, 32, v105
	s_lshl_b64 s[6:7], s[6:7], 2
	v_cmp_gt_i32_e64 s0, 32, v101
	v_cmp_gt_i32_e64 s2, 32, v99
	s_mul_hi_i32 s9, s26, s27
	s_mul_i32 s8, s26, s27
	v_cmp_gt_i32_e64 s1, 32, v100
	v_cmp_gt_i32_e64 s3, 32, v98
	s_add_u32 s12, s37, s6
	s_addc_u32 s13, s41, s7
	s_lshl_b64 s[10:11], s[8:9], 2
	v_add_co_u32 v15, s8, s12, v59
	v_cndmask_b32_e32 v3, v96, v105, vcc_lo
	v_ashrrev_i32_e32 v2, 31, v1
	v_add_co_u32 v8, vcc_lo, s12, v61
	s_add_u32 s9, s21, s10
	v_cndmask_b32_e64 v4, v96, v101, s0
	v_cndmask_b32_e64 v6, v96, v99, s2
	v_add_co_u32 v9, s0, s12, v63
	v_add_co_ci_u32_e64 v16, null, s13, v60, s8
	v_cndmask_b32_e64 v5, v96, v100, s1
	v_cndmask_b32_e64 v7, v96, v98, s3
	v_add_co_u32 v10, s1, s12, v65
	v_add_co_u32 v11, s2, s12, v67
	;; [unrolled: 1-line block ×5, first 2 shown]
	v_add_co_ci_u32_e64 v41, null, s13, v62, vcc_lo
	s_addc_u32 s10, s44, s11
	v_add_co_u32 v147, s8, s9, v89
	v_add_co_ci_u32_e64 v42, null, s13, v64, s0
	v_add_co_u32 v54, vcc_lo, s9, v75
	v_add_co_ci_u32_e64 v45, null, s13, v66, s1
	v_add_co_ci_u32_e64 v46, null, s13, v68, s2
	;; [unrolled: 1-line block ×5, first 2 shown]
	v_add_co_u32 v141, s0, s9, v77
	v_add_co_u32 v142, s1, s9, v79
	;; [unrolled: 1-line block ×6, first 2 shown]
	v_add_co_ci_u32_e64 v156, null, s10, v90, s8
	v_add_co_u32 v39, s8, v15, v122
	v_lshlrev_b64 v[17:18], 1, v[1:2]
	v_add_co_ci_u32_e64 v2, null, s10, v76, vcc_lo
	v_add_co_u32 v43, vcc_lo, v8, v122
	v_lshlrev_b32_e32 v37, 2, v4
	v_lshlrev_b32_e32 v35, 2, v6
	v_add_co_ci_u32_e64 v4, null, s10, v78, s0
	v_add_co_ci_u32_e64 v6, null, s10, v80, s1
	;; [unrolled: 1-line block ×6, first 2 shown]
	v_add_co_u32 v47, s0, v9, v122
	v_add_co_ci_u32_e64 v40, null, 0, v16, s8
	v_mov_b32_e32 v25, v91
	v_add_co_u32 v51, s1, v10, v122
	v_add_co_u32 v55, s2, v11, v122
	;; [unrolled: 1-line block ×5, first 2 shown]
	v_add_co_ci_u32_e64 v44, null, 0, v41, vcc_lo
	v_add_co_ci_u32_e64 v48, null, 0, v42, s0
	v_mov_b32_e32 v24, v92
	v_lshlrev_b32_e32 v38, 2, v3
	v_lshlrev_b32_e32 v36, 2, v5
	v_lshlrev_b32_e32 v34, 2, v7
	v_add_co_ci_u32_e64 v52, null, 0, v45, s1
	v_add_co_ci_u32_e64 v56, null, 0, v46, s2
	;; [unrolled: 1-line block ×5, first 2 shown]
	v_add_co_u32 v13, vcc_lo, v141, v122
	v_add_co_u32 v11, s0, v142, v122
	v_add_co_u32 v9, s1, v143, v122
	;; [unrolled: 1-line block ×7, first 2 shown]
	v_add_co_ci_u32_e64 v16, null, 0, v2, s8
	v_add_co_ci_u32_e64 v14, null, 0, v4, vcc_lo
	v_add_co_ci_u32_e64 v12, null, 0, v6, s0
	v_add_co_ci_u32_e64 v10, null, 0, v148, s1
	;; [unrolled: 1-line block ×6, first 2 shown]
	s_clause 0x7
	global_load_dwordx4 v[39:42], v[39:40], off
	global_load_dwordx4 v[43:46], v[43:44], off
	;; [unrolled: 1-line block ×8, first 2 shown]
	v_mov_b32_e32 v26, 0
	v_mov_b32_e32 v27, 0
	;; [unrolled: 1-line block ×8, first 2 shown]
	v_add_co_u32 v17, vcc_lo, s42, v17
	v_add_co_ci_u32_e64 v18, null, s43, v18, vcc_lo
	s_waitcnt vmcnt(7)
	ds_write_b128 v103, v[39:42]
	s_waitcnt vmcnt(6)
	ds_write_b128 v107, v[43:46]
	;; [unrolled: 2-line block ×8, first 2 shown]
	s_waitcnt lgkmcnt(0)
	s_barrier
	buffer_gl0_inv
	ds_read_b128 v[39:42], v104
	ds_read_b128 v[43:46], v102
	ds_read_b128 v[47:50], v102 offset:256
	ds_read_b128 v[51:54], v104 offset:8704
	;; [unrolled: 1-line block ×4, first 2 shown]
	s_waitcnt lgkmcnt(4)
	;;#ASMSTART
	v_dot2_f32_f16 v26, v39, v43, v26
	;;#ASMEND
	;;#ASMSTART
	v_dot2_f32_f16 v26, v40, v44, v26
	;;#ASMEND
	;;#ASMSTART
	v_dot2_f32_f16 v26, v41, v45, v26
	;;#ASMEND
	;;#ASMSTART
	v_dot2_f32_f16 v26, v42, v46, v26
	;;#ASMEND
	s_waitcnt lgkmcnt(3)
	;;#ASMSTART
	v_dot2_f32_f16 v27, v39, v47, v27
	;;#ASMEND
	;;#ASMSTART
	v_dot2_f32_f16 v27, v40, v48, v27
	;;#ASMEND
	;;#ASMSTART
	v_dot2_f32_f16 v27, v41, v49, v27
	;;#ASMEND
	;;#ASMSTART
	v_dot2_f32_f16 v27, v42, v50, v27
	;;#ASMEND
	s_waitcnt lgkmcnt(2)
	;;#ASMSTART
	v_dot2_f32_f16 v28, v51, v43, v28
	;;#ASMEND
	;;#ASMSTART
	v_dot2_f32_f16 v28, v52, v44, v28
	;;#ASMEND
	;;#ASMSTART
	v_dot2_f32_f16 v28, v53, v45, v28
	;;#ASMEND
	;;#ASMSTART
	v_dot2_f32_f16 v28, v54, v46, v28
	;;#ASMEND
	;;#ASMSTART
	v_dot2_f32_f16 v29, v51, v47, v29
	;;#ASMEND
	;;#ASMSTART
	v_dot2_f32_f16 v29, v52, v48, v29
	;;#ASMEND
	;; [unrolled: 3-line block ×4, first 2 shown]
	s_waitcnt lgkmcnt(1)
	;;#ASMSTART
	v_dot2_f32_f16 v30, v141, v43, v30
	;;#ASMEND
	;;#ASMSTART
	v_dot2_f32_f16 v30, v142, v44, v30
	;;#ASMEND
	;; [unrolled: 3-line block ×8, first 2 shown]
	s_waitcnt lgkmcnt(0)
	;;#ASMSTART
	v_dot2_f32_f16 v32, v145, v43, v32
	;;#ASMEND
	;;#ASMSTART
	v_dot2_f32_f16 v32, v146, v44, v32
	;;#ASMEND
	;; [unrolled: 3-line block ×8, first 2 shown]
	ds_read_b128 v[39:42], v104 offset:16
	ds_read_b128 v[43:46], v102 offset:16
	ds_read_b128 v[47:50], v102 offset:272
	ds_read_b128 v[51:54], v104 offset:8720
	ds_read_b128 v[141:144], v104 offset:17424
	ds_read_b128 v[145:148], v104 offset:26128
	s_waitcnt lgkmcnt(4)
	;;#ASMSTART
	v_dot2_f32_f16 v26, v39, v43, v26
	;;#ASMEND
	;;#ASMSTART
	v_dot2_f32_f16 v26, v40, v44, v26
	;;#ASMEND
	;;#ASMSTART
	v_dot2_f32_f16 v26, v41, v45, v26
	;;#ASMEND
	;;#ASMSTART
	v_dot2_f32_f16 v26, v42, v46, v26
	;;#ASMEND
	s_waitcnt lgkmcnt(3)
	;;#ASMSTART
	v_dot2_f32_f16 v27, v39, v47, v27
	;;#ASMEND
	;;#ASMSTART
	v_dot2_f32_f16 v27, v40, v48, v27
	;;#ASMEND
	;;#ASMSTART
	v_dot2_f32_f16 v27, v41, v49, v27
	;;#ASMEND
	;;#ASMSTART
	v_dot2_f32_f16 v27, v42, v50, v27
	;;#ASMEND
	;; [unrolled: 13-line block ×3, first 2 shown]
	;;#ASMSTART
	v_dot2_f32_f16 v29, v51, v47, v29
	;;#ASMEND
	;;#ASMSTART
	v_dot2_f32_f16 v29, v52, v48, v29
	;;#ASMEND
	;; [unrolled: 3-line block ×4, first 2 shown]
	s_waitcnt lgkmcnt(1)
	;;#ASMSTART
	v_dot2_f32_f16 v30, v141, v43, v30
	;;#ASMEND
	;;#ASMSTART
	v_dot2_f32_f16 v30, v142, v44, v30
	;;#ASMEND
	;; [unrolled: 3-line block ×8, first 2 shown]
	s_waitcnt lgkmcnt(0)
	;;#ASMSTART
	v_dot2_f32_f16 v32, v145, v43, v32
	;;#ASMEND
	;;#ASMSTART
	v_dot2_f32_f16 v32, v146, v44, v32
	;;#ASMEND
	;; [unrolled: 3-line block ×8, first 2 shown]
	ds_read_b128 v[39:42], v104 offset:32
	ds_read_b128 v[43:46], v102 offset:32
	ds_read_b128 v[47:50], v102 offset:288
	ds_read_b128 v[51:54], v104 offset:8736
	ds_read_b128 v[141:144], v104 offset:17440
	ds_read_b128 v[145:148], v104 offset:26144
	s_waitcnt lgkmcnt(4)
	;;#ASMSTART
	v_dot2_f32_f16 v26, v39, v43, v26
	;;#ASMEND
	;;#ASMSTART
	v_dot2_f32_f16 v26, v40, v44, v26
	;;#ASMEND
	;;#ASMSTART
	v_dot2_f32_f16 v26, v41, v45, v26
	;;#ASMEND
	;;#ASMSTART
	v_dot2_f32_f16 v26, v42, v46, v26
	;;#ASMEND
	s_waitcnt lgkmcnt(3)
	;;#ASMSTART
	v_dot2_f32_f16 v27, v39, v47, v27
	;;#ASMEND
	;;#ASMSTART
	v_dot2_f32_f16 v27, v40, v48, v27
	;;#ASMEND
	;;#ASMSTART
	v_dot2_f32_f16 v27, v41, v49, v27
	;;#ASMEND
	;;#ASMSTART
	v_dot2_f32_f16 v27, v42, v50, v27
	;;#ASMEND
	;; [unrolled: 13-line block ×3, first 2 shown]
	;;#ASMSTART
	v_dot2_f32_f16 v29, v51, v47, v29
	;;#ASMEND
	;;#ASMSTART
	v_dot2_f32_f16 v29, v52, v48, v29
	;;#ASMEND
	;; [unrolled: 3-line block ×4, first 2 shown]
	s_waitcnt lgkmcnt(1)
	;;#ASMSTART
	v_dot2_f32_f16 v30, v141, v43, v30
	;;#ASMEND
	;;#ASMSTART
	v_dot2_f32_f16 v30, v142, v44, v30
	;;#ASMEND
	;; [unrolled: 3-line block ×8, first 2 shown]
	s_waitcnt lgkmcnt(0)
	;;#ASMSTART
	v_dot2_f32_f16 v32, v145, v43, v32
	;;#ASMEND
	;;#ASMSTART
	v_dot2_f32_f16 v32, v146, v44, v32
	;;#ASMEND
	;; [unrolled: 3-line block ×8, first 2 shown]
	ds_read_b128 v[39:42], v104 offset:48
	ds_read_b128 v[43:46], v102 offset:48
	ds_read_b128 v[47:50], v102 offset:304
	ds_read_b128 v[51:54], v104 offset:8752
	ds_read_b128 v[141:144], v104 offset:17456
	ds_read_b128 v[145:148], v104 offset:26160
	s_waitcnt lgkmcnt(4)
	;;#ASMSTART
	v_dot2_f32_f16 v26, v39, v43, v26
	;;#ASMEND
	;;#ASMSTART
	v_dot2_f32_f16 v26, v40, v44, v26
	;;#ASMEND
	;;#ASMSTART
	v_dot2_f32_f16 v26, v41, v45, v26
	;;#ASMEND
	;;#ASMSTART
	v_dot2_f32_f16 v26, v42, v46, v26
	;;#ASMEND
	s_waitcnt lgkmcnt(3)
	;;#ASMSTART
	v_dot2_f32_f16 v27, v39, v47, v27
	;;#ASMEND
	;;#ASMSTART
	v_dot2_f32_f16 v27, v40, v48, v27
	;;#ASMEND
	;;#ASMSTART
	v_dot2_f32_f16 v27, v41, v49, v27
	;;#ASMEND
	;;#ASMSTART
	v_dot2_f32_f16 v27, v42, v50, v27
	;;#ASMEND
	s_waitcnt lgkmcnt(2)
	;;#ASMSTART
	v_dot2_f32_f16 v28, v51, v43, v28
	;;#ASMEND
	;;#ASMSTART
	v_dot2_f32_f16 v28, v52, v44, v28
	;;#ASMEND
	;;#ASMSTART
	v_dot2_f32_f16 v28, v53, v45, v28
	;;#ASMEND
	;;#ASMSTART
	v_dot2_f32_f16 v28, v54, v46, v28
	;;#ASMEND
	;;#ASMSTART
	v_dot2_f32_f16 v29, v51, v47, v29
	;;#ASMEND
	;;#ASMSTART
	v_dot2_f32_f16 v29, v52, v48, v29
	;;#ASMEND
	;; [unrolled: 3-line block ×4, first 2 shown]
	s_waitcnt lgkmcnt(1)
	;;#ASMSTART
	v_dot2_f32_f16 v30, v141, v43, v30
	;;#ASMEND
	;;#ASMSTART
	v_dot2_f32_f16 v30, v142, v44, v30
	;;#ASMEND
	;; [unrolled: 3-line block ×8, first 2 shown]
	s_waitcnt lgkmcnt(0)
	;;#ASMSTART
	v_dot2_f32_f16 v32, v145, v43, v32
	;;#ASMEND
	;;#ASMSTART
	v_dot2_f32_f16 v32, v146, v44, v32
	;;#ASMEND
	;; [unrolled: 3-line block ×8, first 2 shown]
	ds_read_b128 v[39:42], v104 offset:64
	ds_read_b128 v[43:46], v102 offset:64
	ds_read_b128 v[47:50], v102 offset:320
	ds_read_b128 v[51:54], v104 offset:8768
	ds_read_b128 v[141:144], v104 offset:17472
	ds_read_b128 v[145:148], v104 offset:26176
	s_waitcnt lgkmcnt(4)
	;;#ASMSTART
	v_dot2_f32_f16 v26, v39, v43, v26
	;;#ASMEND
	;;#ASMSTART
	v_dot2_f32_f16 v26, v40, v44, v26
	;;#ASMEND
	;;#ASMSTART
	v_dot2_f32_f16 v26, v41, v45, v26
	;;#ASMEND
	;;#ASMSTART
	v_dot2_f32_f16 v26, v42, v46, v26
	;;#ASMEND
	s_waitcnt lgkmcnt(3)
	;;#ASMSTART
	v_dot2_f32_f16 v27, v39, v47, v27
	;;#ASMEND
	;;#ASMSTART
	v_dot2_f32_f16 v27, v40, v48, v27
	;;#ASMEND
	;;#ASMSTART
	v_dot2_f32_f16 v27, v41, v49, v27
	;;#ASMEND
	;;#ASMSTART
	v_dot2_f32_f16 v27, v42, v50, v27
	;;#ASMEND
	;; [unrolled: 13-line block ×3, first 2 shown]
	;;#ASMSTART
	v_dot2_f32_f16 v29, v51, v47, v29
	;;#ASMEND
	;;#ASMSTART
	v_dot2_f32_f16 v29, v52, v48, v29
	;;#ASMEND
	;;#ASMSTART
	v_dot2_f32_f16 v29, v53, v49, v29
	;;#ASMEND
	;;#ASMSTART
	v_dot2_f32_f16 v29, v54, v50, v29
	;;#ASMEND
	s_waitcnt lgkmcnt(1)
	;;#ASMSTART
	v_dot2_f32_f16 v30, v141, v43, v30
	;;#ASMEND
	;;#ASMSTART
	v_dot2_f32_f16 v30, v142, v44, v30
	;;#ASMEND
	;; [unrolled: 3-line block ×8, first 2 shown]
	s_waitcnt lgkmcnt(0)
	;;#ASMSTART
	v_dot2_f32_f16 v32, v145, v43, v32
	;;#ASMEND
	;;#ASMSTART
	v_dot2_f32_f16 v32, v146, v44, v32
	;;#ASMEND
	;; [unrolled: 3-line block ×8, first 2 shown]
	ds_read_b128 v[39:42], v104 offset:80
	ds_read_b128 v[43:46], v102 offset:80
	;; [unrolled: 1-line block ×6, first 2 shown]
	s_waitcnt lgkmcnt(4)
	;;#ASMSTART
	v_dot2_f32_f16 v26, v39, v43, v26
	;;#ASMEND
	;;#ASMSTART
	v_dot2_f32_f16 v26, v40, v44, v26
	;;#ASMEND
	;;#ASMSTART
	v_dot2_f32_f16 v26, v41, v45, v26
	;;#ASMEND
	;;#ASMSTART
	v_dot2_f32_f16 v26, v42, v46, v26
	;;#ASMEND
	s_waitcnt lgkmcnt(3)
	;;#ASMSTART
	v_dot2_f32_f16 v27, v39, v47, v27
	;;#ASMEND
	;;#ASMSTART
	v_dot2_f32_f16 v27, v40, v48, v27
	;;#ASMEND
	;;#ASMSTART
	v_dot2_f32_f16 v27, v41, v49, v27
	;;#ASMEND
	;;#ASMSTART
	v_dot2_f32_f16 v27, v42, v50, v27
	;;#ASMEND
	s_waitcnt lgkmcnt(2)
	;;#ASMSTART
	v_dot2_f32_f16 v28, v51, v43, v28
	;;#ASMEND
	;;#ASMSTART
	v_dot2_f32_f16 v28, v52, v44, v28
	;;#ASMEND
	;;#ASMSTART
	v_dot2_f32_f16 v28, v53, v45, v28
	;;#ASMEND
	;;#ASMSTART
	v_dot2_f32_f16 v28, v54, v46, v28
	;;#ASMEND
	;;#ASMSTART
	v_dot2_f32_f16 v29, v51, v47, v29
	;;#ASMEND
	;;#ASMSTART
	v_dot2_f32_f16 v29, v52, v48, v29
	;;#ASMEND
	;;#ASMSTART
	v_dot2_f32_f16 v29, v53, v49, v29
	;;#ASMEND
	;;#ASMSTART
	v_dot2_f32_f16 v29, v54, v50, v29
	;;#ASMEND
	s_waitcnt lgkmcnt(1)
	;;#ASMSTART
	v_dot2_f32_f16 v30, v141, v43, v30
	;;#ASMEND
	;;#ASMSTART
	v_dot2_f32_f16 v30, v142, v44, v30
	;;#ASMEND
	;;#ASMSTART
	v_dot2_f32_f16 v30, v143, v45, v30
	;;#ASMEND
	;;#ASMSTART
	v_dot2_f32_f16 v30, v144, v46, v30
	;;#ASMEND
	;;#ASMSTART
	v_dot2_f32_f16 v31, v141, v47, v31
	;;#ASMEND
	;;#ASMSTART
	v_dot2_f32_f16 v31, v142, v48, v31
	;;#ASMEND
	;;#ASMSTART
	v_dot2_f32_f16 v31, v143, v49, v31
	;;#ASMEND
	;;#ASMSTART
	v_dot2_f32_f16 v31, v144, v50, v31
	;;#ASMEND
	s_waitcnt lgkmcnt(0)
	;;#ASMSTART
	v_dot2_f32_f16 v32, v145, v43, v32
	;;#ASMEND
	;;#ASMSTART
	v_dot2_f32_f16 v32, v146, v44, v32
	;;#ASMEND
	;; [unrolled: 3-line block ×8, first 2 shown]
	ds_read_b128 v[39:42], v104 offset:96
	ds_read_b128 v[43:46], v102 offset:96
	;; [unrolled: 1-line block ×6, first 2 shown]
	s_waitcnt lgkmcnt(4)
	;;#ASMSTART
	v_dot2_f32_f16 v26, v39, v43, v26
	;;#ASMEND
	;;#ASMSTART
	v_dot2_f32_f16 v26, v40, v44, v26
	;;#ASMEND
	;;#ASMSTART
	v_dot2_f32_f16 v26, v41, v45, v26
	;;#ASMEND
	;;#ASMSTART
	v_dot2_f32_f16 v26, v42, v46, v26
	;;#ASMEND
	s_waitcnt lgkmcnt(3)
	;;#ASMSTART
	v_dot2_f32_f16 v27, v39, v47, v27
	;;#ASMEND
	;;#ASMSTART
	v_dot2_f32_f16 v27, v40, v48, v27
	;;#ASMEND
	;;#ASMSTART
	v_dot2_f32_f16 v27, v41, v49, v27
	;;#ASMEND
	;;#ASMSTART
	v_dot2_f32_f16 v27, v42, v50, v27
	;;#ASMEND
	;; [unrolled: 13-line block ×3, first 2 shown]
	;;#ASMSTART
	v_dot2_f32_f16 v29, v51, v47, v29
	;;#ASMEND
	;;#ASMSTART
	v_dot2_f32_f16 v29, v52, v48, v29
	;;#ASMEND
	;; [unrolled: 3-line block ×4, first 2 shown]
	s_waitcnt lgkmcnt(1)
	;;#ASMSTART
	v_dot2_f32_f16 v30, v141, v43, v30
	;;#ASMEND
	;;#ASMSTART
	v_dot2_f32_f16 v30, v142, v44, v30
	;;#ASMEND
	;;#ASMSTART
	v_dot2_f32_f16 v30, v143, v45, v30
	;;#ASMEND
	;;#ASMSTART
	v_dot2_f32_f16 v30, v144, v46, v30
	;;#ASMEND
	;;#ASMSTART
	v_dot2_f32_f16 v31, v141, v47, v31
	;;#ASMEND
	;;#ASMSTART
	v_dot2_f32_f16 v31, v142, v48, v31
	;;#ASMEND
	;;#ASMSTART
	v_dot2_f32_f16 v31, v143, v49, v31
	;;#ASMEND
	;;#ASMSTART
	v_dot2_f32_f16 v31, v144, v50, v31
	;;#ASMEND
	s_waitcnt lgkmcnt(0)
	;;#ASMSTART
	v_dot2_f32_f16 v32, v145, v43, v32
	;;#ASMEND
	;;#ASMSTART
	v_dot2_f32_f16 v32, v146, v44, v32
	;;#ASMEND
	;; [unrolled: 3-line block ×8, first 2 shown]
	ds_read_b128 v[39:42], v104 offset:112
	ds_read_b128 v[43:46], v102 offset:112
	ds_read_b128 v[47:50], v102 offset:368
	ds_read_b128 v[51:54], v104 offset:8816
	ds_read_b128 v[141:144], v104 offset:17520
	ds_read_b128 v[145:148], v104 offset:26224
	s_waitcnt lgkmcnt(4)
	;;#ASMSTART
	v_dot2_f32_f16 v26, v39, v43, v26
	;;#ASMEND
	;;#ASMSTART
	v_dot2_f32_f16 v26, v40, v44, v26
	;;#ASMEND
	;;#ASMSTART
	v_dot2_f32_f16 v26, v41, v45, v26
	;;#ASMEND
	;;#ASMSTART
	v_dot2_f32_f16 v26, v42, v46, v26
	;;#ASMEND
	s_waitcnt lgkmcnt(3)
	;;#ASMSTART
	v_dot2_f32_f16 v27, v39, v47, v27
	;;#ASMEND
	;;#ASMSTART
	v_dot2_f32_f16 v27, v40, v48, v27
	;;#ASMEND
	;;#ASMSTART
	v_dot2_f32_f16 v27, v41, v49, v27
	;;#ASMEND
	;;#ASMSTART
	v_dot2_f32_f16 v27, v42, v50, v27
	;;#ASMEND
	s_waitcnt lgkmcnt(2)
	;;#ASMSTART
	v_dot2_f32_f16 v28, v51, v43, v28
	;;#ASMEND
	;;#ASMSTART
	v_dot2_f32_f16 v28, v52, v44, v28
	;;#ASMEND
	;;#ASMSTART
	v_dot2_f32_f16 v28, v53, v45, v28
	;;#ASMEND
	;;#ASMSTART
	v_dot2_f32_f16 v28, v54, v46, v28
	;;#ASMEND
	;;#ASMSTART
	v_dot2_f32_f16 v29, v51, v47, v29
	;;#ASMEND
	;;#ASMSTART
	v_dot2_f32_f16 v29, v52, v48, v29
	;;#ASMEND
	;; [unrolled: 3-line block ×4, first 2 shown]
	s_waitcnt lgkmcnt(1)
	;;#ASMSTART
	v_dot2_f32_f16 v30, v141, v43, v30
	;;#ASMEND
	;;#ASMSTART
	v_dot2_f32_f16 v30, v142, v44, v30
	;;#ASMEND
	;; [unrolled: 3-line block ×8, first 2 shown]
	s_waitcnt lgkmcnt(0)
	;;#ASMSTART
	v_dot2_f32_f16 v32, v145, v43, v32
	;;#ASMEND
	;;#ASMSTART
	v_dot2_f32_f16 v32, v146, v44, v32
	;;#ASMEND
	;;#ASMSTART
	v_dot2_f32_f16 v32, v147, v45, v32
	;;#ASMEND
	;;#ASMSTART
	v_dot2_f32_f16 v32, v148, v46, v32
	;;#ASMEND
	;;#ASMSTART
	v_dot2_f32_f16 v33, v145, v47, v33
	;;#ASMEND
	;;#ASMSTART
	v_dot2_f32_f16 v33, v146, v48, v33
	;;#ASMEND
	;;#ASMSTART
	v_dot2_f32_f16 v33, v147, v49, v33
	;;#ASMEND
	;;#ASMSTART
	v_dot2_f32_f16 v33, v148, v50, v33
	;;#ASMEND
	ds_read_b128 v[39:42], v104 offset:128
	ds_read_b128 v[43:46], v102 offset:128
	;; [unrolled: 1-line block ×6, first 2 shown]
	s_waitcnt lgkmcnt(4)
	;;#ASMSTART
	v_dot2_f32_f16 v26, v39, v43, v26
	;;#ASMEND
	;;#ASMSTART
	v_dot2_f32_f16 v26, v40, v44, v26
	;;#ASMEND
	;;#ASMSTART
	v_dot2_f32_f16 v26, v41, v45, v26
	;;#ASMEND
	;;#ASMSTART
	v_dot2_f32_f16 v26, v42, v46, v26
	;;#ASMEND
	s_waitcnt lgkmcnt(3)
	;;#ASMSTART
	v_dot2_f32_f16 v27, v39, v47, v27
	;;#ASMEND
	;;#ASMSTART
	v_dot2_f32_f16 v27, v40, v48, v27
	;;#ASMEND
	;;#ASMSTART
	v_dot2_f32_f16 v27, v41, v49, v27
	;;#ASMEND
	;;#ASMSTART
	v_dot2_f32_f16 v27, v42, v50, v27
	;;#ASMEND
	;; [unrolled: 13-line block ×3, first 2 shown]
	;;#ASMSTART
	v_dot2_f32_f16 v29, v51, v47, v29
	;;#ASMEND
	;;#ASMSTART
	v_dot2_f32_f16 v29, v52, v48, v29
	;;#ASMEND
	;; [unrolled: 3-line block ×4, first 2 shown]
	s_waitcnt lgkmcnt(1)
	;;#ASMSTART
	v_dot2_f32_f16 v30, v141, v43, v30
	;;#ASMEND
	;;#ASMSTART
	v_dot2_f32_f16 v30, v142, v44, v30
	;;#ASMEND
	;; [unrolled: 3-line block ×8, first 2 shown]
	s_waitcnt lgkmcnt(0)
	;;#ASMSTART
	v_dot2_f32_f16 v32, v145, v43, v32
	;;#ASMEND
	;;#ASMSTART
	v_dot2_f32_f16 v32, v146, v44, v32
	;;#ASMEND
	;;#ASMSTART
	v_dot2_f32_f16 v32, v147, v45, v32
	;;#ASMEND
	;;#ASMSTART
	v_dot2_f32_f16 v32, v148, v46, v32
	;;#ASMEND
	;;#ASMSTART
	v_dot2_f32_f16 v33, v145, v47, v33
	;;#ASMEND
	;;#ASMSTART
	v_dot2_f32_f16 v33, v146, v48, v33
	;;#ASMEND
	;;#ASMSTART
	v_dot2_f32_f16 v33, v147, v49, v33
	;;#ASMEND
	;;#ASMSTART
	v_dot2_f32_f16 v33, v148, v50, v33
	;;#ASMEND
	ds_read_b128 v[39:42], v104 offset:144
	ds_read_b128 v[43:46], v102 offset:144
	;; [unrolled: 1-line block ×6, first 2 shown]
	s_waitcnt lgkmcnt(4)
	;;#ASMSTART
	v_dot2_f32_f16 v26, v39, v43, v26
	;;#ASMEND
	;;#ASMSTART
	v_dot2_f32_f16 v26, v40, v44, v26
	;;#ASMEND
	;;#ASMSTART
	v_dot2_f32_f16 v26, v41, v45, v26
	;;#ASMEND
	;;#ASMSTART
	v_dot2_f32_f16 v26, v42, v46, v26
	;;#ASMEND
	s_waitcnt lgkmcnt(3)
	;;#ASMSTART
	v_dot2_f32_f16 v27, v39, v47, v27
	;;#ASMEND
	;;#ASMSTART
	v_dot2_f32_f16 v27, v40, v48, v27
	;;#ASMEND
	;;#ASMSTART
	v_dot2_f32_f16 v27, v41, v49, v27
	;;#ASMEND
	;;#ASMSTART
	v_dot2_f32_f16 v27, v42, v50, v27
	;;#ASMEND
	;; [unrolled: 13-line block ×3, first 2 shown]
	;;#ASMSTART
	v_dot2_f32_f16 v29, v51, v47, v29
	;;#ASMEND
	;;#ASMSTART
	v_dot2_f32_f16 v29, v52, v48, v29
	;;#ASMEND
	;; [unrolled: 3-line block ×4, first 2 shown]
	s_waitcnt lgkmcnt(1)
	;;#ASMSTART
	v_dot2_f32_f16 v30, v141, v43, v30
	;;#ASMEND
	;;#ASMSTART
	v_dot2_f32_f16 v30, v142, v44, v30
	;;#ASMEND
	;; [unrolled: 3-line block ×8, first 2 shown]
	s_waitcnt lgkmcnt(0)
	;;#ASMSTART
	v_dot2_f32_f16 v32, v145, v43, v32
	;;#ASMEND
	;;#ASMSTART
	v_dot2_f32_f16 v32, v146, v44, v32
	;;#ASMEND
	;; [unrolled: 3-line block ×8, first 2 shown]
	ds_read_b128 v[39:42], v104 offset:160
	ds_read_b128 v[43:46], v102 offset:160
	;; [unrolled: 1-line block ×6, first 2 shown]
	s_waitcnt lgkmcnt(4)
	;;#ASMSTART
	v_dot2_f32_f16 v26, v39, v43, v26
	;;#ASMEND
	;;#ASMSTART
	v_dot2_f32_f16 v26, v40, v44, v26
	;;#ASMEND
	;;#ASMSTART
	v_dot2_f32_f16 v26, v41, v45, v26
	;;#ASMEND
	;;#ASMSTART
	v_dot2_f32_f16 v26, v42, v46, v26
	;;#ASMEND
	s_waitcnt lgkmcnt(3)
	;;#ASMSTART
	v_dot2_f32_f16 v27, v39, v47, v27
	;;#ASMEND
	;;#ASMSTART
	v_dot2_f32_f16 v27, v40, v48, v27
	;;#ASMEND
	;;#ASMSTART
	v_dot2_f32_f16 v27, v41, v49, v27
	;;#ASMEND
	;;#ASMSTART
	v_dot2_f32_f16 v27, v42, v50, v27
	;;#ASMEND
	;; [unrolled: 13-line block ×3, first 2 shown]
	;;#ASMSTART
	v_dot2_f32_f16 v29, v51, v47, v29
	;;#ASMEND
	;;#ASMSTART
	v_dot2_f32_f16 v29, v52, v48, v29
	;;#ASMEND
	;; [unrolled: 3-line block ×4, first 2 shown]
	s_waitcnt lgkmcnt(1)
	;;#ASMSTART
	v_dot2_f32_f16 v30, v141, v43, v30
	;;#ASMEND
	;;#ASMSTART
	v_dot2_f32_f16 v30, v142, v44, v30
	;;#ASMEND
	;; [unrolled: 3-line block ×8, first 2 shown]
	s_waitcnt lgkmcnt(0)
	;;#ASMSTART
	v_dot2_f32_f16 v32, v145, v43, v32
	;;#ASMEND
	;;#ASMSTART
	v_dot2_f32_f16 v32, v146, v44, v32
	;;#ASMEND
	;; [unrolled: 3-line block ×8, first 2 shown]
	ds_read_b128 v[39:42], v104 offset:176
	ds_read_b128 v[43:46], v102 offset:176
	;; [unrolled: 1-line block ×6, first 2 shown]
	s_waitcnt lgkmcnt(4)
	;;#ASMSTART
	v_dot2_f32_f16 v26, v39, v43, v26
	;;#ASMEND
	;;#ASMSTART
	v_dot2_f32_f16 v26, v40, v44, v26
	;;#ASMEND
	;;#ASMSTART
	v_dot2_f32_f16 v26, v41, v45, v26
	;;#ASMEND
	;;#ASMSTART
	v_dot2_f32_f16 v26, v42, v46, v26
	;;#ASMEND
	s_waitcnt lgkmcnt(3)
	;;#ASMSTART
	v_dot2_f32_f16 v27, v39, v47, v27
	;;#ASMEND
	;;#ASMSTART
	v_dot2_f32_f16 v27, v40, v48, v27
	;;#ASMEND
	;;#ASMSTART
	v_dot2_f32_f16 v27, v41, v49, v27
	;;#ASMEND
	;;#ASMSTART
	v_dot2_f32_f16 v27, v42, v50, v27
	;;#ASMEND
	;; [unrolled: 13-line block ×3, first 2 shown]
	;;#ASMSTART
	v_dot2_f32_f16 v29, v51, v47, v29
	;;#ASMEND
	;;#ASMSTART
	v_dot2_f32_f16 v29, v52, v48, v29
	;;#ASMEND
	;; [unrolled: 3-line block ×4, first 2 shown]
	s_waitcnt lgkmcnt(1)
	;;#ASMSTART
	v_dot2_f32_f16 v30, v141, v43, v30
	;;#ASMEND
	;;#ASMSTART
	v_dot2_f32_f16 v30, v142, v44, v30
	;;#ASMEND
	;; [unrolled: 3-line block ×8, first 2 shown]
	s_waitcnt lgkmcnt(0)
	;;#ASMSTART
	v_dot2_f32_f16 v32, v145, v43, v32
	;;#ASMEND
	;;#ASMSTART
	v_dot2_f32_f16 v32, v146, v44, v32
	;;#ASMEND
	;; [unrolled: 3-line block ×8, first 2 shown]
	ds_read_b128 v[39:42], v104 offset:192
	ds_read_b128 v[43:46], v102 offset:192
	;; [unrolled: 1-line block ×6, first 2 shown]
	s_waitcnt lgkmcnt(4)
	;;#ASMSTART
	v_dot2_f32_f16 v26, v39, v43, v26
	;;#ASMEND
	;;#ASMSTART
	v_dot2_f32_f16 v26, v40, v44, v26
	;;#ASMEND
	;;#ASMSTART
	v_dot2_f32_f16 v26, v41, v45, v26
	;;#ASMEND
	;;#ASMSTART
	v_dot2_f32_f16 v26, v42, v46, v26
	;;#ASMEND
	s_waitcnt lgkmcnt(3)
	;;#ASMSTART
	v_dot2_f32_f16 v27, v39, v47, v27
	;;#ASMEND
	;;#ASMSTART
	v_dot2_f32_f16 v27, v40, v48, v27
	;;#ASMEND
	;;#ASMSTART
	v_dot2_f32_f16 v27, v41, v49, v27
	;;#ASMEND
	;;#ASMSTART
	v_dot2_f32_f16 v27, v42, v50, v27
	;;#ASMEND
	;; [unrolled: 13-line block ×3, first 2 shown]
	;;#ASMSTART
	v_dot2_f32_f16 v29, v51, v47, v29
	;;#ASMEND
	;;#ASMSTART
	v_dot2_f32_f16 v29, v52, v48, v29
	;;#ASMEND
	;; [unrolled: 3-line block ×4, first 2 shown]
	s_waitcnt lgkmcnt(1)
	;;#ASMSTART
	v_dot2_f32_f16 v30, v141, v43, v30
	;;#ASMEND
	;;#ASMSTART
	v_dot2_f32_f16 v30, v142, v44, v30
	;;#ASMEND
	;; [unrolled: 3-line block ×8, first 2 shown]
	s_waitcnt lgkmcnt(0)
	;;#ASMSTART
	v_dot2_f32_f16 v32, v145, v43, v32
	;;#ASMEND
	;;#ASMSTART
	v_dot2_f32_f16 v32, v146, v44, v32
	;;#ASMEND
	;; [unrolled: 3-line block ×8, first 2 shown]
	ds_read_b128 v[39:42], v104 offset:208
	ds_read_b128 v[43:46], v102 offset:208
	;; [unrolled: 1-line block ×6, first 2 shown]
	s_waitcnt lgkmcnt(4)
	;;#ASMSTART
	v_dot2_f32_f16 v26, v39, v43, v26
	;;#ASMEND
	;;#ASMSTART
	v_dot2_f32_f16 v26, v40, v44, v26
	;;#ASMEND
	;;#ASMSTART
	v_dot2_f32_f16 v26, v41, v45, v26
	;;#ASMEND
	;;#ASMSTART
	v_dot2_f32_f16 v26, v42, v46, v26
	;;#ASMEND
	s_waitcnt lgkmcnt(3)
	;;#ASMSTART
	v_dot2_f32_f16 v27, v39, v47, v27
	;;#ASMEND
	;;#ASMSTART
	v_dot2_f32_f16 v27, v40, v48, v27
	;;#ASMEND
	;;#ASMSTART
	v_dot2_f32_f16 v27, v41, v49, v27
	;;#ASMEND
	;;#ASMSTART
	v_dot2_f32_f16 v27, v42, v50, v27
	;;#ASMEND
	;; [unrolled: 13-line block ×3, first 2 shown]
	;;#ASMSTART
	v_dot2_f32_f16 v29, v51, v47, v29
	;;#ASMEND
	;;#ASMSTART
	v_dot2_f32_f16 v29, v52, v48, v29
	;;#ASMEND
	;; [unrolled: 3-line block ×4, first 2 shown]
	s_waitcnt lgkmcnt(1)
	;;#ASMSTART
	v_dot2_f32_f16 v30, v141, v43, v30
	;;#ASMEND
	;;#ASMSTART
	v_dot2_f32_f16 v30, v142, v44, v30
	;;#ASMEND
	;; [unrolled: 3-line block ×8, first 2 shown]
	s_waitcnt lgkmcnt(0)
	;;#ASMSTART
	v_dot2_f32_f16 v32, v145, v43, v32
	;;#ASMEND
	;;#ASMSTART
	v_dot2_f32_f16 v32, v146, v44, v32
	;;#ASMEND
	;; [unrolled: 3-line block ×8, first 2 shown]
	ds_read_b128 v[39:42], v104 offset:224
	ds_read_b128 v[43:46], v102 offset:224
	;; [unrolled: 1-line block ×6, first 2 shown]
	s_waitcnt lgkmcnt(4)
	;;#ASMSTART
	v_dot2_f32_f16 v26, v39, v43, v26
	;;#ASMEND
	;;#ASMSTART
	v_dot2_f32_f16 v26, v40, v44, v26
	;;#ASMEND
	;;#ASMSTART
	v_dot2_f32_f16 v26, v41, v45, v26
	;;#ASMEND
	;;#ASMSTART
	v_dot2_f32_f16 v26, v42, v46, v26
	;;#ASMEND
	s_waitcnt lgkmcnt(3)
	;;#ASMSTART
	v_dot2_f32_f16 v27, v39, v47, v27
	;;#ASMEND
	;;#ASMSTART
	v_dot2_f32_f16 v27, v40, v48, v27
	;;#ASMEND
	;;#ASMSTART
	v_dot2_f32_f16 v27, v41, v49, v27
	;;#ASMEND
	;;#ASMSTART
	v_dot2_f32_f16 v27, v42, v50, v27
	;;#ASMEND
	;; [unrolled: 13-line block ×3, first 2 shown]
	;;#ASMSTART
	v_dot2_f32_f16 v29, v51, v47, v29
	;;#ASMEND
	;;#ASMSTART
	v_dot2_f32_f16 v29, v52, v48, v29
	;;#ASMEND
	;;#ASMSTART
	v_dot2_f32_f16 v29, v53, v49, v29
	;;#ASMEND
	;;#ASMSTART
	v_dot2_f32_f16 v29, v54, v50, v29
	;;#ASMEND
	s_waitcnt lgkmcnt(1)
	;;#ASMSTART
	v_dot2_f32_f16 v30, v141, v43, v30
	;;#ASMEND
	;;#ASMSTART
	v_dot2_f32_f16 v30, v142, v44, v30
	;;#ASMEND
	;; [unrolled: 3-line block ×8, first 2 shown]
	s_waitcnt lgkmcnt(0)
	;;#ASMSTART
	v_dot2_f32_f16 v32, v145, v43, v32
	;;#ASMEND
	;;#ASMSTART
	v_dot2_f32_f16 v32, v146, v44, v32
	;;#ASMEND
	;; [unrolled: 3-line block ×8, first 2 shown]
	ds_read_b128 v[39:42], v104 offset:240
	ds_read_b128 v[43:46], v102 offset:240
	;; [unrolled: 1-line block ×6, first 2 shown]
	s_waitcnt lgkmcnt(4)
	;;#ASMSTART
	v_dot2_f32_f16 v26, v39, v43, v26
	;;#ASMEND
	;;#ASMSTART
	v_dot2_f32_f16 v26, v40, v44, v26
	;;#ASMEND
	;;#ASMSTART
	v_dot2_f32_f16 v26, v41, v45, v26
	;;#ASMEND
	;;#ASMSTART
	v_dot2_f32_f16 v26, v42, v46, v26
	;;#ASMEND
	s_waitcnt lgkmcnt(3)
	;;#ASMSTART
	v_dot2_f32_f16 v27, v39, v47, v27
	;;#ASMEND
	;;#ASMSTART
	v_dot2_f32_f16 v27, v40, v48, v27
	;;#ASMEND
	;;#ASMSTART
	v_dot2_f32_f16 v27, v41, v49, v27
	;;#ASMEND
	;;#ASMSTART
	v_dot2_f32_f16 v27, v42, v50, v27
	;;#ASMEND
	;; [unrolled: 13-line block ×3, first 2 shown]
	;;#ASMSTART
	v_dot2_f32_f16 v29, v51, v47, v29
	;;#ASMEND
	;;#ASMSTART
	v_dot2_f32_f16 v29, v52, v48, v29
	;;#ASMEND
	;; [unrolled: 3-line block ×4, first 2 shown]
	s_waitcnt lgkmcnt(1)
	;;#ASMSTART
	v_dot2_f32_f16 v30, v141, v43, v30
	;;#ASMEND
	;;#ASMSTART
	v_dot2_f32_f16 v30, v142, v44, v30
	;;#ASMEND
	;; [unrolled: 3-line block ×8, first 2 shown]
	s_waitcnt lgkmcnt(0)
	;;#ASMSTART
	v_dot2_f32_f16 v32, v145, v43, v32
	;;#ASMEND
	;;#ASMSTART
	v_dot2_f32_f16 v32, v146, v44, v32
	;;#ASMEND
	;; [unrolled: 3-line block ×8, first 2 shown]
	s_clause 0x3
	global_load_ushort v55, v[17:18], off
	global_load_ushort v56, v[17:18], off offset:64
	global_load_ushort v91, v[17:18], off offset:128
	;; [unrolled: 1-line block ×3, first 2 shown]
	s_waitcnt vmcnt(0)
	s_barrier
	buffer_gl0_inv
	s_clause 0x7
	global_load_dwordx4 v[15:18], v[15:16], off
	global_load_dwordx4 v[39:42], v[13:14], off
	;; [unrolled: 1-line block ×8, first 2 shown]
	v_cvt_f32_f16_e32 v1, v55
	v_cvt_f32_f16_e32 v2, v56
	;; [unrolled: 1-line block ×4, first 2 shown]
	v_add_f32_e32 v5, v26, v1
	v_add_f32_e32 v6, v28, v2
	;; [unrolled: 1-line block ×14, first 2 shown]
	v_max3_f32 v9, v25, v9, v10
	v_add_f32_e32 v30, 0x40051340, v3
	v_add_f32_e32 v31, 0x40051340, v4
	v_max3_f32 v10, v24, v28, v29
	v_max3_f32 v9, v9, v26, v27
	;; [unrolled: 1-line block ×3, first 2 shown]
	ds_bpermute_b32 v26, v38, v9
	ds_bpermute_b32 v27, v38, v10
	s_waitcnt lgkmcnt(1)
	v_max_f32_e32 v26, v26, v26
	s_waitcnt lgkmcnt(0)
	v_max_f32_e32 v27, v27, v27
	v_max_f32_e32 v9, v9, v26
	v_max_f32_e32 v10, v10, v27
	ds_bpermute_b32 v26, v37, v9
	ds_bpermute_b32 v27, v37, v10
	s_waitcnt lgkmcnt(1)
	v_max_f32_e32 v26, v26, v26
	s_waitcnt lgkmcnt(0)
	v_max_f32_e32 v27, v27, v27
	v_max_f32_e32 v9, v9, v26
	v_max_f32_e32 v10, v10, v27
	ds_bpermute_b32 v26, v36, v9
	ds_bpermute_b32 v27, v36, v10
	s_waitcnt lgkmcnt(1)
	v_max_f32_e32 v26, v26, v26
	s_waitcnt lgkmcnt(0)
	v_max_f32_e32 v27, v27, v27
	v_max_f32_e32 v9, v9, v26
	v_max_f32_e32 v10, v10, v27
	ds_bpermute_b32 v26, v35, v9
	ds_bpermute_b32 v27, v35, v10
	s_waitcnt lgkmcnt(1)
	v_max_f32_e32 v26, v26, v26
	s_waitcnt lgkmcnt(0)
	v_max_f32_e32 v27, v27, v27
	v_max_f32_e32 v9, v9, v26
	v_max_f32_e32 v10, v10, v27
	ds_bpermute_b32 v26, v34, v9
	ds_bpermute_b32 v27, v34, v10
	s_waitcnt lgkmcnt(1)
	v_max_f32_e32 v26, v26, v26
	s_waitcnt lgkmcnt(0)
	v_max_f32_e32 v27, v27, v27
	v_max_f32_e32 v91, v9, v26
	v_max_f32_e32 v92, v10, v27
	v_sub_f32_e32 v6, v6, v91
	v_sub_f32_e32 v5, v5, v91
	;; [unrolled: 1-line block ×7, first 2 shown]
	v_mul_f32_e32 v25, 0x3fb8aa3b, v6
	v_sub_f32_e32 v10, v24, v92
	v_sub_f32_e32 v3, v3, v92
	;; [unrolled: 1-line block ×3, first 2 shown]
	v_mul_f32_e32 v24, 0x3fb8aa3b, v5
	v_mul_f32_e32 v26, 0x3fb8aa3b, v7
	;; [unrolled: 1-line block ×6, first 2 shown]
	v_fma_f32 v36, 0x3fb8aa3b, v6, -v25
	v_mul_f32_e32 v31, 0x3fb8aa3b, v3
	v_mul_f32_e32 v32, 0x3fb8aa3b, v4
	v_fma_f32 v34, 0x3fb8aa3b, v5, -v24
	v_fma_f32 v38, 0x3fb8aa3b, v7, -v26
	;; [unrolled: 1-line block ×4, first 2 shown]
	v_cmp_ngt_f32_e64 s1, 0xc2ce8ed0, v6
	v_cmp_nlt_f32_e64 s12, 0x42b17218, v6
	v_fma_f32 v142, 0x3fb8aa3b, v9, -v28
	v_fmac_f32_e32 v36, 0x32a5705f, v6
	v_fma_f32 v6, 0x3fb8aa3b, v2, -v30
	v_mul_f32_e32 v33, 0x3fb8aa3b, v10
	v_cmp_ngt_f32_e64 s2, 0xc2ce8ed0, v7
	v_cmp_ngt_f32_e64 s3, 0xc2ce8ed0, v8
	;; [unrolled: 1-line block ×4, first 2 shown]
	v_cmp_nlt_f32_e64 s13, 0x42b17218, v7
	v_cmp_nlt_f32_e64 s14, 0x42b17218, v8
	;; [unrolled: 1-line block ×4, first 2 shown]
	v_rndne_f32_e32 v35, v24
	v_rndne_f32_e32 v37, v25
	;; [unrolled: 1-line block ×5, first 2 shown]
	v_fmac_f32_e32 v34, 0x32a5705f, v5
	v_rndne_f32_e32 v5, v29
	v_fmac_f32_e32 v38, 0x32a5705f, v7
	v_rndne_f32_e32 v7, v30
	v_fmac_f32_e32 v56, 0x32a5705f, v8
	v_fma_f32 v8, 0x3fb8aa3b, v3, -v31
	v_fmac_f32_e32 v144, 0x32a5705f, v1
	v_fma_f32 v1, 0x3fb8aa3b, v4, -v32
	v_cmp_ngt_f32_e64 s6, 0xc2ce8ed0, v9
	v_cmp_ngt_f32_e64 s8, 0xc2ce8ed0, v2
	v_cmp_nlt_f32_e64 s15, 0x42b17218, v9
	v_cmp_nlt_f32_e64 s17, 0x42b17218, v2
	v_fmac_f32_e32 v142, 0x32a5705f, v9
	v_rndne_f32_e32 v9, v31
	v_fmac_f32_e32 v6, 0x32a5705f, v2
	v_rndne_f32_e32 v2, v32
	v_cmp_ngt_f32_e64 s9, 0xc2ce8ed0, v3
	v_cmp_ngt_f32_e64 s10, 0xc2ce8ed0, v4
	v_cmp_nlt_f32_e64 s18, 0x42b17218, v3
	v_cmp_nlt_f32_e64 s19, 0x42b17218, v4
	v_fmac_f32_e32 v8, 0x32a5705f, v3
	v_fma_f32 v3, 0x3fb8aa3b, v10, -v33
	v_fmac_f32_e32 v1, 0x32a5705f, v4
	v_rndne_f32_e32 v4, v33
	v_sub_f32_e32 v24, v24, v35
	v_sub_f32_e32 v25, v25, v37
	;; [unrolled: 1-line block ×9, first 2 shown]
	v_cmp_ngt_f32_e32 vcc_lo, 0xc2ce8ed0, v10
	v_cmp_nlt_f32_e64 s0, 0x42b17218, v10
	v_fmac_f32_e32 v3, 0x32a5705f, v10
	v_sub_f32_e32 v10, v33, v4
	v_add_f32_e32 v24, v24, v34
	v_add_f32_e32 v25, v25, v36
	;; [unrolled: 1-line block ×10, first 2 shown]
	v_exp_f32_e32 v10, v24
	v_exp_f32_e32 v24, v25
	v_exp_f32_e32 v25, v26
	v_exp_f32_e32 v26, v27
	v_exp_f32_e32 v27, v28
	v_exp_f32_e32 v28, v29
	v_exp_f32_e32 v6, v6
	v_exp_f32_e32 v8, v8
	v_exp_f32_e32 v1, v1
	v_cvt_i32_f32_e32 v35, v35
	v_cvt_i32_f32_e32 v37, v37
	;; [unrolled: 1-line block ×5, first 2 shown]
	v_exp_f32_e32 v3, v3
	v_cvt_i32_f32_e32 v141, v141
	v_cvt_i32_f32_e32 v9, v9
	;; [unrolled: 1-line block ×5, first 2 shown]
	v_ldexp_f32 v10, v10, v35
	v_ldexp_f32 v24, v24, v37
	;; [unrolled: 1-line block ×10, first 2 shown]
	v_cndmask_b32_e64 v2, 0, v10, s11
	v_cndmask_b32_e64 v3, 0, v24, s1
	;; [unrolled: 1-line block ×18, first 2 shown]
	v_cvt_f16_f32_e32 v8, v1
	v_cvt_f16_f32_e32 v9, v3
	;; [unrolled: 1-line block ×9, first 2 shown]
	v_pack_b32_f16 v8, v8, v25
	v_pack_b32_f16 v9, v9, v26
	;; [unrolled: 1-line block ×4, first 2 shown]
	v_mul_u32_u24_sdwa v55, v29, v124 dst_sel:DWORD dst_unused:UNUSED_PAD src0_sel:WORD_0 src1_sel:DWORD
	ds_write2_b32 v123, v8, v9 offset1:32
	ds_write2_b32 v123, v10, v24 offset0:64 offset1:96
	s_waitcnt vmcnt(7)
	ds_write_b128 v106, v[15:18]
	s_waitcnt vmcnt(6)
	ds_write_b128 v115, v[39:42]
	;; [unrolled: 2-line block ×8, first 2 shown]
	s_waitcnt lgkmcnt(0)
	s_barrier
	buffer_gl0_inv
	ds_read_b128 v[8:11], v114
	ds_read_b128 v[12:15], v114 offset:16
	ds_read_b128 v[24:27], v114 offset:32
	;; [unrolled: 1-line block ×5, first 2 shown]
	v_cndmask_b32_e32 v7, 0, v7, vcc_lo
	v_add_f32_e32 v1, v1, v3
	v_add_f32_e32 v3, v4, v6
	v_cndmask_b32_e64 v143, 0x7f800000, v7, s0
	v_pk_mul_f16 v7, v22, v55
	s_waitcnt lgkmcnt(5)
	v_mul_u32_u24_sdwa v16, v8, v124 dst_sel:DWORD dst_unused:UNUSED_PAD src0_sel:WORD_0 src1_sel:DWORD
	v_mul_u32_u24_sdwa v17, v8, v124 dst_sel:DWORD dst_unused:UNUSED_PAD src0_sel:WORD_1 src1_sel:DWORD
	v_mul_u32_u24_sdwa v18, v9, v124 dst_sel:DWORD dst_unused:UNUSED_PAD src0_sel:WORD_0 src1_sel:DWORD
	v_mul_u32_u24_sdwa v40, v9, v124 dst_sel:DWORD dst_unused:UNUSED_PAD src0_sel:WORD_1 src1_sel:DWORD
	;; [unrolled: 2-line block ×4, first 2 shown]
	ds_read2_b64 v[8:11], v95 offset1:32
	s_waitcnt lgkmcnt(5)
	v_mul_u32_u24_sdwa v47, v13, v124 dst_sel:DWORD dst_unused:UNUSED_PAD src0_sel:WORD_0 src1_sel:DWORD
	v_mul_u32_u24_sdwa v48, v13, v124 dst_sel:DWORD dst_unused:UNUSED_PAD src0_sel:WORD_1 src1_sel:DWORD
	v_cvt_f16_f32_e32 v13, v143
	v_mul_u32_u24_sdwa v45, v12, v124 dst_sel:DWORD dst_unused:UNUSED_PAD src0_sel:WORD_0 src1_sel:DWORD
	v_mul_u32_u24_sdwa v46, v12, v124 dst_sel:DWORD dst_unused:UNUSED_PAD src0_sel:WORD_1 src1_sel:DWORD
	v_mul_u32_u24_sdwa v49, v14, v124 dst_sel:DWORD dst_unused:UNUSED_PAD src0_sel:WORD_0 src1_sel:DWORD
	v_mul_u32_u24_sdwa v50, v14, v124 dst_sel:DWORD dst_unused:UNUSED_PAD src0_sel:WORD_1 src1_sel:DWORD
	v_mul_u32_u24_sdwa v13, v13, v124 dst_sel:DWORD dst_unused:UNUSED_PAD src0_sel:WORD_0 src1_sel:DWORD
	v_mul_u32_u24_sdwa v51, v15, v124 dst_sel:DWORD dst_unused:UNUSED_PAD src0_sel:WORD_0 src1_sel:DWORD
	v_mul_u32_u24_sdwa v52, v15, v124 dst_sel:DWORD dst_unused:UNUSED_PAD src0_sel:WORD_1 src1_sel:DWORD
	s_waitcnt lgkmcnt(4)
	v_mul_u32_u24_sdwa v53, v24, v124 dst_sel:DWORD dst_unused:UNUSED_PAD src0_sel:WORD_0 src1_sel:DWORD
	v_mul_u32_u24_sdwa v24, v24, v124 dst_sel:DWORD dst_unused:UNUSED_PAD src0_sel:WORD_1 src1_sel:DWORD
	v_pk_mul_f16 v14, v20, v13
	v_mul_u32_u24_sdwa v54, v25, v124 dst_sel:DWORD dst_unused:UNUSED_PAD src0_sel:WORD_0 src1_sel:DWORD
	v_mul_u32_u24_sdwa v25, v25, v124 dst_sel:DWORD dst_unused:UNUSED_PAD src0_sel:WORD_1 src1_sel:DWORD
	v_mul_u32_u24_sdwa v56, v26, v124 dst_sel:DWORD dst_unused:UNUSED_PAD src0_sel:WORD_0 src1_sel:DWORD
	v_mul_u32_u24_sdwa v26, v26, v124 dst_sel:DWORD dst_unused:UNUSED_PAD src0_sel:WORD_1 src1_sel:DWORD
	;; [unrolled: 2-line block ×3, first 2 shown]
	s_waitcnt lgkmcnt(0)
	v_pk_mul_f16 v12, v8, v16
	v_pk_mul_f16 v8, v8, v17
	v_pk_fma_f16 v7, v9, v16, v7
	v_pk_fma_f16 v9, v9, v17, v14
	v_mul_u32_u24_sdwa v146, v28, v124 dst_sel:DWORD dst_unused:UNUSED_PAD src0_sel:WORD_0 src1_sel:DWORD
	v_pk_fma_f16 v12, v23, v55, v12
	v_pk_fma_f16 v8, v21, v13, v8
	;; [unrolled: 1-line block ×4, first 2 shown]
	v_mul_u32_u24_sdwa v28, v28, v124 dst_sel:DWORD dst_unused:UNUSED_PAD src0_sel:WORD_1 src1_sel:DWORD
	v_pk_fma_f16 v17, v10, v18, v12
	ds_read_b128 v[12:15], v114 offset:96
	v_pk_fma_f16 v18, v10, v40, v8
	ds_read2_b64 v[7:10], v95 offset0:64 offset1:96
	v_mul_u32_u24_sdwa v147, v29, v124 dst_sel:DWORD dst_unused:UNUSED_PAD src0_sel:WORD_0 src1_sel:DWORD
	v_mul_u32_u24_sdwa v29, v29, v124 dst_sel:DWORD dst_unused:UNUSED_PAD src0_sel:WORD_1 src1_sel:DWORD
	v_mul_u32_u24_sdwa v148, v30, v124 dst_sel:DWORD dst_unused:UNUSED_PAD src0_sel:WORD_0 src1_sel:DWORD
	v_mul_u32_u24_sdwa v30, v30, v124 dst_sel:DWORD dst_unused:UNUSED_PAD src0_sel:WORD_1 src1_sel:DWORD
	;; [unrolled: 2-line block ×8, first 2 shown]
	v_mul_u32_u24_sdwa v155, v37, v124 dst_sel:DWORD dst_unused:UNUSED_PAD src0_sel:WORD_0 src1_sel:DWORD
	s_waitcnt lgkmcnt(1)
	v_mul_u32_u24_sdwa v20, v12, v124 dst_sel:DWORD dst_unused:UNUSED_PAD src0_sel:WORD_0 src1_sel:DWORD
	v_mul_u32_u24_sdwa v21, v12, v124 dst_sel:DWORD dst_unused:UNUSED_PAD src0_sel:WORD_1 src1_sel:DWORD
	v_mul_u32_u24_sdwa v22, v13, v124 dst_sel:DWORD dst_unused:UNUSED_PAD src0_sel:WORD_0 src1_sel:DWORD
	v_mul_u32_u24_sdwa v23, v13, v124 dst_sel:DWORD dst_unused:UNUSED_PAD src0_sel:WORD_1 src1_sel:DWORD
	s_waitcnt lgkmcnt(0)
	v_pk_fma_f16 v12, v8, v41, v16
	v_pk_fma_f16 v13, v7, v41, v17
	;; [unrolled: 1-line block ×4, first 2 shown]
	v_mul_u32_u24_sdwa v40, v14, v124 dst_sel:DWORD dst_unused:UNUSED_PAD src0_sel:WORD_0 src1_sel:DWORD
	v_mul_u32_u24_sdwa v55, v14, v124 dst_sel:DWORD dst_unused:UNUSED_PAD src0_sel:WORD_1 src1_sel:DWORD
	v_pk_fma_f16 v11, v10, v43, v12
	v_pk_fma_f16 v12, v9, v43, v13
	;; [unrolled: 1-line block ×4, first 2 shown]
	ds_read2_b64 v[7:10], v95 offset0:128 offset1:160
	v_mul_u32_u24_sdwa v158, v15, v124 dst_sel:DWORD dst_unused:UNUSED_PAD src0_sel:WORD_0 src1_sel:DWORD
	v_mul_u32_u24_sdwa v159, v15, v124 dst_sel:DWORD dst_unused:UNUSED_PAD src0_sel:WORD_1 src1_sel:DWORD
	v_mul_u32_u24_sdwa v37, v37, v124 dst_sel:DWORD dst_unused:UNUSED_PAD src0_sel:WORD_1 src1_sel:DWORD
	v_mul_u32_u24_sdwa v156, v38, v124 dst_sel:DWORD dst_unused:UNUSED_PAD src0_sel:WORD_0 src1_sel:DWORD
	v_mul_u32_u24_sdwa v38, v38, v124 dst_sel:DWORD dst_unused:UNUSED_PAD src0_sel:WORD_1 src1_sel:DWORD
	v_mul_u32_u24_sdwa v157, v39, v124 dst_sel:DWORD dst_unused:UNUSED_PAD src0_sel:WORD_0 src1_sel:DWORD
	v_mul_u32_u24_sdwa v39, v39, v124 dst_sel:DWORD dst_unused:UNUSED_PAD src0_sel:WORD_1 src1_sel:DWORD
	s_waitcnt lgkmcnt(0)
	v_pk_fma_f16 v11, v8, v45, v11
	v_pk_fma_f16 v8, v8, v46, v13
	;; [unrolled: 1-line block ×7, first 2 shown]
	ds_read_b128 v[11:14], v114 offset:112
	v_pk_fma_f16 v18, v9, v48, v7
	ds_read2_b64 v[7:10], v95 offset0:192 offset1:224
	s_waitcnt lgkmcnt(1)
	v_mul_u32_u24_sdwa v41, v11, v124 dst_sel:DWORD dst_unused:UNUSED_PAD src0_sel:WORD_0 src1_sel:DWORD
	v_mul_u32_u24_sdwa v42, v11, v124 dst_sel:DWORD dst_unused:UNUSED_PAD src0_sel:WORD_1 src1_sel:DWORD
	v_mul_u32_u24_sdwa v43, v12, v124 dst_sel:DWORD dst_unused:UNUSED_PAD src0_sel:WORD_0 src1_sel:DWORD
	v_mul_u32_u24_sdwa v44, v12, v124 dst_sel:DWORD dst_unused:UNUSED_PAD src0_sel:WORD_1 src1_sel:DWORD
	s_waitcnt lgkmcnt(0)
	v_pk_fma_f16 v11, v8, v49, v15
	v_pk_fma_f16 v12, v7, v49, v16
	;; [unrolled: 1-line block ×4, first 2 shown]
	v_mul_u32_u24_sdwa v45, v13, v124 dst_sel:DWORD dst_unused:UNUSED_PAD src0_sel:WORD_0 src1_sel:DWORD
	v_mul_u32_u24_sdwa v46, v13, v124 dst_sel:DWORD dst_unused:UNUSED_PAD src0_sel:WORD_1 src1_sel:DWORD
	v_mul_u32_u24_sdwa v47, v14, v124 dst_sel:DWORD dst_unused:UNUSED_PAD src0_sel:WORD_0 src1_sel:DWORD
	v_mul_u32_u24_sdwa v48, v14, v124 dst_sel:DWORD dst_unused:UNUSED_PAD src0_sel:WORD_1 src1_sel:DWORD
	v_pk_fma_f16 v11, v10, v51, v11
	v_pk_fma_f16 v12, v9, v51, v12
	v_pk_fma_f16 v13, v10, v52, v8
	v_pk_fma_f16 v14, v9, v52, v7
	ds_read2_b64 v[7:10], v125 offset1:32
	s_waitcnt lgkmcnt(0)
	v_pk_fma_f16 v11, v8, v53, v11
	v_pk_fma_f16 v8, v8, v24, v13
	;; [unrolled: 1-line block ×7, first 2 shown]
	ds_read_b128 v[11:14], v114 offset:128
	v_pk_fma_f16 v18, v9, v25, v7
	ds_read2_b64 v[7:10], v125 offset0:64 offset1:96
	s_waitcnt lgkmcnt(1)
	v_mul_u32_u24_sdwa v24, v11, v124 dst_sel:DWORD dst_unused:UNUSED_PAD src0_sel:WORD_0 src1_sel:DWORD
	v_mul_u32_u24_sdwa v25, v11, v124 dst_sel:DWORD dst_unused:UNUSED_PAD src0_sel:WORD_1 src1_sel:DWORD
	v_mul_u32_u24_sdwa v49, v12, v124 dst_sel:DWORD dst_unused:UNUSED_PAD src0_sel:WORD_0 src1_sel:DWORD
	v_mul_u32_u24_sdwa v51, v12, v124 dst_sel:DWORD dst_unused:UNUSED_PAD src0_sel:WORD_1 src1_sel:DWORD
	s_waitcnt lgkmcnt(0)
	v_pk_fma_f16 v11, v8, v56, v15
	v_pk_fma_f16 v12, v7, v56, v16
	;; [unrolled: 1-line block ×4, first 2 shown]
	v_mul_u32_u24_sdwa v52, v13, v124 dst_sel:DWORD dst_unused:UNUSED_PAD src0_sel:WORD_0 src1_sel:DWORD
	v_mul_u32_u24_sdwa v53, v13, v124 dst_sel:DWORD dst_unused:UNUSED_PAD src0_sel:WORD_1 src1_sel:DWORD
	v_mul_u32_u24_sdwa v54, v14, v124 dst_sel:DWORD dst_unused:UNUSED_PAD src0_sel:WORD_0 src1_sel:DWORD
	v_mul_u32_u24_sdwa v160, v14, v124 dst_sel:DWORD dst_unused:UNUSED_PAD src0_sel:WORD_1 src1_sel:DWORD
	v_pk_fma_f16 v11, v10, v145, v11
	v_pk_fma_f16 v12, v9, v145, v12
	;; [unrolled: 1-line block ×4, first 2 shown]
	ds_read2_b64 v[7:10], v125 offset0:128 offset1:160
	v_mov_b32_e32 v145, v19
	s_waitcnt lgkmcnt(0)
	v_pk_fma_f16 v11, v8, v146, v11
	v_pk_fma_f16 v8, v8, v28, v13
	v_pk_fma_f16 v12, v7, v146, v12
	v_pk_fma_f16 v7, v7, v28, v14
	v_add_f32_e32 v146, v5, v3
	v_pk_fma_f16 v15, v10, v147, v11
	v_pk_fma_f16 v17, v10, v29, v8
	;; [unrolled: 1-line block ×3, first 2 shown]
	ds_read_b128 v[11:14], v114 offset:144
	v_pk_fma_f16 v18, v9, v29, v7
	ds_read2_b64 v[7:10], v125 offset0:192 offset1:224
	v_mov_b32_e32 v147, v140
	v_add_f32_e32 v141, v141, v146
	s_waitcnt lgkmcnt(1)
	v_mul_u32_u24_sdwa v26, v11, v124 dst_sel:DWORD dst_unused:UNUSED_PAD src0_sel:WORD_0 src1_sel:DWORD
	v_mul_u32_u24_sdwa v27, v11, v124 dst_sel:DWORD dst_unused:UNUSED_PAD src0_sel:WORD_1 src1_sel:DWORD
	v_mul_u32_u24_sdwa v28, v12, v124 dst_sel:DWORD dst_unused:UNUSED_PAD src0_sel:WORD_0 src1_sel:DWORD
	v_mul_u32_u24_sdwa v161, v12, v124 dst_sel:DWORD dst_unused:UNUSED_PAD src0_sel:WORD_1 src1_sel:DWORD
	s_waitcnt lgkmcnt(0)
	v_pk_fma_f16 v11, v8, v148, v15
	v_pk_fma_f16 v12, v7, v148, v16
	;; [unrolled: 1-line block ×4, first 2 shown]
	v_mul_u32_u24_sdwa v162, v13, v124 dst_sel:DWORD dst_unused:UNUSED_PAD src0_sel:WORD_0 src1_sel:DWORD
	v_mul_u32_u24_sdwa v163, v13, v124 dst_sel:DWORD dst_unused:UNUSED_PAD src0_sel:WORD_1 src1_sel:DWORD
	v_mul_u32_u24_sdwa v164, v14, v124 dst_sel:DWORD dst_unused:UNUSED_PAD src0_sel:WORD_0 src1_sel:DWORD
	v_mul_u32_u24_sdwa v165, v14, v124 dst_sel:DWORD dst_unused:UNUSED_PAD src0_sel:WORD_1 src1_sel:DWORD
	v_pk_fma_f16 v11, v10, v149, v11
	v_pk_fma_f16 v12, v9, v149, v12
	;; [unrolled: 1-line block ×4, first 2 shown]
	ds_read2_b64 v[7:10], v126 offset1:32
	v_add_f32_e32 v148, v2, v1
	ds_read2_b64 v[1:4], v126 offset0:128 offset1:160
	v_add_f32_e32 v140, v144, v148
	v_fmac_f32_e32 v140, v147, v142
	s_waitcnt lgkmcnt(1)
	v_pk_fma_f16 v11, v8, v150, v11
	v_pk_fma_f16 v8, v8, v32, v13
	;; [unrolled: 1-line block ×7, first 2 shown]
	ds_read_b128 v[11:14], v114 offset:160
	v_pk_fma_f16 v18, v9, v33, v7
	ds_read2_b64 v[7:10], v126 offset0:64 offset1:96
	s_waitcnt lgkmcnt(1)
	v_mul_u32_u24_sdwa v166, v11, v124 dst_sel:DWORD dst_unused:UNUSED_PAD src0_sel:WORD_0 src1_sel:DWORD
	v_mul_u32_u24_sdwa v167, v11, v124 dst_sel:DWORD dst_unused:UNUSED_PAD src0_sel:WORD_1 src1_sel:DWORD
	v_mul_u32_u24_sdwa v168, v12, v124 dst_sel:DWORD dst_unused:UNUSED_PAD src0_sel:WORD_0 src1_sel:DWORD
	v_mul_u32_u24_sdwa v169, v12, v124 dst_sel:DWORD dst_unused:UNUSED_PAD src0_sel:WORD_1 src1_sel:DWORD
	s_waitcnt lgkmcnt(0)
	v_pk_fma_f16 v11, v8, v152, v15
	v_pk_fma_f16 v12, v7, v152, v16
	;; [unrolled: 1-line block ×4, first 2 shown]
	v_mul_u32_u24_sdwa v170, v13, v124 dst_sel:DWORD dst_unused:UNUSED_PAD src0_sel:WORD_0 src1_sel:DWORD
	v_mul_u32_u24_sdwa v171, v13, v124 dst_sel:DWORD dst_unused:UNUSED_PAD src0_sel:WORD_1 src1_sel:DWORD
	v_mul_u32_u24_sdwa v172, v14, v124 dst_sel:DWORD dst_unused:UNUSED_PAD src0_sel:WORD_0 src1_sel:DWORD
	v_mul_u32_u24_sdwa v173, v14, v124 dst_sel:DWORD dst_unused:UNUSED_PAD src0_sel:WORD_1 src1_sel:DWORD
	v_pk_fma_f16 v11, v10, v153, v11
	v_pk_fma_f16 v12, v9, v153, v12
	;; [unrolled: 1-line block ×4, first 2 shown]
	ds_read_b128 v[7:10], v114 offset:176
	v_pk_fma_f16 v5, v2, v154, v11
	v_pk_fma_f16 v6, v1, v154, v12
	;; [unrolled: 1-line block ×4, first 2 shown]
	ds_read2_b64 v[33:36], v129 offset1:32
	v_pk_fma_f16 v5, v4, v155, v5
	v_pk_fma_f16 v6, v3, v155, v6
	ds_read2_b64 v[149:152], v129 offset0:192 offset1:224
	s_waitcnt lgkmcnt(2)
	v_mul_u32_u24_sdwa v153, v7, v124 dst_sel:DWORD dst_unused:UNUSED_PAD src0_sel:WORD_0 src1_sel:DWORD
	v_mul_u32_u24_sdwa v174, v7, v124 dst_sel:DWORD dst_unused:UNUSED_PAD src0_sel:WORD_1 src1_sel:DWORD
	v_mul_u32_u24_sdwa v175, v8, v124 dst_sel:DWORD dst_unused:UNUSED_PAD src0_sel:WORD_0 src1_sel:DWORD
	v_mul_u32_u24_sdwa v176, v8, v124 dst_sel:DWORD dst_unused:UNUSED_PAD src0_sel:WORD_1 src1_sel:DWORD
	v_pk_fma_f16 v7, v4, v37, v2
	v_pk_fma_f16 v8, v3, v37, v1
	ds_read2_b64 v[1:4], v126 offset0:192 offset1:224
	v_mul_u32_u24_sdwa v177, v9, v124 dst_sel:DWORD dst_unused:UNUSED_PAD src0_sel:WORD_0 src1_sel:DWORD
	v_mul_u32_u24_sdwa v178, v9, v124 dst_sel:DWORD dst_unused:UNUSED_PAD src0_sel:WORD_1 src1_sel:DWORD
	v_mul_u32_u24_sdwa v179, v10, v124 dst_sel:DWORD dst_unused:UNUSED_PAD src0_sel:WORD_0 src1_sel:DWORD
	v_mul_u32_u24_sdwa v180, v10, v124 dst_sel:DWORD dst_unused:UNUSED_PAD src0_sel:WORD_1 src1_sel:DWORD
	s_waitcnt lgkmcnt(0)
	v_pk_fma_f16 v5, v2, v156, v5
	v_pk_fma_f16 v6, v1, v156, v6
	;; [unrolled: 1-line block ×6, first 2 shown]
	ds_read2_b64 v[5:8], v127 offset1:32
	v_pk_fma_f16 v11, v4, v39, v2
	v_pk_fma_f16 v12, v3, v39, v1
	ds_read2_b64 v[1:4], v127 offset0:64 offset1:96
	s_waitcnt lgkmcnt(1)
	v_pk_fma_f16 v9, v6, v20, v9
	v_pk_fma_f16 v10, v5, v20, v10
	;; [unrolled: 1-line block ×6, first 2 shown]
	ds_read2_b64 v[9:12], v127 offset0:128 offset1:160
	v_pk_fma_f16 v15, v8, v23, v6
	v_pk_fma_f16 v16, v7, v23, v5
	ds_read2_b64 v[5:8], v127 offset0:192 offset1:224
	s_waitcnt lgkmcnt(2)
	v_pk_fma_f16 v13, v2, v40, v13
	v_pk_fma_f16 v14, v1, v40, v14
	;; [unrolled: 1-line block ×4, first 2 shown]
	ds_read_b128 v[37:40], v114 offset:192
	v_pk_fma_f16 v17, v4, v158, v13
	v_pk_fma_f16 v18, v3, v158, v14
	;; [unrolled: 1-line block ×3, first 2 shown]
	ds_read2_b64 v[13:16], v128 offset1:32
	v_pk_fma_f16 v20, v3, v159, v1
	ds_read2_b64 v[1:4], v128 offset0:64 offset1:96
	s_waitcnt lgkmcnt(4)
	v_pk_fma_f16 v17, v10, v41, v17
	v_pk_fma_f16 v10, v10, v42, v19
	;; [unrolled: 1-line block ×8, first 2 shown]
	ds_read2_b64 v[17:20], v128 offset0:128 offset1:160
	s_waitcnt lgkmcnt(4)
	v_pk_fma_f16 v21, v6, v45, v21
	v_pk_fma_f16 v6, v6, v46, v23
	;; [unrolled: 1-line block ×4, first 2 shown]
	ds_read2_b64 v[9:12], v128 offset0:192 offset1:224
	v_pk_fma_f16 v21, v8, v47, v21
	v_pk_fma_f16 v23, v8, v48, v6
	v_pk_fma_f16 v22, v7, v47, v22
	v_pk_fma_f16 v29, v7, v48, v5
	ds_read2_b64 v[5:8], v129 offset0:64 offset1:96
	s_waitcnt lgkmcnt(4)
	v_pk_fma_f16 v21, v14, v24, v21
	v_pk_fma_f16 v14, v14, v25, v23
	;; [unrolled: 1-line block ×4, first 2 shown]
	ds_read2_b64 v[29:32], v130 offset0:64 offset1:96
	v_pk_fma_f16 v21, v16, v49, v21
	v_pk_fma_f16 v14, v16, v51, v14
	;; [unrolled: 1-line block ×4, first 2 shown]
	ds_read2_b64 v[47:50], v129 offset0:128 offset1:160
	s_waitcnt lgkmcnt(5)
	v_pk_fma_f16 v15, v2, v52, v21
	v_pk_fma_f16 v2, v2, v53, v14
	;; [unrolled: 1-line block ×4, first 2 shown]
	ds_read_b128 v[41:44], v114 offset:208
	v_pk_fma_f16 v13, v4, v54, v15
	v_pk_fma_f16 v2, v4, v160, v2
	;; [unrolled: 1-line block ×4, first 2 shown]
	ds_read2_b64 v[53:56], v130 offset1:32
	s_waitcnt lgkmcnt(6)
	v_pk_fma_f16 v3, v18, v26, v13
	v_pk_fma_f16 v2, v18, v27, v2
	;; [unrolled: 1-line block ×4, first 2 shown]
	v_mul_u32_u24_sdwa v144, v37, v124 dst_sel:DWORD dst_unused:UNUSED_PAD src0_sel:WORD_0 src1_sel:DWORD
	v_pk_fma_f16 v3, v20, v28, v3
	v_pk_fma_f16 v2, v20, v161, v2
	v_pk_fma_f16 v4, v19, v28, v4
	v_pk_fma_f16 v1, v19, v161, v1
	ds_read2_b64 v[25:28], v130 offset0:128 offset1:160
	s_waitcnt lgkmcnt(6)
	v_pk_fma_f16 v3, v10, v162, v3
	v_pk_fma_f16 v2, v10, v163, v2
	;; [unrolled: 1-line block ×4, first 2 shown]
	v_mul_u32_u24_sdwa v37, v37, v124 dst_sel:DWORD dst_unused:UNUSED_PAD src0_sel:WORD_1 src1_sel:DWORD
	v_pk_fma_f16 v3, v12, v164, v3
	v_pk_fma_f16 v2, v12, v165, v2
	;; [unrolled: 1-line block ×4, first 2 shown]
	v_mul_u32_u24_sdwa v142, v39, v124 dst_sel:DWORD dst_unused:UNUSED_PAD src0_sel:WORD_0 src1_sel:DWORD
	v_pk_fma_f16 v3, v34, v166, v3
	v_pk_fma_f16 v2, v34, v167, v2
	;; [unrolled: 1-line block ×4, first 2 shown]
	ds_read2_b64 v[21:24], v130 offset0:192 offset1:224
	v_pk_fma_f16 v3, v36, v168, v3
	v_pk_fma_f16 v2, v36, v169, v2
	v_pk_fma_f16 v4, v35, v168, v4
	v_pk_fma_f16 v1, v35, v169, v1
	v_mul_u32_u24_sdwa v147, v39, v124 dst_sel:DWORD dst_unused:UNUSED_PAD src0_sel:WORD_1 src1_sel:DWORD
	s_waitcnt lgkmcnt(6)
	v_pk_fma_f16 v3, v6, v170, v3
	v_pk_fma_f16 v2, v6, v171, v2
	;; [unrolled: 1-line block ×4, first 2 shown]
	ds_read_b128 v[33:36], v114 offset:224
	v_pk_fma_f16 v5, v8, v172, v3
	v_pk_fma_f16 v8, v8, v173, v2
	;; [unrolled: 1-line block ×4, first 2 shown]
	ds_read2_b64 v[13:16], v131 offset1:32
	s_waitcnt lgkmcnt(6)
	v_pk_fma_f16 v5, v48, v153, v5
	v_pk_fma_f16 v8, v48, v174, v8
	;; [unrolled: 1-line block ×4, first 2 shown]
	ds_read2_b64 v[9:12], v131 offset0:64 offset1:96
	v_pk_fma_f16 v17, v50, v175, v5
	v_pk_fma_f16 v19, v50, v176, v8
	;; [unrolled: 1-line block ×4, first 2 shown]
	ds_read_b128 v[45:48], v114 offset:240
	v_pk_fma_f16 v17, v150, v177, v17
	v_pk_fma_f16 v49, v150, v178, v19
	;; [unrolled: 1-line block ×4, first 2 shown]
	ds_read2_b64 v[1:4], v131 offset0:128 offset1:160
	v_pk_fma_f16 v149, v152, v179, v17
	v_pk_fma_f16 v152, v152, v180, v49
	;; [unrolled: 1-line block ×4, first 2 shown]
	ds_read_b128 v[49:52], v114 offset:256
	s_waitcnt lgkmcnt(8)
	v_pk_fma_f16 v148, v54, v144, v149
	v_mul_u32_u24_sdwa v149, v38, v124 dst_sel:DWORD dst_unused:UNUSED_PAD src0_sel:WORD_0 src1_sel:DWORD
	v_pk_fma_f16 v144, v53, v144, v150
	v_pk_fma_f16 v54, v54, v37, v152
	;; [unrolled: 1-line block ×3, first 2 shown]
	v_mul_u32_u24_sdwa v38, v38, v124 dst_sel:DWORD dst_unused:UNUSED_PAD src0_sel:WORD_1 src1_sel:DWORD
	v_pk_fma_f16 v148, v56, v149, v148
	v_pk_fma_f16 v144, v55, v149, v144
	v_mul_u32_u24_sdwa v151, v40, v124 dst_sel:DWORD dst_unused:UNUSED_PAD src0_sel:WORD_0 src1_sel:DWORD
	v_mul_u32_u24_sdwa v152, v40, v124 dst_sel:DWORD dst_unused:UNUSED_PAD src0_sel:WORD_1 src1_sel:DWORD
	v_pk_fma_f16 v150, v56, v38, v54
	v_pk_fma_f16 v149, v55, v38, v37
	;; [unrolled: 1-line block ×4, first 2 shown]
	v_mul_u32_u24_sdwa v144, v41, v124 dst_sel:DWORD dst_unused:UNUSED_PAD src0_sel:WORD_0 src1_sel:DWORD
	v_pk_fma_f16 v30, v30, v147, v150
	v_pk_fma_f16 v29, v29, v147, v149
	;; [unrolled: 1-line block ×4, first 2 shown]
	v_mul_u32_u24_sdwa v41, v41, v124 dst_sel:DWORD dst_unused:UNUSED_PAD src0_sel:WORD_1 src1_sel:DWORD
	v_mul_u32_u24_sdwa v148, v42, v124 dst_sel:DWORD dst_unused:UNUSED_PAD src0_sel:WORD_0 src1_sel:DWORD
	v_pk_fma_f16 v149, v32, v152, v30
	v_pk_fma_f16 v150, v31, v152, v29
	s_waitcnt lgkmcnt(7)
	v_pk_fma_f16 v147, v26, v144, v147
	v_pk_fma_f16 v142, v25, v144, v142
	v_mul_u32_u24_sdwa v42, v42, v124 dst_sel:DWORD dst_unused:UNUSED_PAD src0_sel:WORD_1 src1_sel:DWORD
	v_mul_u32_u24_sdwa v151, v43, v124 dst_sel:DWORD dst_unused:UNUSED_PAD src0_sel:WORD_0 src1_sel:DWORD
	v_pk_fma_f16 v26, v26, v41, v149
	v_pk_fma_f16 v25, v25, v41, v150
	;; [unrolled: 1-line block ×4, first 2 shown]
	v_mul_u32_u24_sdwa v43, v43, v124 dst_sel:DWORD dst_unused:UNUSED_PAD src0_sel:WORD_1 src1_sel:DWORD
	v_mul_u32_u24_sdwa v152, v44, v124 dst_sel:DWORD dst_unused:UNUSED_PAD src0_sel:WORD_0 src1_sel:DWORD
	v_pk_fma_f16 v148, v28, v42, v26
	v_pk_fma_f16 v42, v27, v42, v25
	s_waitcnt lgkmcnt(6)
	v_pk_fma_f16 v41, v22, v151, v41
	v_pk_fma_f16 v142, v21, v151, v142
	ds_read_b128 v[37:40], v114 offset:272
	v_mul_u32_u24_sdwa v44, v44, v124 dst_sel:DWORD dst_unused:UNUSED_PAD src0_sel:WORD_1 src1_sel:DWORD
	s_waitcnt lgkmcnt(6)
	v_mul_u32_u24_sdwa v144, v33, v124 dst_sel:DWORD dst_unused:UNUSED_PAD src0_sel:WORD_0 src1_sel:DWORD
	v_pk_fma_f16 v22, v22, v43, v148
	v_pk_fma_f16 v21, v21, v43, v42
	;; [unrolled: 1-line block ×4, first 2 shown]
	v_mul_u32_u24_sdwa v33, v33, v124 dst_sel:DWORD dst_unused:UNUSED_PAD src0_sel:WORD_1 src1_sel:DWORD
	v_mul_u32_u24_sdwa v147, v34, v124 dst_sel:DWORD dst_unused:UNUSED_PAD src0_sel:WORD_0 src1_sel:DWORD
	v_pk_fma_f16 v142, v24, v44, v22
	v_pk_fma_f16 v44, v23, v44, v21
	s_waitcnt lgkmcnt(5)
	v_pk_fma_f16 v41, v14, v144, v41
	v_pk_fma_f16 v43, v13, v144, v43
	v_mul_u32_u24_sdwa v34, v34, v124 dst_sel:DWORD dst_unused:UNUSED_PAD src0_sel:WORD_1 src1_sel:DWORD
	v_mul_u32_u24_sdwa v149, v35, v124 dst_sel:DWORD dst_unused:UNUSED_PAD src0_sel:WORD_0 src1_sel:DWORD
	v_pk_fma_f16 v14, v14, v33, v142
	v_pk_fma_f16 v13, v13, v33, v44
	;; [unrolled: 1-line block ×4, first 2 shown]
	ds_read2_b64 v[5:8], v131 offset0:192 offset1:224
	v_mul_u32_u24_sdwa v35, v35, v124 dst_sel:DWORD dst_unused:UNUSED_PAD src0_sel:WORD_1 src1_sel:DWORD
	v_mul_u32_u24_sdwa v150, v36, v124 dst_sel:DWORD dst_unused:UNUSED_PAD src0_sel:WORD_0 src1_sel:DWORD
	s_waitcnt lgkmcnt(2)
	v_mul_u32_u24_sdwa v144, v49, v124 dst_sel:DWORD dst_unused:UNUSED_PAD src0_sel:WORD_0 src1_sel:DWORD
	v_mul_u32_u24_sdwa v33, v49, v124 dst_sel:DWORD dst_unused:UNUSED_PAD src0_sel:WORD_1 src1_sel:DWORD
	v_pk_fma_f16 v49, v16, v34, v14
	v_pk_fma_f16 v34, v15, v34, v13
	;; [unrolled: 1-line block ×4, first 2 shown]
	v_mul_u32_u24_sdwa v36, v36, v124 dst_sel:DWORD dst_unused:UNUSED_PAD src0_sel:WORD_1 src1_sel:DWORD
	v_mul_u32_u24_sdwa v151, v45, v124 dst_sel:DWORD dst_unused:UNUSED_PAD src0_sel:WORD_0 src1_sel:DWORD
	s_waitcnt lgkmcnt(1)
	v_mul_u32_u24_sdwa v149, v37, v124 dst_sel:DWORD dst_unused:UNUSED_PAD src0_sel:WORD_0 src1_sel:DWORD
	v_pk_fma_f16 v10, v10, v35, v49
	v_pk_fma_f16 v9, v9, v35, v34
	v_mul_u32_u24_sdwa v34, v37, v124 dst_sel:DWORD dst_unused:UNUSED_PAD src0_sel:WORD_1 src1_sel:DWORD
	v_pk_fma_f16 v35, v12, v150, v41
	v_pk_fma_f16 v37, v11, v150, v43
	ds_read2_b64 v[17:20], v132 offset1:32
	v_mul_u32_u24_sdwa v42, v45, v124 dst_sel:DWORD dst_unused:UNUSED_PAD src0_sel:WORD_1 src1_sel:DWORD
	v_mul_u32_u24_sdwa v45, v46, v124 dst_sel:DWORD dst_unused:UNUSED_PAD src0_sel:WORD_0 src1_sel:DWORD
	v_pk_fma_f16 v43, v12, v36, v10
	v_pk_fma_f16 v36, v11, v36, v9
	;; [unrolled: 1-line block ×4, first 2 shown]
	v_mul_u32_u24_sdwa v46, v46, v124 dst_sel:DWORD dst_unused:UNUSED_PAD src0_sel:WORD_1 src1_sel:DWORD
	v_mul_u32_u24_sdwa v148, v47, v124 dst_sel:DWORD dst_unused:UNUSED_PAD src0_sel:WORD_0 src1_sel:DWORD
	v_pk_fma_f16 v2, v2, v42, v43
	v_pk_fma_f16 v1, v1, v42, v36
	v_pk_fma_f16 v35, v4, v45, v35
	v_pk_fma_f16 v36, v3, v45, v37
	ds_read2_b64 v[53:56], v132 offset0:64 offset1:96
	v_mul_u32_u24_sdwa v47, v47, v124 dst_sel:DWORD dst_unused:UNUSED_PAD src0_sel:WORD_1 src1_sel:DWORD
	v_mul_u32_u24_sdwa v152, v48, v124 dst_sel:DWORD dst_unused:UNUSED_PAD src0_sel:WORD_0 src1_sel:DWORD
	ds_read_b128 v[21:24], v114 offset:320
	ds_read_b128 v[13:16], v114 offset:336
	v_pk_fma_f16 v42, v4, v46, v2
	v_pk_fma_f16 v43, v3, v46, v1
	s_waitcnt lgkmcnt(4)
	v_pk_fma_f16 v35, v6, v148, v35
	v_pk_fma_f16 v36, v5, v148, v36
	v_mul_u32_u24_sdwa v48, v48, v124 dst_sel:DWORD dst_unused:UNUSED_PAD src0_sel:WORD_1 src1_sel:DWORD
	v_pk_fma_f16 v6, v6, v47, v42
	v_pk_fma_f16 v5, v5, v47, v43
	;; [unrolled: 1-line block ×4, first 2 shown]
	v_mul_u32_u24_sdwa v44, v50, v124 dst_sel:DWORD dst_unused:UNUSED_PAD src0_sel:WORD_0 src1_sel:DWORD
	v_pk_fma_f16 v43, v8, v48, v6
	v_pk_fma_f16 v47, v7, v48, v5
	ds_read2_b64 v[5:8], v132 offset0:128 offset1:160
	s_waitcnt lgkmcnt(4)
	v_pk_fma_f16 v35, v18, v144, v35
	v_pk_fma_f16 v36, v17, v144, v36
	v_mul_u32_u24_sdwa v50, v50, v124 dst_sel:DWORD dst_unused:UNUSED_PAD src0_sel:WORD_1 src1_sel:DWORD
	v_mul_u32_u24_sdwa v142, v51, v124 dst_sel:DWORD dst_unused:UNUSED_PAD src0_sel:WORD_0 src1_sel:DWORD
	ds_read_b128 v[9:12], v114 offset:352
	ds_read_b128 v[1:4], v114 offset:368
	v_pk_fma_f16 v18, v18, v33, v43
	v_pk_fma_f16 v17, v17, v33, v47
	v_pk_fma_f16 v33, v20, v44, v35
	v_pk_fma_f16 v35, v19, v44, v36
	v_mul_u32_u24_sdwa v51, v51, v124 dst_sel:DWORD dst_unused:UNUSED_PAD src0_sel:WORD_1 src1_sel:DWORD
	v_mul_u32_u24_sdwa v147, v52, v124 dst_sel:DWORD dst_unused:UNUSED_PAD src0_sel:WORD_0 src1_sel:DWORD
	s_waitcnt lgkmcnt(4)
	v_mul_u32_u24_sdwa v36, v22, v124 dst_sel:DWORD dst_unused:UNUSED_PAD src0_sel:WORD_0 src1_sel:DWORD
	v_pk_fma_f16 v43, v20, v50, v18
	v_pk_fma_f16 v44, v19, v50, v17
	v_mul_u32_u24_sdwa v47, v22, v124 dst_sel:DWORD dst_unused:UNUSED_PAD src0_sel:WORD_1 src1_sel:DWORD
	v_mul_u32_u24_sdwa v50, v23, v124 dst_sel:DWORD dst_unused:UNUSED_PAD src0_sel:WORD_0 src1_sel:DWORD
	v_mul_u32_u24_sdwa v153, v23, v124 dst_sel:DWORD dst_unused:UNUSED_PAD src0_sel:WORD_1 src1_sel:DWORD
	ds_read2_b64 v[17:20], v132 offset0:192 offset1:224
	v_pk_fma_f16 v22, v54, v142, v33
	v_pk_fma_f16 v23, v53, v142, v35
	v_mul_u32_u24_sdwa v52, v52, v124 dst_sel:DWORD dst_unused:UNUSED_PAD src0_sel:WORD_1 src1_sel:DWORD
	v_mul_u32_u24_sdwa v154, v24, v124 dst_sel:DWORD dst_unused:UNUSED_PAD src0_sel:WORD_0 src1_sel:DWORD
	v_mul_u32_u24_sdwa v155, v24, v124 dst_sel:DWORD dst_unused:UNUSED_PAD src0_sel:WORD_1 src1_sel:DWORD
	v_pk_fma_f16 v24, v54, v51, v43
	v_pk_fma_f16 v35, v53, v51, v44
	;; [unrolled: 1-line block ×4, first 2 shown]
	ds_read_b128 v[29:32], v114 offset:288
	ds_read_b128 v[25:28], v114 offset:304
	v_mul_u32_u24_sdwa v41, v38, v124 dst_sel:DWORD dst_unused:UNUSED_PAD src0_sel:WORD_0 src1_sel:DWORD
	v_pk_fma_f16 v24, v56, v52, v24
	v_pk_fma_f16 v35, v55, v52, v35
	s_waitcnt lgkmcnt(5)
	v_pk_fma_f16 v22, v6, v149, v22
	v_pk_fma_f16 v23, v5, v149, v23
	v_mul_u32_u24_sdwa v38, v38, v124 dst_sel:DWORD dst_unused:UNUSED_PAD src0_sel:WORD_1 src1_sel:DWORD
	v_mul_u32_u24_sdwa v49, v39, v124 dst_sel:DWORD dst_unused:UNUSED_PAD src0_sel:WORD_0 src1_sel:DWORD
	v_mul_u32_u24_sdwa v33, v13, v124 dst_sel:DWORD dst_unused:UNUSED_PAD src0_sel:WORD_0 src1_sel:DWORD
	v_mul_u32_u24_sdwa v43, v13, v124 dst_sel:DWORD dst_unused:UNUSED_PAD src0_sel:WORD_1 src1_sel:DWORD
	v_mul_u32_u24_sdwa v44, v14, v124 dst_sel:DWORD dst_unused:UNUSED_PAD src0_sel:WORD_0 src1_sel:DWORD
	v_mul_u32_u24_sdwa v51, v14, v124 dst_sel:DWORD dst_unused:UNUSED_PAD src0_sel:WORD_1 src1_sel:DWORD
	;; [unrolled: 2-line block ×4, first 2 shown]
	ds_read2_b64 v[13:16], v133 offset1:32
	s_waitcnt lgkmcnt(5)
	v_mul_u32_u24_sdwa v56, v9, v124 dst_sel:DWORD dst_unused:UNUSED_PAD src0_sel:WORD_0 src1_sel:DWORD
	v_pk_fma_f16 v6, v6, v34, v24
	v_pk_fma_f16 v5, v5, v34, v35
	v_mul_u32_u24_sdwa v142, v9, v124 dst_sel:DWORD dst_unused:UNUSED_PAD src0_sel:WORD_1 src1_sel:DWORD
	v_pk_fma_f16 v9, v8, v41, v22
	v_pk_fma_f16 v22, v7, v41, v23
	v_mul_u32_u24_sdwa v150, v40, v124 dst_sel:DWORD dst_unused:UNUSED_PAD src0_sel:WORD_0 src1_sel:DWORD
	v_mul_u32_u24_sdwa v41, v10, v124 dst_sel:DWORD dst_unused:UNUSED_PAD src0_sel:WORD_0 src1_sel:DWORD
	v_pk_fma_f16 v23, v8, v38, v6
	v_pk_fma_f16 v24, v7, v38, v5
	v_mul_u32_u24_sdwa v147, v10, v124 dst_sel:DWORD dst_unused:UNUSED_PAD src0_sel:WORD_1 src1_sel:DWORD
	ds_read_b128 v[5:8], v114 offset:384
	s_waitcnt lgkmcnt(4)
	v_pk_fma_f16 v9, v18, v49, v9
	v_pk_fma_f16 v10, v17, v49, v22
	v_mul_u32_u24_sdwa v39, v39, v124 dst_sel:DWORD dst_unused:UNUSED_PAD src0_sel:WORD_1 src1_sel:DWORD
	v_mul_u32_u24_sdwa v49, v1, v124 dst_sel:DWORD dst_unused:UNUSED_PAD src0_sel:WORD_0 src1_sel:DWORD
	v_mul_u32_u24_sdwa v159, v1, v124 dst_sel:DWORD dst_unused:UNUSED_PAD src0_sel:WORD_1 src1_sel:DWORD
	v_pk_fma_f16 v9, v20, v150, v9
	v_pk_fma_f16 v10, v19, v150, v10
	v_mul_u32_u24_sdwa v150, v2, v124 dst_sel:DWORD dst_unused:UNUSED_PAD src0_sel:WORD_0 src1_sel:DWORD
	v_mul_u32_u24_sdwa v160, v2, v124 dst_sel:DWORD dst_unused:UNUSED_PAD src0_sel:WORD_1 src1_sel:DWORD
	v_mul_u32_u24_sdwa v161, v3, v124 dst_sel:DWORD dst_unused:UNUSED_PAD src0_sel:WORD_0 src1_sel:DWORD
	v_mul_u32_u24_sdwa v162, v3, v124 dst_sel:DWORD dst_unused:UNUSED_PAD src0_sel:WORD_1 src1_sel:DWORD
	;; [unrolled: 2-line block ×3, first 2 shown]
	ds_read2_b64 v[1:4], v133 offset0:64 offset1:96
	v_mul_u32_u24_sdwa v40, v40, v124 dst_sel:DWORD dst_unused:UNUSED_PAD src0_sel:WORD_1 src1_sel:DWORD
	s_waitcnt lgkmcnt(4)
	v_mul_u32_u24_sdwa v151, v29, v124 dst_sel:DWORD dst_unused:UNUSED_PAD src0_sel:WORD_0 src1_sel:DWORD
	v_mul_u32_u24_sdwa v149, v11, v124 dst_sel:DWORD dst_unused:UNUSED_PAD src0_sel:WORD_0 src1_sel:DWORD
	v_mul_u32_u24_sdwa v156, v11, v124 dst_sel:DWORD dst_unused:UNUSED_PAD src0_sel:WORD_1 src1_sel:DWORD
	v_mul_u32_u24_sdwa v157, v12, v124 dst_sel:DWORD dst_unused:UNUSED_PAD src0_sel:WORD_0 src1_sel:DWORD
	v_mul_u32_u24_sdwa v158, v12, v124 dst_sel:DWORD dst_unused:UNUSED_PAD src0_sel:WORD_1 src1_sel:DWORD
	v_pk_fma_f16 v11, v18, v39, v23
	v_pk_fma_f16 v12, v17, v39, v24
	v_mul_u32_u24_sdwa v29, v29, v124 dst_sel:DWORD dst_unused:UNUSED_PAD src0_sel:WORD_1 src1_sel:DWORD
	v_mul_u32_u24_sdwa v37, v30, v124 dst_sel:DWORD dst_unused:UNUSED_PAD src0_sel:WORD_0 src1_sel:DWORD
	s_waitcnt lgkmcnt(2)
	v_pk_fma_f16 v9, v14, v151, v9
	v_pk_fma_f16 v11, v20, v40, v11
	;; [unrolled: 1-line block ×4, first 2 shown]
	v_mul_u32_u24_sdwa v30, v30, v124 dst_sel:DWORD dst_unused:UNUSED_PAD src0_sel:WORD_1 src1_sel:DWORD
	v_mul_u32_u24_sdwa v45, v31, v124 dst_sel:DWORD dst_unused:UNUSED_PAD src0_sel:WORD_0 src1_sel:DWORD
	s_waitcnt lgkmcnt(1)
	v_mul_u32_u24_sdwa v151, v5, v124 dst_sel:DWORD dst_unused:UNUSED_PAD src0_sel:WORD_0 src1_sel:DWORD
	v_pk_fma_f16 v11, v14, v29, v11
	v_pk_fma_f16 v12, v13, v29, v12
	v_mul_u32_u24_sdwa v165, v5, v124 dst_sel:DWORD dst_unused:UNUSED_PAD src0_sel:WORD_1 src1_sel:DWORD
	v_pk_fma_f16 v9, v16, v37, v9
	v_pk_fma_f16 v10, v15, v37, v10
	v_mul_u32_u24_sdwa v166, v6, v124 dst_sel:DWORD dst_unused:UNUSED_PAD src0_sel:WORD_0 src1_sel:DWORD
	v_mul_u32_u24_sdwa v167, v6, v124 dst_sel:DWORD dst_unused:UNUSED_PAD src0_sel:WORD_1 src1_sel:DWORD
	v_mul_u32_u24_sdwa v168, v7, v124 dst_sel:DWORD dst_unused:UNUSED_PAD src0_sel:WORD_0 src1_sel:DWORD
	v_mul_u32_u24_sdwa v169, v7, v124 dst_sel:DWORD dst_unused:UNUSED_PAD src0_sel:WORD_1 src1_sel:DWORD
	;; [unrolled: 2-line block ×3, first 2 shown]
	ds_read2_b64 v[5:8], v133 offset0:128 offset1:160
	v_mul_u32_u24_sdwa v31, v31, v124 dst_sel:DWORD dst_unused:UNUSED_PAD src0_sel:WORD_1 src1_sel:DWORD
	v_mul_u32_u24_sdwa v46, v32, v124 dst_sel:DWORD dst_unused:UNUSED_PAD src0_sel:WORD_0 src1_sel:DWORD
	v_pk_fma_f16 v11, v16, v30, v11
	v_pk_fma_f16 v12, v15, v30, v12
	s_waitcnt lgkmcnt(1)
	v_pk_fma_f16 v9, v2, v45, v9
	v_pk_fma_f16 v10, v1, v45, v10
	v_mul_u32_u24_sdwa v32, v32, v124 dst_sel:DWORD dst_unused:UNUSED_PAD src0_sel:WORD_1 src1_sel:DWORD
	v_pk_fma_f16 v2, v2, v31, v11
	v_pk_fma_f16 v1, v1, v31, v12
	;; [unrolled: 1-line block ×4, first 2 shown]
	ds_read2_b64 v[9:12], v133 offset0:192 offset1:224
	v_mul_u32_u24_sdwa v148, v25, v124 dst_sel:DWORD dst_unused:UNUSED_PAD src0_sel:WORD_0 src1_sel:DWORD
	v_mul_u32_u24_sdwa v25, v25, v124 dst_sel:DWORD dst_unused:UNUSED_PAD src0_sel:WORD_1 src1_sel:DWORD
	v_pk_fma_f16 v15, v4, v32, v2
	v_mul_u32_u24_sdwa v42, v26, v124 dst_sel:DWORD dst_unused:UNUSED_PAD src0_sel:WORD_0 src1_sel:DWORD
	v_mul_u32_u24_sdwa v26, v26, v124 dst_sel:DWORD dst_unused:UNUSED_PAD src0_sel:WORD_1 src1_sel:DWORD
	v_pk_fma_f16 v16, v3, v32, v1
	ds_read2_b64 v[1:4], v134 offset1:32
	s_waitcnt lgkmcnt(2)
	v_pk_fma_f16 v13, v6, v148, v13
	v_pk_fma_f16 v6, v6, v25, v15
	;; [unrolled: 1-line block ×3, first 2 shown]
	v_mul_u32_u24_sdwa v48, v27, v124 dst_sel:DWORD dst_unused:UNUSED_PAD src0_sel:WORD_0 src1_sel:DWORD
	v_mul_u32_u24_sdwa v27, v27, v124 dst_sel:DWORD dst_unused:UNUSED_PAD src0_sel:WORD_1 src1_sel:DWORD
	v_pk_fma_f16 v5, v5, v25, v16
	v_pk_fma_f16 v17, v8, v42, v13
	;; [unrolled: 1-line block ×4, first 2 shown]
	v_mul_u32_u24_sdwa v152, v28, v124 dst_sel:DWORD dst_unused:UNUSED_PAD src0_sel:WORD_0 src1_sel:DWORD
	v_mul_u32_u24_sdwa v28, v28, v124 dst_sel:DWORD dst_unused:UNUSED_PAD src0_sel:WORD_1 src1_sel:DWORD
	ds_read2_b64 v[13:16], v134 offset0:64 offset1:96
	v_pk_fma_f16 v20, v7, v26, v5
	s_waitcnt lgkmcnt(2)
	v_pk_fma_f16 v17, v10, v48, v17
	v_pk_fma_f16 v10, v10, v27, v19
	;; [unrolled: 1-line block ×3, first 2 shown]
	v_mul_u32_u24_sdwa v144, v21, v124 dst_sel:DWORD dst_unused:UNUSED_PAD src0_sel:WORD_0 src1_sel:DWORD
	v_mul_u32_u24_sdwa v21, v21, v124 dst_sel:DWORD dst_unused:UNUSED_PAD src0_sel:WORD_1 src1_sel:DWORD
	v_pk_fma_f16 v9, v9, v27, v20
	v_pk_fma_f16 v22, v12, v152, v17
	v_pk_fma_f16 v23, v11, v152, v18
	v_pk_fma_f16 v24, v12, v28, v10
	ds_read2_b64 v[5:8], v134 offset0:128 offset1:160
	v_pk_fma_f16 v25, v11, v28, v9
	s_waitcnt lgkmcnt(2)
	v_pk_fma_f16 v22, v2, v144, v22
	v_pk_fma_f16 v23, v1, v144, v23
	;; [unrolled: 1-line block ×3, first 2 shown]
	ds_read2_b64 v[17:20], v134 offset0:192 offset1:224
	v_pk_fma_f16 v1, v1, v21, v25
	v_pk_fma_f16 v25, v4, v36, v22
	;; [unrolled: 1-line block ×4, first 2 shown]
	ds_read2_b64 v[9:12], v135 offset1:32
	v_pk_fma_f16 v28, v3, v47, v1
	s_waitcnt lgkmcnt(3)
	v_pk_fma_f16 v25, v14, v50, v25
	v_pk_fma_f16 v26, v13, v50, v26
	;; [unrolled: 1-line block ×3, first 2 shown]
	ds_read2_b64 v[21:24], v135 offset0:64 offset1:96
	v_pk_fma_f16 v13, v13, v153, v28
	v_pk_fma_f16 v29, v16, v154, v25
	;; [unrolled: 1-line block ×4, first 2 shown]
	ds_read2_b64 v[1:4], v135 offset0:128 offset1:160
	v_pk_fma_f16 v32, v15, v155, v13
	s_waitcnt lgkmcnt(4)
	v_pk_fma_f16 v29, v6, v33, v29
	v_pk_fma_f16 v30, v5, v33, v30
	;; [unrolled: 1-line block ×3, first 2 shown]
	ds_read2_b64 v[25:28], v135 offset0:192 offset1:224
	v_pk_fma_f16 v5, v5, v43, v32
	v_pk_fma_f16 v33, v8, v44, v29
	;; [unrolled: 1-line block ×4, first 2 shown]
	ds_read2_b64 v[13:16], v136 offset1:32
	v_pk_fma_f16 v36, v7, v51, v5
	s_waitcnt lgkmcnt(5)
	v_pk_fma_f16 v33, v18, v52, v33
	v_pk_fma_f16 v34, v17, v52, v34
	;; [unrolled: 1-line block ×3, first 2 shown]
	ds_read2_b64 v[29:32], v136 offset0:64 offset1:96
	v_pk_fma_f16 v17, v17, v53, v36
	v_pk_fma_f16 v42, v20, v54, v33
	;; [unrolled: 1-line block ×4, first 2 shown]
	ds_read_b128 v[33:36], v114 offset:400
	v_pk_fma_f16 v17, v19, v55, v17
	s_waitcnt lgkmcnt(6)
	v_pk_fma_f16 v19, v10, v56, v42
	ds_read2_b64 v[5:8], v136 offset0:128 offset1:160
	v_pk_fma_f16 v10, v10, v142, v18
	v_pk_fma_f16 v18, v9, v56, v43
	;; [unrolled: 1-line block ×4, first 2 shown]
	ds_read2_b64 v[37:40], v136 offset0:192 offset1:224
	v_pk_fma_f16 v19, v12, v147, v10
	v_pk_fma_f16 v18, v11, v41, v18
	;; [unrolled: 1-line block ×3, first 2 shown]
	s_waitcnt lgkmcnt(7)
	v_pk_fma_f16 v17, v22, v149, v17
	ds_read_b128 v[9:12], v114 offset:416
	v_pk_fma_f16 v19, v22, v156, v19
	v_pk_fma_f16 v18, v21, v149, v18
	;; [unrolled: 1-line block ×4, first 2 shown]
	ds_read2_b64 v[41:44], v137 offset1:32
	v_pk_fma_f16 v19, v24, v158, v19
	v_pk_fma_f16 v18, v23, v157, v18
	;; [unrolled: 1-line block ×3, first 2 shown]
	s_waitcnt lgkmcnt(8)
	v_pk_fma_f16 v17, v2, v49, v17
	s_waitcnt lgkmcnt(4)
	v_mul_u32_u24_sdwa v142, v33, v124 dst_sel:DWORD dst_unused:UNUSED_PAD src0_sel:WORD_0 src1_sel:DWORD
	v_pk_fma_f16 v2, v2, v159, v19
	v_pk_fma_f16 v18, v1, v49, v18
	;; [unrolled: 1-line block ×4, first 2 shown]
	v_mul_u32_u24_sdwa v33, v33, v124 dst_sel:DWORD dst_unused:UNUSED_PAD src0_sel:WORD_1 src1_sel:DWORD
	v_pk_fma_f16 v19, v4, v160, v2
	v_pk_fma_f16 v18, v3, v150, v18
	;; [unrolled: 1-line block ×4, first 2 shown]
	ds_read2_b64 v[45:48], v137 offset0:64 offset1:96
	v_pk_fma_f16 v19, v26, v162, v19
	v_pk_fma_f16 v18, v25, v161, v18
	;; [unrolled: 1-line block ×4, first 2 shown]
	ds_read_b128 v[49:52], v114 offset:432
	v_pk_fma_f16 v19, v28, v164, v19
	v_pk_fma_f16 v18, v27, v163, v18
	;; [unrolled: 1-line block ×4, first 2 shown]
	ds_read2_b64 v[20:23], v137 offset0:128 offset1:160
	v_pk_fma_f16 v14, v14, v165, v19
	v_pk_fma_f16 v18, v13, v151, v18
	;; [unrolled: 1-line block ×4, first 2 shown]
	ds_read2_b64 v[1:4], v137 offset0:192 offset1:224
	v_pk_fma_f16 v19, v16, v167, v14
	v_pk_fma_f16 v18, v15, v166, v18
	;; [unrolled: 1-line block ×4, first 2 shown]
	ds_read_b128 v[24:27], v114 offset:448
	v_pk_fma_f16 v19, v30, v169, v19
	v_pk_fma_f16 v18, v29, v168, v18
	;; [unrolled: 1-line block ×4, first 2 shown]
	ds_read2_b64 v[53:56], v138 offset1:32
	v_pk_fma_f16 v19, v32, v171, v19
	v_pk_fma_f16 v18, v31, v170, v18
	;; [unrolled: 1-line block ×3, first 2 shown]
	s_waitcnt lgkmcnt(9)
	v_pk_fma_f16 v17, v6, v142, v17
	ds_read2_b64 v[146:149], v138 offset0:64 offset1:96
	v_pk_fma_f16 v6, v6, v33, v19
	v_pk_fma_f16 v18, v5, v142, v18
	v_mul_u32_u24_sdwa v19, v34, v124 dst_sel:DWORD dst_unused:UNUSED_PAD src0_sel:WORD_0 src1_sel:DWORD
	v_pk_fma_f16 v5, v5, v33, v32
	v_mul_u32_u24_sdwa v32, v35, v124 dst_sel:DWORD dst_unused:UNUSED_PAD src0_sel:WORD_0 src1_sel:DWORD
	ds_read_b128 v[150:153], v114 offset:464
	ds_read2_b64 v[13:16], v138 offset0:128 offset1:160
	v_pk_fma_f16 v17, v8, v19, v17
	v_pk_fma_f16 v18, v7, v19, v18
	v_mul_u32_u24_sdwa v19, v34, v124 dst_sel:DWORD dst_unused:UNUSED_PAD src0_sel:WORD_1 src1_sel:DWORD
	ds_read2_b64 v[28:31], v138 offset0:192 offset1:224
	s_waitcnt lgkmcnt(12)
	v_pk_fma_f16 v17, v38, v32, v17
	v_pk_fma_f16 v18, v37, v32, v18
	;; [unrolled: 1-line block ×4, first 2 shown]
	v_mov_b32_e32 v19, v141
	v_mul_u32_u24_sdwa v141, v35, v124 dst_sel:DWORD dst_unused:UNUSED_PAD src0_sel:WORD_1 src1_sel:DWORD
	ds_read_b128 v[32:35], v114 offset:480
	ds_read2_b64 v[5:8], v139 offset1:32
	v_fmac_f32_e32 v19, v145, v143
	v_mul_u32_u24_sdwa v143, v36, v124 dst_sel:DWORD dst_unused:UNUSED_PAD src0_sel:WORD_0 src1_sel:DWORD
	v_mul_u32_u24_sdwa v36, v36, v124 dst_sel:DWORD dst_unused:UNUSED_PAD src0_sel:WORD_1 src1_sel:DWORD
	v_pk_fma_f16 v38, v38, v141, v142
	v_pk_fma_f16 v37, v37, v141, v144
	s_waitcnt lgkmcnt(13)
	v_mul_u32_u24_sdwa v141, v9, v124 dst_sel:DWORD dst_unused:UNUSED_PAD src0_sel:WORD_0 src1_sel:DWORD
	v_pk_fma_f16 v17, v40, v143, v17
	v_pk_fma_f16 v18, v39, v143, v18
	v_mul_u32_u24_sdwa v142, v9, v124 dst_sel:DWORD dst_unused:UNUSED_PAD src0_sel:WORD_1 src1_sel:DWORD
	v_pk_fma_f16 v38, v40, v36, v38
	v_pk_fma_f16 v36, v39, v36, v37
	v_mul_u32_u24_sdwa v37, v10, v124 dst_sel:DWORD dst_unused:UNUSED_PAD src0_sel:WORD_0 src1_sel:DWORD
	v_mul_u32_u24_sdwa v39, v10, v124 dst_sel:DWORD dst_unused:UNUSED_PAD src0_sel:WORD_1 src1_sel:DWORD
	s_waitcnt lgkmcnt(12)
	v_pk_fma_f16 v17, v42, v141, v17
	v_pk_fma_f16 v18, v41, v141, v18
	v_pk_fma_f16 v38, v42, v142, v38
	v_pk_fma_f16 v36, v41, v142, v36
	v_mul_u32_u24_sdwa v40, v11, v124 dst_sel:DWORD dst_unused:UNUSED_PAD src0_sel:WORD_0 src1_sel:DWORD
	v_mul_u32_u24_sdwa v143, v11, v124 dst_sel:DWORD dst_unused:UNUSED_PAD src0_sel:WORD_1 src1_sel:DWORD
	v_pk_fma_f16 v17, v44, v37, v17
	v_pk_fma_f16 v18, v43, v37, v18
	v_pk_fma_f16 v44, v44, v39, v38
	v_pk_fma_f16 v43, v43, v39, v36
	v_mul_u32_u24_sdwa v144, v12, v124 dst_sel:DWORD dst_unused:UNUSED_PAD src0_sel:WORD_0 src1_sel:DWORD
	v_mul_u32_u24_sdwa v145, v12, v124 dst_sel:DWORD dst_unused:UNUSED_PAD src0_sel:WORD_1 src1_sel:DWORD
	s_waitcnt lgkmcnt(11)
	v_pk_fma_f16 v17, v46, v40, v17
	v_pk_fma_f16 v18, v45, v40, v18
	v_pk_fma_f16 v40, v46, v143, v44
	v_pk_fma_f16 v43, v45, v143, v43
	s_waitcnt lgkmcnt(10)
	v_mul_u32_u24_sdwa v41, v49, v124 dst_sel:DWORD dst_unused:UNUSED_PAD src0_sel:WORD_0 src1_sel:DWORD
	v_mul_u32_u24_sdwa v42, v49, v124 dst_sel:DWORD dst_unused:UNUSED_PAD src0_sel:WORD_1 src1_sel:DWORD
	v_pk_fma_f16 v17, v48, v144, v17
	v_pk_fma_f16 v18, v47, v144, v18
	v_pk_fma_f16 v40, v48, v145, v40
	v_pk_fma_f16 v43, v47, v145, v43
	v_mul_u32_u24_sdwa v49, v50, v124 dst_sel:DWORD dst_unused:UNUSED_PAD src0_sel:WORD_0 src1_sel:DWORD
	v_mul_u32_u24_sdwa v50, v50, v124 dst_sel:DWORD dst_unused:UNUSED_PAD src0_sel:WORD_1 src1_sel:DWORD
	s_waitcnt lgkmcnt(9)
	v_pk_fma_f16 v17, v21, v41, v17
	v_pk_fma_f16 v18, v20, v41, v18
	v_pk_fma_f16 v21, v21, v42, v40
	v_pk_fma_f16 v20, v20, v42, v43
	v_mul_u32_u24_sdwa v141, v51, v124 dst_sel:DWORD dst_unused:UNUSED_PAD src0_sel:WORD_0 src1_sel:DWORD
	v_mul_u32_u24_sdwa v51, v51, v124 dst_sel:DWORD dst_unused:UNUSED_PAD src0_sel:WORD_1 src1_sel:DWORD
	v_pk_fma_f16 v17, v23, v49, v17
	v_pk_fma_f16 v18, v22, v49, v18
	v_pk_fma_f16 v21, v23, v50, v21
	v_pk_fma_f16 v20, v22, v50, v20
	v_mul_u32_u24_sdwa v142, v52, v124 dst_sel:DWORD dst_unused:UNUSED_PAD src0_sel:WORD_0 src1_sel:DWORD
	v_mul_u32_u24_sdwa v52, v52, v124 dst_sel:DWORD dst_unused:UNUSED_PAD src0_sel:WORD_1 src1_sel:DWORD
	s_waitcnt lgkmcnt(8)
	v_pk_fma_f16 v17, v2, v141, v17
	v_pk_fma_f16 v18, v1, v141, v18
	v_pk_fma_f16 v2, v2, v51, v21
	v_pk_fma_f16 v1, v1, v51, v20
	s_waitcnt lgkmcnt(7)
	v_mul_u32_u24_sdwa v44, v24, v124 dst_sel:DWORD dst_unused:UNUSED_PAD src0_sel:WORD_0 src1_sel:DWORD
	v_mul_u32_u24_sdwa v45, v24, v124 dst_sel:DWORD dst_unused:UNUSED_PAD src0_sel:WORD_1 src1_sel:DWORD
	v_pk_fma_f16 v17, v4, v142, v17
	v_pk_fma_f16 v18, v3, v142, v18
	;; [unrolled: 27-line block ×3, first 2 shown]
	v_pk_fma_f16 v17, v148, v144, v17
	v_pk_fma_f16 v1, v148, v145, v1
	v_mul_u32_u24_sdwa v22, v151, v124 dst_sel:DWORD dst_unused:UNUSED_PAD src0_sel:WORD_0 src1_sel:DWORD
	v_mul_u32_u24_sdwa v23, v151, v124 dst_sel:DWORD dst_unused:UNUSED_PAD src0_sel:WORD_1 src1_sel:DWORD
	s_waitcnt lgkmcnt(3)
	v_pk_fma_f16 v4, v14, v154, v4
	v_pk_fma_f16 v2, v14, v49, v2
	;; [unrolled: 1-line block ×4, first 2 shown]
	v_mul_u32_u24_sdwa v50, v152, v124 dst_sel:DWORD dst_unused:UNUSED_PAD src0_sel:WORD_0 src1_sel:DWORD
	v_mul_u32_u24_sdwa v150, v152, v124 dst_sel:DWORD dst_unused:UNUSED_PAD src0_sel:WORD_1 src1_sel:DWORD
	v_pk_fma_f16 v4, v16, v22, v4
	v_pk_fma_f16 v2, v16, v23, v2
	;; [unrolled: 1-line block ×4, first 2 shown]
	ds_read2_b64 v[9:12], v139 offset0:64 offset1:96
	v_mul_u32_u24_sdwa v151, v153, v124 dst_sel:DWORD dst_unused:UNUSED_PAD src0_sel:WORD_0 src1_sel:DWORD
	v_mul_u32_u24_sdwa v152, v153, v124 dst_sel:DWORD dst_unused:UNUSED_PAD src0_sel:WORD_1 src1_sel:DWORD
	s_waitcnt lgkmcnt(3)
	v_pk_fma_f16 v4, v29, v50, v4
	v_pk_fma_f16 v2, v29, v150, v2
	;; [unrolled: 1-line block ×4, first 2 shown]
	ds_read_b128 v[24:27], v114 offset:496
	s_waitcnt lgkmcnt(3)
	v_mul_u32_u24_sdwa v20, v32, v124 dst_sel:DWORD dst_unused:UNUSED_PAD src0_sel:WORD_0 src1_sel:DWORD
	v_mul_u32_u24_sdwa v21, v32, v124 dst_sel:DWORD dst_unused:UNUSED_PAD src0_sel:WORD_1 src1_sel:DWORD
	v_pk_fma_f16 v4, v31, v151, v4
	v_pk_fma_f16 v2, v31, v152, v2
	;; [unrolled: 1-line block ×4, first 2 shown]
	ds_read2_b64 v[36:39], v139 offset0:128 offset1:160
	v_mul_u32_u24_sdwa v3, v33, v124 dst_sel:DWORD dst_unused:UNUSED_PAD src0_sel:WORD_0 src1_sel:DWORD
	v_mul_u32_u24_sdwa v18, v33, v124 dst_sel:DWORD dst_unused:UNUSED_PAD src0_sel:WORD_1 src1_sel:DWORD
	s_waitcnt lgkmcnt(3)
	v_pk_fma_f16 v4, v6, v20, v4
	v_pk_fma_f16 v2, v6, v21, v2
	;; [unrolled: 1-line block ×4, first 2 shown]
	v_mul_u32_u24_sdwa v32, v34, v124 dst_sel:DWORD dst_unused:UNUSED_PAD src0_sel:WORD_0 src1_sel:DWORD
	v_mul_u32_u24_sdwa v33, v34, v124 dst_sel:DWORD dst_unused:UNUSED_PAD src0_sel:WORD_1 src1_sel:DWORD
	v_pk_fma_f16 v4, v8, v3, v4
	v_pk_fma_f16 v2, v8, v18, v2
	;; [unrolled: 1-line block ×4, first 2 shown]
	ds_read2_b64 v[40:43], v139 offset0:192 offset1:224
	v_mul_u32_u24_sdwa v34, v35, v124 dst_sel:DWORD dst_unused:UNUSED_PAD src0_sel:WORD_0 src1_sel:DWORD
	v_mul_u32_u24_sdwa v13, v35, v124 dst_sel:DWORD dst_unused:UNUSED_PAD src0_sel:WORD_1 src1_sel:DWORD
	s_waitcnt lgkmcnt(3)
	v_pk_fma_f16 v4, v10, v32, v4
	v_pk_fma_f16 v2, v10, v33, v2
	;; [unrolled: 1-line block ×4, first 2 shown]
	s_waitcnt lgkmcnt(0)
	s_barrier
	buffer_gl0_inv
	s_load_dword s0, s[22:23], 0x4
	v_mul_u32_u24_sdwa v15, v24, v124 dst_sel:DWORD dst_unused:UNUSED_PAD src0_sel:WORD_0 src1_sel:DWORD
	v_mul_u32_u24_sdwa v16, v24, v124 dst_sel:DWORD dst_unused:UNUSED_PAD src0_sel:WORD_1 src1_sel:DWORD
	v_pk_fma_f16 v4, v12, v34, v4
	v_pk_fma_f16 v2, v12, v13, v2
	v_pk_fma_f16 v3, v11, v34, v3
	v_pk_fma_f16 v1, v11, v13, v1
	v_mul_u32_u24_sdwa v17, v25, v124 dst_sel:DWORD dst_unused:UNUSED_PAD src0_sel:WORD_0 src1_sel:DWORD
	v_mul_u32_u24_sdwa v5, v25, v124 dst_sel:DWORD dst_unused:UNUSED_PAD src0_sel:WORD_1 src1_sel:DWORD
	v_pk_fma_f16 v4, v37, v15, v4
	v_pk_fma_f16 v2, v37, v16, v2
	v_pk_fma_f16 v3, v36, v15, v3
	v_pk_fma_f16 v1, v36, v16, v1
	;; [unrolled: 6-line block ×4, first 2 shown]
	s_waitcnt lgkmcnt(0)
	s_lshl_b32 s0, s0, 7
	v_pk_fma_f16 v22, v43, v8, v4
	v_pk_fma_f16 v20, v43, v9, v2
	;; [unrolled: 1-line block ×4, first 2 shown]
	s_add_i32 s26, s0, s26
	s_cmp_ge_i32 s26, s40
	s_cbranch_scc0 .LBB9_9
; %bb.10:
	v_mov_b32_e32 v4, v96
.LBB9_11:
	v_cmp_lt_i32_e32 vcc_lo, v105, v97
	s_cmp_lg_u64 s[24:25], 0
	s_cselect_b32 s0, -1, 0
	s_cmp_eq_u32 s34, 0
	v_cndmask_b32_e32 v1, v4, v105, vcc_lo
	v_cmp_lt_i32_e32 vcc_lo, v101, v97
	s_cselect_b32 s1, -1, 0
	s_and_b32 s0, s1, s0
	v_lshlrev_b32_e32 v1, 2, v1
	v_cndmask_b32_e32 v3, v4, v101, vcc_lo
	v_cmp_lt_i32_e32 vcc_lo, v100, v97
	ds_bpermute_b32 v2, v1, v140
	ds_bpermute_b32 v1, v1, v19
	v_lshlrev_b32_e32 v3, 2, v3
	v_cndmask_b32_e32 v6, v4, v100, vcc_lo
	v_cmp_lt_i32_e32 vcc_lo, v99, v97
	v_lshlrev_b32_e32 v6, 2, v6
	s_waitcnt lgkmcnt(1)
	v_add_f32_e32 v2, v140, v2
	s_waitcnt lgkmcnt(0)
	v_add_f32_e32 v1, v19, v1
	ds_bpermute_b32 v5, v3, v2
	ds_bpermute_b32 v3, v3, v1
	s_waitcnt lgkmcnt(1)
	v_add_f32_e32 v2, v2, v5
	s_waitcnt lgkmcnt(0)
	v_add_f32_e32 v1, v1, v3
	ds_bpermute_b32 v3, v6, v2
	ds_bpermute_b32 v5, v6, v1
	v_cndmask_b32_e32 v6, v4, v99, vcc_lo
	v_cmp_lt_i32_e32 vcc_lo, v98, v97
	v_lshlrev_b32_e32 v6, 2, v6
	v_cndmask_b32_e32 v4, v4, v98, vcc_lo
	s_and_b32 vcc_lo, exec_lo, s0
	v_lshlrev_b32_e32 v4, 2, v4
	s_waitcnt lgkmcnt(1)
	v_add_f32_e32 v2, v2, v3
	s_waitcnt lgkmcnt(0)
	v_add_f32_e32 v1, v1, v5
	ds_bpermute_b32 v3, v6, v2
	ds_bpermute_b32 v5, v6, v1
	s_waitcnt lgkmcnt(1)
	v_add_f32_e32 v2, v2, v3
	s_waitcnt lgkmcnt(0)
	v_add_f32_e32 v3, v1, v5
	ds_bpermute_b32 v1, v4, v2
	ds_bpermute_b32 v4, v4, v3
	s_waitcnt lgkmcnt(1)
	v_add_f32_e32 v1, v2, v1
	s_waitcnt lgkmcnt(0)
	v_add_f32_e32 v2, v3, v4
	s_cbranch_vccz .LBB9_14
; %bb.12:
	v_add_nc_u32_e32 v3, s35, v93
	v_max_f32_e32 v5, v91, v91
	v_max_f32_e32 v7, v92, v92
	v_ashrrev_i32_e32 v4, 31, v3
	v_lshlrev_b64 v[3:4], 2, v[3:4]
	v_add_co_u32 v3, vcc_lo, s24, v3
	v_add_co_ci_u32_e64 v4, null, s25, v4, vcc_lo
	global_load_dwordx2 v[3:4], v[3:4], off
	s_waitcnt vmcnt(0)
	v_max_f32_e32 v6, v3, v3
	v_max_f32_e32 v8, v4, v4
	;; [unrolled: 1-line block ×4, first 2 shown]
	v_sub_f32_e32 v7, v91, v5
	v_sub_f32_e32 v8, v92, v6
	;; [unrolled: 1-line block ×4, first 2 shown]
	v_mov_b32_e32 v92, v6
	v_mul_f32_e32 v9, 0x3fb8aa3b, v7
	v_mul_f32_e32 v11, 0x3fb8aa3b, v8
	;; [unrolled: 1-line block ×4, first 2 shown]
	v_cmp_ngt_f32_e32 vcc_lo, 0xc2ce8ed0, v7
	v_fma_f32 v13, 0x3fb8aa3b, v7, -v9
	v_rndne_f32_e32 v14, v9
	v_fma_f32 v17, 0x3fb8aa3b, v8, -v11
	v_rndne_f32_e32 v18, v11
	v_fma_f32 v15, 0x3fb8aa3b, v3, -v10
	v_fmac_f32_e32 v13, 0x32a5705f, v7
	v_sub_f32_e32 v9, v9, v14
	v_rndne_f32_e32 v16, v10
	v_fmac_f32_e32 v17, 0x32a5705f, v8
	v_sub_f32_e32 v11, v11, v18
	v_fmac_f32_e32 v15, 0x32a5705f, v3
	v_add_f32_e32 v9, v9, v13
	v_sub_f32_e32 v10, v10, v16
	v_cvt_i32_f32_e32 v13, v14
	v_add_f32_e32 v11, v11, v17
	v_fma_f32 v19, 0x3fb8aa3b, v4, -v12
	v_exp_f32_e32 v9, v9
	v_add_f32_e32 v10, v10, v15
	v_rndne_f32_e32 v24, v12
	v_exp_f32_e32 v11, v11
	v_cvt_i32_f32_e32 v15, v18
	v_fmac_f32_e32 v19, 0x32a5705f, v4
	v_exp_f32_e32 v10, v10
	v_sub_f32_e32 v12, v12, v24
	v_cvt_i32_f32_e32 v14, v16
	v_cvt_i32_f32_e32 v16, v24
	v_ldexp_f32 v9, v9, v13
	v_mov_b32_e32 v17, 0x10001
	v_add_f32_e32 v12, v12, v19
	v_ldexp_f32 v11, v11, v15
	v_mov_b32_e32 v91, v5
	v_cndmask_b32_e32 v9, 0, v9, vcc_lo
	v_cmp_ngt_f32_e32 vcc_lo, 0xc2ce8ed0, v8
	v_ldexp_f32 v10, v10, v14
	v_exp_f32_e32 v12, v12
	v_cndmask_b32_e32 v11, 0, v11, vcc_lo
	v_cmp_ngt_f32_e32 vcc_lo, 0xc2ce8ed0, v3
	v_cndmask_b32_e32 v10, 0, v10, vcc_lo
	v_cmp_nlt_f32_e32 vcc_lo, 0x42b17218, v7
	v_ldexp_f32 v12, v12, v16
	v_cndmask_b32_e32 v7, 0x7f800000, v9, vcc_lo
	v_cmp_nlt_f32_e32 vcc_lo, 0x42b17218, v8
	v_cndmask_b32_e32 v8, 0x7f800000, v11, vcc_lo
	v_cmp_ngt_f32_e32 vcc_lo, 0xc2ce8ed0, v4
	v_cvt_f16_f32_e32 v11, v8
	v_cndmask_b32_e32 v9, 0, v12, vcc_lo
	v_cmp_nlt_f32_e32 vcc_lo, 0x42b17218, v3
	v_mul_u32_u24_sdwa v5, v11, v17 dst_sel:DWORD dst_unused:UNUSED_PAD src0_sel:WORD_0 src1_sel:DWORD
	v_cndmask_b32_e32 v3, 0x7f800000, v10, vcc_lo
	v_cmp_nlt_f32_e32 vcc_lo, 0x42b17218, v4
	v_cvt_f16_f32_e32 v10, v7
	v_pk_mul_f16 v21, v21, v5
	v_pk_mul_f16 v20, v20, v5
	v_fmac_f32_e32 v3, v1, v7
	v_cndmask_b32_e32 v4, 0x7f800000, v9, vcc_lo
	v_mul_u32_u24_sdwa v7, v10, v17 dst_sel:DWORD dst_unused:UNUSED_PAD src0_sel:WORD_0 src1_sel:DWORD
	v_mov_b32_e32 v1, v3
	v_fmac_f32_e32 v4, v2, v8
	v_pk_mul_f16 v23, v23, v7
	v_pk_mul_f16 v22, v22, v7
	v_mov_b32_e32 v2, v4
	s_mov_b32 s0, exec_lo
	v_cmpx_gt_i32_e64 s38, v57
	s_cbranch_execnz .LBB9_15
.LBB9_13:
	s_endpgm
.LBB9_14:
	v_mov_b32_e32 v4, v2
	v_mov_b32_e32 v3, v1
	s_mov_b32 s0, exec_lo
	v_cmpx_gt_i32_e64 s38, v57
	s_cbranch_execz .LBB9_13
.LBB9_15:
	s_load_dword s1, s[4:5], 0xd4
	v_mov_b32_e32 v7, 1.0
	s_waitcnt lgkmcnt(0)
	s_cmp_lg_u32 s1, 1
	s_cselect_b32 s3, -1, 0
	s_cmp_eq_u32 s1, 1
	s_cselect_b32 s2, -1, 0
	s_and_b32 vcc_lo, exec_lo, s3
	s_cbranch_vccnz .LBB9_17
; %bb.16:
	v_div_scale_f32 v5, null, v1, v1, 1.0
	v_rcp_f32_e32 v6, v5
	v_fma_f32 v7, -v5, v6, 1.0
	v_fmac_f32_e32 v6, v7, v6
	v_div_scale_f32 v7, vcc_lo, 1.0, v1, 1.0
	v_mul_f32_e32 v8, v7, v6
	v_fma_f32 v9, -v5, v8, v7
	v_fmac_f32_e32 v8, v9, v6
	v_fma_f32 v5, -v5, v8, v7
	v_div_fmas_f32 v5, v5, v6, v8
	v_div_fixup_f32 v7, v5, v1, 1.0
.LBB9_17:
	v_mad_u64_u32 v[5:6], null, s33, s38, v[57:58]
	v_cmp_eq_u32_e32 vcc_lo, 0, v0
	v_cvt_f32_f16_sdwa v9, v23 dst_sel:DWORD dst_unused:UNUSED_PAD src0_sel:WORD_1
	v_cvt_f32_f16_e32 v10, v22
	v_cvt_f32_f16_sdwa v11, v22 dst_sel:DWORD dst_unused:UNUSED_PAD src0_sel:WORD_1
	v_mul_f32_e32 v9, v7, v9
	v_mul_lo_u32 v1, v5, s39
	v_mul_f32_e32 v10, v7, v10
	v_mul_f32_e32 v11, v7, v11
	v_add3_u32 v1, s35, v93, v1
	v_mad_u64_u32 v[5:6], null, s1, v1, s[34:35]
	v_mov_b32_e32 v1, 0
	v_cvt_f32_f16_e32 v6, v23
	v_mul_f32_e32 v8, v7, v6
	v_lshl_add_u32 v0, v5, 7, v94
	v_lshlrev_b64 v[0:1], 2, v[0:1]
	v_add_co_u32 v0, s0, s28, v0
	v_add_co_ci_u32_e64 v1, null, s29, v1, s0
	s_and_b32 s0, vcc_lo, s3
	global_store_dwordx4 v[0:1], v[8:11], off
	s_and_saveexec_b32 s3, s0
	s_cbranch_execz .LBB9_19
; %bb.18:
	v_ashrrev_i32_e32 v6, 31, v5
	v_mov_b32_e32 v7, v3
	v_lshlrev_b64 v[0:1], 3, v[5:6]
	v_mov_b32_e32 v6, v91
	v_add_co_u32 v0, vcc_lo, s30, v0
	v_add_co_ci_u32_e64 v1, null, s31, v1, vcc_lo
	global_store_dwordx2 v[0:1], v[6:7], off
.LBB9_19:
	s_or_b32 exec_lo, exec_lo, s3
	v_mov_b32_e32 v1, 1.0
	s_andn2_b32 vcc_lo, exec_lo, s2
	s_cbranch_vccnz .LBB9_21
; %bb.20:
	v_div_scale_f32 v0, null, v2, v2, 1.0
	v_rcp_f32_e32 v1, v0
	v_fma_f32 v3, -v0, v1, 1.0
	v_fmac_f32_e32 v1, v3, v1
	v_div_scale_f32 v3, vcc_lo, 1.0, v2, 1.0
	v_mul_f32_e32 v6, v3, v1
	v_fma_f32 v7, -v0, v6, v3
	v_fmac_f32_e32 v6, v7, v1
	v_fma_f32 v0, -v0, v6, v3
	v_div_fmas_f32 v0, v0, v1, v6
	v_div_fixup_f32 v1, v0, v2, 1.0
.LBB9_21:
	v_add_nc_u32_e32 v0, s1, v5
	v_mov_b32_e32 v3, 0
	v_cvt_f32_f16_e32 v5, v21
	v_cvt_f32_f16_sdwa v6, v21 dst_sel:DWORD dst_unused:UNUSED_PAD src0_sel:WORD_1
	v_cvt_f32_f16_e32 v7, v20
	v_lshl_add_u32 v2, v0, 7, v94
	v_cvt_f32_f16_sdwa v8, v20 dst_sel:DWORD dst_unused:UNUSED_PAD src0_sel:WORD_1
	v_mul_f32_e32 v5, v1, v5
	v_mul_f32_e32 v6, v1, v6
	;; [unrolled: 1-line block ×3, first 2 shown]
	v_lshlrev_b64 v[2:3], 2, v[2:3]
	v_mul_f32_e32 v8, v1, v8
	v_add_co_u32 v1, vcc_lo, s28, v2
	v_add_co_ci_u32_e64 v2, null, s29, v3, vcc_lo
	global_store_dwordx4 v[1:2], v[5:8], off
	s_and_b32 exec_lo, exec_lo, s0
	s_cbranch_execz .LBB9_13
; %bb.22:
	v_ashrrev_i32_e32 v1, 31, v0
	v_mov_b32_e32 v3, v92
	v_lshlrev_b64 v[0:1], 3, v[0:1]
	v_add_co_u32 v0, vcc_lo, s30, v0
	v_add_co_ci_u32_e64 v1, null, s31, v1, vcc_lo
	global_store_dwordx2 v[0:1], v[3:4], off
	s_endpgm
	.section	.rodata,"a",@progbits
	.p2align	6, 0x0
	.amdhsa_kernel _ZL15flash_attn_tileILi128ELi128ELi2ELi8ELb0EEvPKcS1_S1_S1_S1_PKiPfP15HIP_vector_typeIfLj2EEffffjfiS5_IjLj3EEiiiiiiiiiiiliiliiiiil
		.amdhsa_group_segment_fixed_size 43008
		.amdhsa_private_segment_fixed_size 0
		.amdhsa_kernarg_size 464
		.amdhsa_user_sgpr_count 6
		.amdhsa_user_sgpr_private_segment_buffer 1
		.amdhsa_user_sgpr_dispatch_ptr 0
		.amdhsa_user_sgpr_queue_ptr 0
		.amdhsa_user_sgpr_kernarg_segment_ptr 1
		.amdhsa_user_sgpr_dispatch_id 0
		.amdhsa_user_sgpr_flat_scratch_init 0
		.amdhsa_user_sgpr_private_segment_size 0
		.amdhsa_wavefront_size32 1
		.amdhsa_uses_dynamic_stack 0
		.amdhsa_system_sgpr_private_segment_wavefront_offset 0
		.amdhsa_system_sgpr_workgroup_id_x 1
		.amdhsa_system_sgpr_workgroup_id_y 1
		.amdhsa_system_sgpr_workgroup_id_z 1
		.amdhsa_system_sgpr_workgroup_info 0
		.amdhsa_system_vgpr_workitem_id 1
		.amdhsa_next_free_vgpr 181
		.amdhsa_next_free_sgpr 45
		.amdhsa_reserve_vcc 1
		.amdhsa_reserve_flat_scratch 0
		.amdhsa_float_round_mode_32 0
		.amdhsa_float_round_mode_16_64 0
		.amdhsa_float_denorm_mode_32 3
		.amdhsa_float_denorm_mode_16_64 3
		.amdhsa_dx10_clamp 1
		.amdhsa_ieee_mode 1
		.amdhsa_fp16_overflow 0
		.amdhsa_workgroup_processor_mode 1
		.amdhsa_memory_ordered 1
		.amdhsa_forward_progress 1
		.amdhsa_shared_vgpr_count 0
		.amdhsa_exception_fp_ieee_invalid_op 0
		.amdhsa_exception_fp_denorm_src 0
		.amdhsa_exception_fp_ieee_div_zero 0
		.amdhsa_exception_fp_ieee_overflow 0
		.amdhsa_exception_fp_ieee_underflow 0
		.amdhsa_exception_fp_ieee_inexact 0
		.amdhsa_exception_int_div_zero 0
	.end_amdhsa_kernel
	.section	.text._ZL15flash_attn_tileILi128ELi128ELi2ELi8ELb0EEvPKcS1_S1_S1_S1_PKiPfP15HIP_vector_typeIfLj2EEffffjfiS5_IjLj3EEiiiiiiiiiiiliiliiiiil,"axG",@progbits,_ZL15flash_attn_tileILi128ELi128ELi2ELi8ELb0EEvPKcS1_S1_S1_S1_PKiPfP15HIP_vector_typeIfLj2EEffffjfiS5_IjLj3EEiiiiiiiiiiiliiliiiiil,comdat
.Lfunc_end9:
	.size	_ZL15flash_attn_tileILi128ELi128ELi2ELi8ELb0EEvPKcS1_S1_S1_S1_PKiPfP15HIP_vector_typeIfLj2EEffffjfiS5_IjLj3EEiiiiiiiiiiiliiliiiiil, .Lfunc_end9-_ZL15flash_attn_tileILi128ELi128ELi2ELi8ELb0EEvPKcS1_S1_S1_S1_PKiPfP15HIP_vector_typeIfLj2EEffffjfiS5_IjLj3EEiiiiiiiiiiiliiliiiiil
                                        ; -- End function
	.set _ZL15flash_attn_tileILi128ELi128ELi2ELi8ELb0EEvPKcS1_S1_S1_S1_PKiPfP15HIP_vector_typeIfLj2EEffffjfiS5_IjLj3EEiiiiiiiiiiiliiliiiiil.num_vgpr, 181
	.set _ZL15flash_attn_tileILi128ELi128ELi2ELi8ELb0EEvPKcS1_S1_S1_S1_PKiPfP15HIP_vector_typeIfLj2EEffffjfiS5_IjLj3EEiiiiiiiiiiiliiliiiiil.num_agpr, 0
	.set _ZL15flash_attn_tileILi128ELi128ELi2ELi8ELb0EEvPKcS1_S1_S1_S1_PKiPfP15HIP_vector_typeIfLj2EEffffjfiS5_IjLj3EEiiiiiiiiiiiliiliiiiil.numbered_sgpr, 45
	.set _ZL15flash_attn_tileILi128ELi128ELi2ELi8ELb0EEvPKcS1_S1_S1_S1_PKiPfP15HIP_vector_typeIfLj2EEffffjfiS5_IjLj3EEiiiiiiiiiiiliiliiiiil.num_named_barrier, 0
	.set _ZL15flash_attn_tileILi128ELi128ELi2ELi8ELb0EEvPKcS1_S1_S1_S1_PKiPfP15HIP_vector_typeIfLj2EEffffjfiS5_IjLj3EEiiiiiiiiiiiliiliiiiil.private_seg_size, 0
	.set _ZL15flash_attn_tileILi128ELi128ELi2ELi8ELb0EEvPKcS1_S1_S1_S1_PKiPfP15HIP_vector_typeIfLj2EEffffjfiS5_IjLj3EEiiiiiiiiiiiliiliiiiil.uses_vcc, 1
	.set _ZL15flash_attn_tileILi128ELi128ELi2ELi8ELb0EEvPKcS1_S1_S1_S1_PKiPfP15HIP_vector_typeIfLj2EEffffjfiS5_IjLj3EEiiiiiiiiiiiliiliiiiil.uses_flat_scratch, 0
	.set _ZL15flash_attn_tileILi128ELi128ELi2ELi8ELb0EEvPKcS1_S1_S1_S1_PKiPfP15HIP_vector_typeIfLj2EEffffjfiS5_IjLj3EEiiiiiiiiiiiliiliiiiil.has_dyn_sized_stack, 0
	.set _ZL15flash_attn_tileILi128ELi128ELi2ELi8ELb0EEvPKcS1_S1_S1_S1_PKiPfP15HIP_vector_typeIfLj2EEffffjfiS5_IjLj3EEiiiiiiiiiiiliiliiiiil.has_recursion, 0
	.set _ZL15flash_attn_tileILi128ELi128ELi2ELi8ELb0EEvPKcS1_S1_S1_S1_PKiPfP15HIP_vector_typeIfLj2EEffffjfiS5_IjLj3EEiiiiiiiiiiiliiliiiiil.has_indirect_call, 0
	.section	.AMDGPU.csdata,"",@progbits
; Kernel info:
; codeLenInByte = 24628
; TotalNumSgprs: 47
; NumVgprs: 181
; ScratchSize: 0
; MemoryBound: 0
; FloatMode: 240
; IeeeMode: 1
; LDSByteSize: 43008 bytes/workgroup (compile time only)
; SGPRBlocks: 0
; VGPRBlocks: 22
; NumSGPRsForWavesPerEU: 47
; NumVGPRsForWavesPerEU: 181
; Occupancy: 5
; WaveLimiterHint : 1
; COMPUTE_PGM_RSRC2:SCRATCH_EN: 0
; COMPUTE_PGM_RSRC2:USER_SGPR: 6
; COMPUTE_PGM_RSRC2:TRAP_HANDLER: 0
; COMPUTE_PGM_RSRC2:TGID_X_EN: 1
; COMPUTE_PGM_RSRC2:TGID_Y_EN: 1
; COMPUTE_PGM_RSRC2:TGID_Z_EN: 1
; COMPUTE_PGM_RSRC2:TIDIG_COMP_CNT: 1
	.section	.text._ZL25flash_attn_mask_to_KV_maxILi2EEvPK7__half2Piiii,"axG",@progbits,_ZL25flash_attn_mask_to_KV_maxILi2EEvPK7__half2Piiii,comdat
	.globl	_ZL25flash_attn_mask_to_KV_maxILi2EEvPK7__half2Piiii ; -- Begin function _ZL25flash_attn_mask_to_KV_maxILi2EEvPK7__half2Piiii
	.p2align	8
	.type	_ZL25flash_attn_mask_to_KV_maxILi2EEvPK7__half2Piiii,@function
_ZL25flash_attn_mask_to_KV_maxILi2EEvPK7__half2Piiii: ; @_ZL25flash_attn_mask_to_KV_maxILi2EEvPK7__half2Piiii
; %bb.0:
	s_load_dwordx4 s[8:11], s[4:5], 0x0
	s_mov_b32 s0, exec_lo
	v_cmpx_gt_u32_e32 32, v0
; %bb.1:
	v_lshlrev_b32_e32 v1, 2, v0
	v_mov_b32_e32 v2, 1
	ds_write_b32 v1, v2
; %bb.2:
	s_or_b32 exec_lo, exec_lo, s0
	s_clause 0x1
	s_load_dwordx4 s[12:15], s[4:5], 0x10
	s_load_dword s1, s[4:5], 0x20
	v_and_b32_e32 v1, 31, v0
	v_lshrrev_b32_e32 v3, 3, v0
	v_mov_b32_e32 v2, 0
	v_mov_b32_e32 v4, 0x204
	s_waitcnt lgkmcnt(0)
	v_lshlrev_b32_e32 v5, 2, v1
	s_barrier
	buffer_gl0_inv
	s_mul_i32 s0, s6, s13
	s_mul_i32 s2, s14, s7
	s_lshl_b32 s0, s0, 1
	s_add_i32 s2, s2, s0
	v_cmp_eq_u32_e64 s0, 0, v1
	s_ashr_i32 s3, s2, 31
	s_lshl_b64 s[4:5], s[2:3], 2
	s_add_u32 s3, s8, s4
	s_addc_u32 s4, s9, s5
	s_lshl_b32 s5, s12, 8
	s_branch .LBB10_4
.LBB10_3:                               ;   in Loop: Header=BB10_4 Depth=1
	s_or_b32 exec_lo, exec_lo, s8
	s_waitcnt lgkmcnt(0)
	s_barrier
	buffer_gl0_inv
	ds_read_b32 v1, v5
	s_waitcnt lgkmcnt(0)
	s_barrier
	buffer_gl0_inv
	v_cmp_ne_u32_e32 vcc_lo, 0, v1
	s_cmp_lg_u32 vcc_lo, exec_lo
	s_cselect_b32 s8, -1, 0
	s_and_b32 vcc_lo, exec_lo, s8
	s_cbranch_vccnz .LBB10_12
.LBB10_4:                               ; =>This Inner Loop Header: Depth=1
	s_mov_b32 s2, s5
	s_addk_i32 s5, 0xff00
	s_cmp_lt_i32 s5, 0
	s_cbranch_scc1 .LBB10_11
; %bb.5:                                ;   in Loop: Header=BB10_4 Depth=1
	s_lshr_b32 s8, s5, 1
	v_add_nc_u32_e32 v1, s8, v0
	v_lshlrev_b64 v[6:7], 2, v[1:2]
	v_add_co_u32 v6, vcc_lo, s3, v6
	v_add_co_ci_u32_e64 v7, null, s4, v7, vcc_lo
	global_load_dword v6, v[6:7], off
	s_waitcnt vmcnt(0)
	v_cmp_class_f16_e64 s8, v6, 0x204
	v_cmp_class_f16_sdwa s9, v6, v4 src0_sel:WORD_1 src1_sel:DWORD
	s_and_b32 s12, s8, s9
	s_mov_b32 s9, 0
	s_and_saveexec_b32 s8, s12
	s_cbranch_execz .LBB10_9
; %bb.6:                                ;   in Loop: Header=BB10_4 Depth=1
	v_add_nc_u32_e32 v6, s13, v1
	v_ashrrev_i32_e32 v7, 31, v6
	v_lshlrev_b64 v[6:7], 2, v[6:7]
	v_add_co_u32 v6, vcc_lo, s3, v6
	v_add_co_ci_u32_e64 v7, null, s4, v7, vcc_lo
	global_load_dword v1, v[6:7], off
	s_waitcnt vmcnt(0)
	v_cmp_class_f16_e64 s14, v1, 0x204
	s_and_saveexec_b32 s12, s14
; %bb.7:                                ;   in Loop: Header=BB10_4 Depth=1
	v_cmp_class_f16_sdwa s9, v1, v4 src0_sel:WORD_1 src1_sel:DWORD
	s_and_b32 s9, s9, exec_lo
; %bb.8:                                ;   in Loop: Header=BB10_4 Depth=1
	s_or_b32 exec_lo, exec_lo, s12
	s_and_b32 s9, s9, exec_lo
.LBB10_9:                               ;   in Loop: Header=BB10_4 Depth=1
	s_or_b32 exec_lo, exec_lo, s8
	v_cndmask_b32_e64 v1, 0, 1, s9
	s_mov_b32 s12, exec_lo
	v_cmp_ne_u32_e32 vcc_lo, 0, v1
	s_and_saveexec_b32 s8, s0
	s_cbranch_execz .LBB10_3
; %bb.10:                               ;   in Loop: Header=BB10_4 Depth=1
	s_cmp_eq_u32 vcc_lo, s12
	s_cselect_b32 s9, -1, 0
	v_cndmask_b32_e64 v1, 0, 1, s9
	ds_write_b32 v3, v1
	s_branch .LBB10_3
.LBB10_11:                              ;   in Loop: Header=BB10_4 Depth=1
	s_cbranch_execz .LBB10_4
.LBB10_12:
	s_mov_b32 s0, exec_lo
	v_cmpx_eq_u32_e32 0, v0
	s_cbranch_execz .LBB10_14
; %bb.13:
	s_mul_i32 s0, s1, s7
	v_mov_b32_e32 v0, 0
	s_add_i32 s0, s0, s6
	v_mov_b32_e32 v1, s2
	s_ashr_i32 s1, s0, 31
	s_lshl_b64 s[0:1], s[0:1], 2
	s_add_u32 s0, s10, s0
	s_addc_u32 s1, s11, s1
	global_store_dword v0, v1, s[0:1]
.LBB10_14:
	s_endpgm
	.section	.rodata,"a",@progbits
	.p2align	6, 0x0
	.amdhsa_kernel _ZL25flash_attn_mask_to_KV_maxILi2EEvPK7__half2Piiii
		.amdhsa_group_segment_fixed_size 128
		.amdhsa_private_segment_fixed_size 0
		.amdhsa_kernarg_size 288
		.amdhsa_user_sgpr_count 6
		.amdhsa_user_sgpr_private_segment_buffer 1
		.amdhsa_user_sgpr_dispatch_ptr 0
		.amdhsa_user_sgpr_queue_ptr 0
		.amdhsa_user_sgpr_kernarg_segment_ptr 1
		.amdhsa_user_sgpr_dispatch_id 0
		.amdhsa_user_sgpr_flat_scratch_init 0
		.amdhsa_user_sgpr_private_segment_size 0
		.amdhsa_wavefront_size32 1
		.amdhsa_uses_dynamic_stack 0
		.amdhsa_system_sgpr_private_segment_wavefront_offset 0
		.amdhsa_system_sgpr_workgroup_id_x 1
		.amdhsa_system_sgpr_workgroup_id_y 1
		.amdhsa_system_sgpr_workgroup_id_z 0
		.amdhsa_system_sgpr_workgroup_info 0
		.amdhsa_system_vgpr_workitem_id 0
		.amdhsa_next_free_vgpr 8
		.amdhsa_next_free_sgpr 16
		.amdhsa_reserve_vcc 1
		.amdhsa_reserve_flat_scratch 0
		.amdhsa_float_round_mode_32 0
		.amdhsa_float_round_mode_16_64 0
		.amdhsa_float_denorm_mode_32 3
		.amdhsa_float_denorm_mode_16_64 3
		.amdhsa_dx10_clamp 1
		.amdhsa_ieee_mode 1
		.amdhsa_fp16_overflow 0
		.amdhsa_workgroup_processor_mode 1
		.amdhsa_memory_ordered 1
		.amdhsa_forward_progress 1
		.amdhsa_shared_vgpr_count 0
		.amdhsa_exception_fp_ieee_invalid_op 0
		.amdhsa_exception_fp_denorm_src 0
		.amdhsa_exception_fp_ieee_div_zero 0
		.amdhsa_exception_fp_ieee_overflow 0
		.amdhsa_exception_fp_ieee_underflow 0
		.amdhsa_exception_fp_ieee_inexact 0
		.amdhsa_exception_int_div_zero 0
	.end_amdhsa_kernel
	.section	.text._ZL25flash_attn_mask_to_KV_maxILi2EEvPK7__half2Piiii,"axG",@progbits,_ZL25flash_attn_mask_to_KV_maxILi2EEvPK7__half2Piiii,comdat
.Lfunc_end10:
	.size	_ZL25flash_attn_mask_to_KV_maxILi2EEvPK7__half2Piiii, .Lfunc_end10-_ZL25flash_attn_mask_to_KV_maxILi2EEvPK7__half2Piiii
                                        ; -- End function
	.set _ZL25flash_attn_mask_to_KV_maxILi2EEvPK7__half2Piiii.num_vgpr, 8
	.set _ZL25flash_attn_mask_to_KV_maxILi2EEvPK7__half2Piiii.num_agpr, 0
	.set _ZL25flash_attn_mask_to_KV_maxILi2EEvPK7__half2Piiii.numbered_sgpr, 16
	.set _ZL25flash_attn_mask_to_KV_maxILi2EEvPK7__half2Piiii.num_named_barrier, 0
	.set _ZL25flash_attn_mask_to_KV_maxILi2EEvPK7__half2Piiii.private_seg_size, 0
	.set _ZL25flash_attn_mask_to_KV_maxILi2EEvPK7__half2Piiii.uses_vcc, 1
	.set _ZL25flash_attn_mask_to_KV_maxILi2EEvPK7__half2Piiii.uses_flat_scratch, 0
	.set _ZL25flash_attn_mask_to_KV_maxILi2EEvPK7__half2Piiii.has_dyn_sized_stack, 0
	.set _ZL25flash_attn_mask_to_KV_maxILi2EEvPK7__half2Piiii.has_recursion, 0
	.set _ZL25flash_attn_mask_to_KV_maxILi2EEvPK7__half2Piiii.has_indirect_call, 0
	.section	.AMDGPU.csdata,"",@progbits
; Kernel info:
; codeLenInByte = 500
; TotalNumSgprs: 18
; NumVgprs: 8
; ScratchSize: 0
; MemoryBound: 0
; FloatMode: 240
; IeeeMode: 1
; LDSByteSize: 128 bytes/workgroup (compile time only)
; SGPRBlocks: 0
; VGPRBlocks: 0
; NumSGPRsForWavesPerEU: 18
; NumVGPRsForWavesPerEU: 8
; Occupancy: 16
; WaveLimiterHint : 0
; COMPUTE_PGM_RSRC2:SCRATCH_EN: 0
; COMPUTE_PGM_RSRC2:USER_SGPR: 6
; COMPUTE_PGM_RSRC2:TRAP_HANDLER: 0
; COMPUTE_PGM_RSRC2:TGID_X_EN: 1
; COMPUTE_PGM_RSRC2:TGID_Y_EN: 1
; COMPUTE_PGM_RSRC2:TGID_Z_EN: 0
; COMPUTE_PGM_RSRC2:TIDIG_COMP_CNT: 0
	.section	.text._ZL33flash_attn_stream_k_fixup_uniformILi128ELi2ELi8EEvPfPK15HIP_vector_typeIfLj2EEiiiiiiS1_IjLj3EES5_S5_,"axG",@progbits,_ZL33flash_attn_stream_k_fixup_uniformILi128ELi2ELi8EEvPfPK15HIP_vector_typeIfLj2EEiiiiiiS1_IjLj3EES5_S5_,comdat
	.globl	_ZL33flash_attn_stream_k_fixup_uniformILi128ELi2ELi8EEvPfPK15HIP_vector_typeIfLj2EEiiiiiiS1_IjLj3EES5_S5_ ; -- Begin function _ZL33flash_attn_stream_k_fixup_uniformILi128ELi2ELi8EEvPfPK15HIP_vector_typeIfLj2EEiiiiiiS1_IjLj3EES5_S5_
	.p2align	8
	.type	_ZL33flash_attn_stream_k_fixup_uniformILi128ELi2ELi8EEvPfPK15HIP_vector_typeIfLj2EEiiiiiiS1_IjLj3EES5_S5_,@function
_ZL33flash_attn_stream_k_fixup_uniformILi128ELi2ELi8EEvPfPK15HIP_vector_typeIfLj2EEiiiiiiS1_IjLj3EES5_S5_: ; @_ZL33flash_attn_stream_k_fixup_uniformILi128ELi2ELi8EEvPfPK15HIP_vector_typeIfLj2EEiiiiiiS1_IjLj3EES5_S5_
; %bb.0:
	s_clause 0x2
	s_load_dwordx8 s[12:19], s[4:5], 0x1c
	s_load_dwordx4 s[20:23], s[4:5], 0x3c
	s_load_dwordx2 s[10:11], s[4:5], 0x10
	s_waitcnt lgkmcnt(0)
	s_mul_hi_u32 s0, s15, s6
	s_add_i32 s0, s6, s0
	s_lshr_b32 s0, s0, s16
	s_mul_i32 s1, s0, s17
	s_sub_i32 s2, s6, s1
	s_mul_hi_u32 s1, s2, s18
	s_add_i32 s1, s2, s1
	s_lshr_b32 s1, s1, s19
	s_mul_i32 s3, s1, s20
	s_sub_i32 s2, s2, s3
	s_mul_hi_u32 s3, s2, s21
	s_add_i32 s3, s2, s3
	s_lshr_b32 s3, s3, s22
	s_mul_i32 s9, s3, s23
	s_lshl_b32 s15, s3, 3
	s_sub_i32 s9, s2, s9
	s_lshl_b32 s2, s9, 1
	s_add_i32 s2, s2, s7
	s_cmp_lt_i32 s2, s10
	s_cselect_b32 s2, -1, 0
	s_add_i32 s3, s15, s8
	s_cmp_lt_i32 s3, s13
	s_cselect_b32 s3, -1, 0
	s_and_b32 s2, s2, s3
	s_andn2_b32 vcc_lo, exec_lo, s2
	s_cbranch_vccnz .LBB11_6
; %bb.1:
	s_mul_i32 s0, s0, s10
	s_mul_i32 s10, s1, s13
	s_add_i32 s0, s0, s7
	s_mul_i32 s0, s0, s11
	s_add_i32 s13, s0, s8
	s_load_dwordx4 s[0:3], s[4:5], 0x0
	s_add_i32 s4, s13, s10
	s_mul_i32 s5, s11, s9
	s_add_i32 s4, s4, s15
	s_lshl_b32 s5, s5, 8
	s_lshl_b32 s4, s4, 7
	;; [unrolled: 1-line block ×3, first 2 shown]
	s_add_i32 s5, s5, s4
	s_mul_i32 s4, s14, s6
	v_or_b32_e32 v1, s5, v0
	s_add_i32 s11, s4, s14
	v_ashrrev_i32_e32 v2, 31, v1
	v_lshlrev_b64 v[1:2], 2, v[1:2]
	s_waitcnt lgkmcnt(0)
	v_add_co_u32 v1, vcc_lo, s0, v1
	v_add_co_ci_u32_e64 v2, null, s1, v2, vcc_lo
	s_add_i32 s0, s10, s8
	s_lshl_b32 s1, s11, 4
	s_add_i32 s0, s0, s1
	global_load_dword v5, v[1:2], off
	s_add_i32 s0, s0, -16
	s_ashr_i32 s1, s0, 31
	s_lshl_b64 s[0:1], s[0:1], 3
	s_add_u32 s0, s2, s0
	s_addc_u32 s1, s3, s1
	s_add_i32 s5, s11, -2
	s_load_dword s13, s[0:1], 0x4
	s_cmp_lt_i32 s5, s4
	s_cbranch_scc1 .LBB11_4
; %bb.2:
	s_lshl_b32 s16, s12, 6
	s_load_dword s15, s[0:1], 0x0
	s_ashr_i32 s17, s16, 31
	s_waitcnt lgkmcnt(0)
	v_mov_b32_e32 v6, s13
	s_lshl_b64 s[0:1], s[16:17], 2
	s_add_u32 s5, s2, s0
	s_addc_u32 s9, s3, s1
	s_add_i32 s6, s6, 1
	s_lshl_b32 s0, s7, 10
	s_lshl_b32 s1, s8, 7
	s_mul_i32 s6, s14, s6
	s_add_i32 s0, s1, s0
	s_lshl_b32 s1, s6, 11
	s_add_i32 s0, s0, s1
	s_lshl_b32 s1, s6, 4
	v_or_b32_e32 v0, s0, v0
	s_lshl_b32 s0, s12, 4
	s_add_i32 s1, s8, s1
	s_add_i32 s6, s11, -1
	s_add_i32 s0, s1, s0
	v_add_nc_u32_e32 v3, 0xfffff000, v0
	v_mov_b32_e32 v0, s15
	s_add_i32 s0, s0, s10
	s_sub_i32 s0, s0, 32
.LBB11_3:                               ; =>This Inner Loop Header: Depth=1
	v_ashrrev_i32_e32 v4, 31, v3
	s_ashr_i32 s1, s0, 31
	s_lshl_b64 s[10:11], s[0:1], 3
	s_add_u32 s10, s2, s10
	v_lshlrev_b64 v[7:8], 2, v[3:4]
	s_addc_u32 s11, s3, s11
	v_add_nc_u32_e32 v3, 0xfffff800, v3
	s_add_i32 s6, s6, -1
	s_add_i32 s0, s0, -16
	s_cmp_le_i32 s6, s4
	v_add_co_u32 v7, vcc_lo, s5, v7
	v_add_co_ci_u32_e64 v8, null, s9, v8, vcc_lo
	s_load_dwordx2 s[10:11], s[10:11], 0x0
	global_load_dword v4, v[7:8], off
	v_max_f32_e32 v7, v0, v0
	s_waitcnt lgkmcnt(0)
	v_max_f32_e64 v8, s10, s10
	v_max_f32_e32 v7, v7, v8
	v_sub_f32_e32 v8, s10, v7
	v_sub_f32_e32 v0, v0, v7
	v_mul_f32_e32 v9, 0x3fb8aa3b, v8
	v_mul_f32_e32 v12, 0x3fb8aa3b, v0
	v_cmp_ngt_f32_e32 vcc_lo, 0xc2ce8ed0, v8
	v_fma_f32 v10, 0x3fb8aa3b, v8, -v9
	v_rndne_f32_e32 v11, v9
	v_fma_f32 v13, 0x3fb8aa3b, v0, -v12
	v_rndne_f32_e32 v14, v12
	v_fmac_f32_e32 v10, 0x32a5705f, v8
	v_sub_f32_e32 v9, v9, v11
	v_fmac_f32_e32 v13, 0x32a5705f, v0
	v_cvt_i32_f32_e32 v11, v11
	v_add_f32_e32 v9, v9, v10
	v_sub_f32_e32 v10, v12, v14
	v_exp_f32_e32 v9, v9
	v_add_f32_e32 v10, v10, v13
	v_exp_f32_e32 v10, v10
	v_ldexp_f32 v9, v9, v11
	v_cvt_i32_f32_e32 v11, v14
	v_cndmask_b32_e32 v9, 0, v9, vcc_lo
	v_cmp_nlt_f32_e32 vcc_lo, 0x42b17218, v8
	v_ldexp_f32 v10, v10, v11
	v_mov_b32_e32 v11, v6
	v_cndmask_b32_e32 v9, 0x7f800000, v9, vcc_lo
	v_cmp_ngt_f32_e32 vcc_lo, 0xc2ce8ed0, v0
	v_cndmask_b32_e32 v10, 0, v10, vcc_lo
	v_cmp_le_f32_e32 vcc_lo, 0xc1a00000, v8
	v_cndmask_b32_e32 v8, 0, v9, vcc_lo
	v_cmp_nlt_f32_e32 vcc_lo, 0x42b17218, v0
	s_waitcnt vmcnt(1)
	v_mov_b32_e32 v9, v5
	v_cndmask_b32_e32 v5, 0x7f800000, v10, vcc_lo
	v_mul_f32_e32 v10, s11, v8
	v_cmp_le_f32_e32 vcc_lo, 0xc1a00000, v0
	v_mov_b32_e32 v0, v7
	v_mov_b32_e32 v6, v10
	v_cndmask_b32_e32 v12, 0, v5, vcc_lo
	v_fmac_f32_e32 v6, v11, v12
	s_waitcnt vmcnt(0)
	v_mul_f32_e32 v5, v4, v8
	v_fmac_f32_e32 v5, v9, v12
	s_cbranch_scc0 .LBB11_3
	s_branch .LBB11_5
.LBB11_4:
	s_waitcnt lgkmcnt(0)
	v_mov_b32_e32 v6, s13
.LBB11_5:
	s_waitcnt vmcnt(0)
	v_div_scale_f32 v0, null, v6, v6, v5
	v_rcp_f32_e32 v3, v0
	v_fma_f32 v4, -v0, v3, 1.0
	v_fmac_f32_e32 v3, v4, v3
	v_div_scale_f32 v4, vcc_lo, v5, v6, v5
	v_mul_f32_e32 v7, v4, v3
	v_fma_f32 v8, -v0, v7, v4
	v_fmac_f32_e32 v7, v8, v3
	v_fma_f32 v0, -v0, v7, v4
	v_div_fmas_f32 v0, v0, v3, v7
	v_div_fixup_f32 v0, v0, v6, v5
	global_store_dword v[1:2], v0, off
.LBB11_6:
	s_endpgm
	.section	.rodata,"a",@progbits
	.p2align	6, 0x0
	.amdhsa_kernel _ZL33flash_attn_stream_k_fixup_uniformILi128ELi2ELi8EEvPfPK15HIP_vector_typeIfLj2EEiiiiiiS1_IjLj3EES5_S5_
		.amdhsa_group_segment_fixed_size 0
		.amdhsa_private_segment_fixed_size 0
		.amdhsa_kernarg_size 76
		.amdhsa_user_sgpr_count 6
		.amdhsa_user_sgpr_private_segment_buffer 1
		.amdhsa_user_sgpr_dispatch_ptr 0
		.amdhsa_user_sgpr_queue_ptr 0
		.amdhsa_user_sgpr_kernarg_segment_ptr 1
		.amdhsa_user_sgpr_dispatch_id 0
		.amdhsa_user_sgpr_flat_scratch_init 0
		.amdhsa_user_sgpr_private_segment_size 0
		.amdhsa_wavefront_size32 1
		.amdhsa_uses_dynamic_stack 0
		.amdhsa_system_sgpr_private_segment_wavefront_offset 0
		.amdhsa_system_sgpr_workgroup_id_x 1
		.amdhsa_system_sgpr_workgroup_id_y 1
		.amdhsa_system_sgpr_workgroup_id_z 1
		.amdhsa_system_sgpr_workgroup_info 0
		.amdhsa_system_vgpr_workitem_id 0
		.amdhsa_next_free_vgpr 15
		.amdhsa_next_free_sgpr 24
		.amdhsa_reserve_vcc 1
		.amdhsa_reserve_flat_scratch 0
		.amdhsa_float_round_mode_32 0
		.amdhsa_float_round_mode_16_64 0
		.amdhsa_float_denorm_mode_32 3
		.amdhsa_float_denorm_mode_16_64 3
		.amdhsa_dx10_clamp 1
		.amdhsa_ieee_mode 1
		.amdhsa_fp16_overflow 0
		.amdhsa_workgroup_processor_mode 1
		.amdhsa_memory_ordered 1
		.amdhsa_forward_progress 1
		.amdhsa_shared_vgpr_count 0
		.amdhsa_exception_fp_ieee_invalid_op 0
		.amdhsa_exception_fp_denorm_src 0
		.amdhsa_exception_fp_ieee_div_zero 0
		.amdhsa_exception_fp_ieee_overflow 0
		.amdhsa_exception_fp_ieee_underflow 0
		.amdhsa_exception_fp_ieee_inexact 0
		.amdhsa_exception_int_div_zero 0
	.end_amdhsa_kernel
	.section	.text._ZL33flash_attn_stream_k_fixup_uniformILi128ELi2ELi8EEvPfPK15HIP_vector_typeIfLj2EEiiiiiiS1_IjLj3EES5_S5_,"axG",@progbits,_ZL33flash_attn_stream_k_fixup_uniformILi128ELi2ELi8EEvPfPK15HIP_vector_typeIfLj2EEiiiiiiS1_IjLj3EES5_S5_,comdat
.Lfunc_end11:
	.size	_ZL33flash_attn_stream_k_fixup_uniformILi128ELi2ELi8EEvPfPK15HIP_vector_typeIfLj2EEiiiiiiS1_IjLj3EES5_S5_, .Lfunc_end11-_ZL33flash_attn_stream_k_fixup_uniformILi128ELi2ELi8EEvPfPK15HIP_vector_typeIfLj2EEiiiiiiS1_IjLj3EES5_S5_
                                        ; -- End function
	.set _ZL33flash_attn_stream_k_fixup_uniformILi128ELi2ELi8EEvPfPK15HIP_vector_typeIfLj2EEiiiiiiS1_IjLj3EES5_S5_.num_vgpr, 15
	.set _ZL33flash_attn_stream_k_fixup_uniformILi128ELi2ELi8EEvPfPK15HIP_vector_typeIfLj2EEiiiiiiS1_IjLj3EES5_S5_.num_agpr, 0
	.set _ZL33flash_attn_stream_k_fixup_uniformILi128ELi2ELi8EEvPfPK15HIP_vector_typeIfLj2EEiiiiiiS1_IjLj3EES5_S5_.numbered_sgpr, 24
	.set _ZL33flash_attn_stream_k_fixup_uniformILi128ELi2ELi8EEvPfPK15HIP_vector_typeIfLj2EEiiiiiiS1_IjLj3EES5_S5_.num_named_barrier, 0
	.set _ZL33flash_attn_stream_k_fixup_uniformILi128ELi2ELi8EEvPfPK15HIP_vector_typeIfLj2EEiiiiiiS1_IjLj3EES5_S5_.private_seg_size, 0
	.set _ZL33flash_attn_stream_k_fixup_uniformILi128ELi2ELi8EEvPfPK15HIP_vector_typeIfLj2EEiiiiiiS1_IjLj3EES5_S5_.uses_vcc, 1
	.set _ZL33flash_attn_stream_k_fixup_uniformILi128ELi2ELi8EEvPfPK15HIP_vector_typeIfLj2EEiiiiiiS1_IjLj3EES5_S5_.uses_flat_scratch, 0
	.set _ZL33flash_attn_stream_k_fixup_uniformILi128ELi2ELi8EEvPfPK15HIP_vector_typeIfLj2EEiiiiiiS1_IjLj3EES5_S5_.has_dyn_sized_stack, 0
	.set _ZL33flash_attn_stream_k_fixup_uniformILi128ELi2ELi8EEvPfPK15HIP_vector_typeIfLj2EEiiiiiiS1_IjLj3EES5_S5_.has_recursion, 0
	.set _ZL33flash_attn_stream_k_fixup_uniformILi128ELi2ELi8EEvPfPK15HIP_vector_typeIfLj2EEiiiiiiS1_IjLj3EES5_S5_.has_indirect_call, 0
	.section	.AMDGPU.csdata,"",@progbits
; Kernel info:
; codeLenInByte = 848
; TotalNumSgprs: 26
; NumVgprs: 15
; ScratchSize: 0
; MemoryBound: 0
; FloatMode: 240
; IeeeMode: 1
; LDSByteSize: 0 bytes/workgroup (compile time only)
; SGPRBlocks: 0
; VGPRBlocks: 1
; NumSGPRsForWavesPerEU: 26
; NumVGPRsForWavesPerEU: 15
; Occupancy: 16
; WaveLimiterHint : 0
; COMPUTE_PGM_RSRC2:SCRATCH_EN: 0
; COMPUTE_PGM_RSRC2:USER_SGPR: 6
; COMPUTE_PGM_RSRC2:TRAP_HANDLER: 0
; COMPUTE_PGM_RSRC2:TGID_X_EN: 1
; COMPUTE_PGM_RSRC2:TGID_Y_EN: 1
; COMPUTE_PGM_RSRC2:TGID_Z_EN: 1
; COMPUTE_PGM_RSRC2:TIDIG_COMP_CNT: 0
	.section	.text._ZL33flash_attn_stream_k_fixup_generalILi128ELi2ELi8EEvPfPK15HIP_vector_typeIfLj2EEiiiiS1_IjLj3EES5_S5_S5_,"axG",@progbits,_ZL33flash_attn_stream_k_fixup_generalILi128ELi2ELi8EEvPfPK15HIP_vector_typeIfLj2EEiiiiS1_IjLj3EES5_S5_S5_,comdat
	.globl	_ZL33flash_attn_stream_k_fixup_generalILi128ELi2ELi8EEvPfPK15HIP_vector_typeIfLj2EEiiiiS1_IjLj3EES5_S5_S5_ ; -- Begin function _ZL33flash_attn_stream_k_fixup_generalILi128ELi2ELi8EEvPfPK15HIP_vector_typeIfLj2EEiiiiS1_IjLj3EES5_S5_S5_
	.p2align	8
	.type	_ZL33flash_attn_stream_k_fixup_generalILi128ELi2ELi8EEvPfPK15HIP_vector_typeIfLj2EEiiiiS1_IjLj3EES5_S5_S5_,@function
_ZL33flash_attn_stream_k_fixup_generalILi128ELi2ELi8EEvPfPK15HIP_vector_typeIfLj2EEiiiiS1_IjLj3EES5_S5_S5_: ; @_ZL33flash_attn_stream_k_fixup_generalILi128ELi2ELi8EEvPfPK15HIP_vector_typeIfLj2EEiiiiS1_IjLj3EES5_S5_S5_
; %bb.0:
	s_clause 0x1
	s_load_dwordx4 s[0:3], s[4:5], 0x10
	s_load_dword s9, s[4:5], 0x50
	s_mov_b32 s16, 0
	s_waitcnt lgkmcnt(0)
	s_mul_hi_i32 s17, s3, s6
	s_mul_i32 s18, s3, s6
	s_cmp_lg_u64 s[16:17], 0
	s_cbranch_scc0 .LBB12_21
; %bb.1:
	s_add_u32 s10, s9, 0
	s_addc_u32 s11, 0, 0
	s_xor_b64 s[10:11], s[10:11], 0
	v_cvt_f32_u32_e32 v1, s10
	v_cvt_f32_u32_e32 v2, s11
	s_sub_u32 s14, 0, s10
	s_subb_u32 s15, 0, s11
	v_fmamk_f32 v1, v2, 0x4f800000, v1
	v_rcp_f32_e32 v1, v1
	v_mul_f32_e32 v1, 0x5f7ffffc, v1
	v_mul_f32_e32 v2, 0x2f800000, v1
	v_trunc_f32_e32 v2, v2
	v_fmamk_f32 v1, v2, 0xcf800000, v1
	v_cvt_u32_f32_e32 v2, v2
	v_cvt_u32_f32_e32 v1, v1
	v_readfirstlane_b32 s12, v2
	v_readfirstlane_b32 s13, v1
	s_mul_i32 s19, s14, s12
	s_mul_hi_u32 s21, s14, s13
	s_mul_i32 s20, s15, s13
	s_add_i32 s19, s21, s19
	s_mul_i32 s22, s14, s13
	s_add_i32 s19, s19, s20
	s_mul_hi_u32 s21, s13, s22
	s_mul_i32 s24, s13, s19
	s_mul_hi_u32 s23, s12, s22
	s_mul_i32 s20, s12, s22
	s_mul_hi_u32 s22, s13, s19
	s_add_u32 s21, s21, s24
	s_addc_u32 s22, 0, s22
	s_mul_hi_u32 s25, s12, s19
	s_add_u32 s20, s21, s20
	s_mul_i32 s19, s12, s19
	s_addc_u32 s20, s22, s23
	s_addc_u32 s21, s25, 0
	s_add_u32 s19, s20, s19
	s_addc_u32 s20, 0, s21
	s_add_u32 s13, s13, s19
	s_cselect_b32 s19, -1, 0
	s_mul_hi_u32 s21, s14, s13
	s_cmp_lg_u32 s19, 0
	s_mul_i32 s19, s14, s13
	s_addc_u32 s12, s12, s20
	s_mul_i32 s15, s15, s13
	s_mul_i32 s14, s14, s12
	s_mul_hi_u32 s20, s13, s19
	s_add_i32 s14, s21, s14
	s_mul_hi_u32 s21, s12, s19
	s_add_i32 s14, s14, s15
	s_mul_i32 s15, s12, s19
	s_mul_i32 s23, s13, s14
	s_mul_hi_u32 s22, s13, s14
	s_add_u32 s20, s20, s23
	s_addc_u32 s22, 0, s22
	s_mul_hi_u32 s19, s12, s14
	s_add_u32 s15, s20, s15
	s_mul_i32 s14, s12, s14
	s_addc_u32 s15, s22, s21
	s_addc_u32 s19, s19, 0
	s_add_u32 s14, s15, s14
	s_addc_u32 s15, 0, s19
	s_add_u32 s19, s13, s14
	s_cselect_b32 s13, -1, 0
	s_cmp_lg_u32 s13, 0
	s_addc_u32 s20, s12, s15
	s_ashr_i32 s12, s17, 31
	s_add_u32 s14, s18, s12
	s_mov_b32 s13, s12
	s_addc_u32 s15, s17, s12
	s_xor_b64 s[14:15], s[14:15], s[12:13]
	s_mul_i32 s21, s14, s20
	s_mul_hi_u32 s22, s14, s19
	s_mul_hi_u32 s17, s14, s20
	;; [unrolled: 1-line block ×3, first 2 shown]
	s_mul_i32 s19, s15, s19
	s_add_u32 s21, s22, s21
	s_addc_u32 s17, 0, s17
	s_mul_hi_u32 s23, s15, s20
	s_add_u32 s19, s21, s19
	s_mul_i32 s20, s15, s20
	s_addc_u32 s17, s17, s24
	s_addc_u32 s19, s23, 0
	s_add_u32 s17, s17, s20
	s_addc_u32 s19, 0, s19
	s_mul_hi_u32 s20, s10, s17
	s_mul_i32 s21, s10, s19
	s_mul_i32 s22, s11, s17
	s_add_i32 s20, s20, s21
	s_mul_i32 s21, s10, s17
	s_add_i32 s20, s20, s22
	s_sub_i32 s22, s15, s20
	s_sub_u32 s14, s14, s21
	s_cselect_b32 s21, -1, 0
	s_cmp_lg_u32 s21, 0
	s_subb_u32 s22, s22, s11
	s_sub_u32 s23, s14, s10
	s_cselect_b32 s24, -1, 0
	s_cmp_lg_u32 s24, 0
	s_subb_u32 s22, s22, 0
	s_cmp_ge_u32 s22, s11
	s_cselect_b32 s24, -1, 0
	s_cmp_ge_u32 s23, s10
	s_cselect_b32 s23, -1, 0
	s_cmp_eq_u32 s22, s11
	s_cselect_b32 s22, s23, s24
	s_add_u32 s23, s17, 1
	s_addc_u32 s24, s19, 0
	s_add_u32 s25, s17, 2
	s_addc_u32 s26, s19, 0
	s_cmp_lg_u32 s22, 0
	s_cselect_b32 s22, s25, s23
	s_cselect_b32 s23, s26, s24
	s_cmp_lg_u32 s21, 0
	s_subb_u32 s15, s15, s20
	s_cmp_ge_u32 s15, s11
	s_cselect_b32 s20, -1, 0
	s_cmp_ge_u32 s14, s10
	s_cselect_b32 s10, -1, 0
	s_cmp_eq_u32 s15, s11
	s_cselect_b32 s10, s10, s20
	s_cmp_lg_u32 s10, 0
	s_cselect_b32 s11, s23, s19
	s_cselect_b32 s10, s22, s17
	s_xor_b64 s[12:13], s[12:13], 0
	s_xor_b64 s[10:11], s[10:11], s[12:13]
	s_sub_u32 s10, s10, s12
	s_load_dwordx4 s[12:15], s[4:5], 0x44
	s_andn2_b32 vcc_lo, exec_lo, s16
	s_cbranch_vccnz .LBB12_3
.LBB12_2:
	v_cvt_f32_u32_e32 v1, s9
	s_sub_i32 s11, 0, s9
	v_rcp_iflag_f32_e32 v1, v1
	v_mul_f32_e32 v1, 0x4f7ffffe, v1
	v_cvt_u32_f32_e32 v1, v1
	v_readfirstlane_b32 s10, v1
	s_mul_i32 s11, s11, s10
	s_mul_hi_u32 s11, s10, s11
	s_add_i32 s10, s10, s11
	s_mul_hi_u32 s10, s18, s10
	s_mul_i32 s11, s10, s9
	s_waitcnt lgkmcnt(0)
	s_add_i32 s15, s10, 1
	s_sub_i32 s11, s18, s11
	s_sub_i32 s16, s11, s9
	s_cmp_ge_u32 s11, s9
	s_cselect_b32 s10, s15, s10
	s_cselect_b32 s11, s16, s11
	s_add_i32 s15, s10, 1
	s_cmp_ge_u32 s11, s9
	s_cselect_b32 s10, s15, s10
.LBB12_3:
	s_add_i32 s11, s6, 1
	s_mov_b32 s16, 0
	s_mul_hi_i32 s17, s3, s11
	s_mul_i32 s11, s3, s11
	s_cmp_lg_u64 s[16:17], 0
	s_cbranch_scc0 .LBB12_22
; %bb.4:
	s_add_u32 s18, s9, 0
	s_addc_u32 s19, 0, 0
	s_xor_b64 s[18:19], s[18:19], 0
	v_cvt_f32_u32_e32 v1, s18
	v_cvt_f32_u32_e32 v2, s19
	s_sub_u32 s21, 0, s18
	s_subb_u32 s22, 0, s19
	v_fmamk_f32 v1, v2, 0x4f800000, v1
	v_rcp_f32_e32 v1, v1
	v_mul_f32_e32 v1, 0x5f7ffffc, v1
	v_mul_f32_e32 v2, 0x2f800000, v1
	v_trunc_f32_e32 v2, v2
	v_fmamk_f32 v1, v2, 0xcf800000, v1
	v_cvt_u32_f32_e32 v2, v2
	v_cvt_u32_f32_e32 v1, v1
	s_waitcnt lgkmcnt(0)
	v_readfirstlane_b32 s15, v2
	v_readfirstlane_b32 s20, v1
	s_mul_i32 s23, s21, s15
	s_mul_hi_u32 s25, s21, s20
	s_mul_i32 s24, s22, s20
	s_add_i32 s23, s25, s23
	s_mul_i32 s26, s21, s20
	s_add_i32 s23, s23, s24
	s_mul_hi_u32 s25, s20, s26
	s_mul_i32 s28, s20, s23
	s_mul_hi_u32 s27, s15, s26
	s_mul_i32 s24, s15, s26
	s_mul_hi_u32 s26, s20, s23
	s_add_u32 s25, s25, s28
	s_addc_u32 s26, 0, s26
	s_mul_hi_u32 s29, s15, s23
	s_add_u32 s24, s25, s24
	s_mul_i32 s23, s15, s23
	s_addc_u32 s24, s26, s27
	s_addc_u32 s25, s29, 0
	s_add_u32 s23, s24, s23
	s_addc_u32 s24, 0, s25
	s_add_u32 s20, s20, s23
	s_cselect_b32 s23, -1, 0
	s_mul_hi_u32 s25, s21, s20
	s_cmp_lg_u32 s23, 0
	s_mul_i32 s23, s21, s20
	s_addc_u32 s15, s15, s24
	s_mul_i32 s22, s22, s20
	s_mul_i32 s21, s21, s15
	s_mul_hi_u32 s24, s20, s23
	s_add_i32 s21, s25, s21
	s_mul_hi_u32 s25, s15, s23
	s_add_i32 s21, s21, s22
	s_mul_i32 s22, s15, s23
	s_mul_i32 s27, s20, s21
	s_mul_hi_u32 s26, s20, s21
	s_add_u32 s24, s24, s27
	s_addc_u32 s26, 0, s26
	s_mul_hi_u32 s23, s15, s21
	s_add_u32 s22, s24, s22
	s_mul_i32 s21, s15, s21
	s_addc_u32 s22, s26, s25
	s_addc_u32 s23, s23, 0
	s_add_u32 s21, s22, s21
	s_addc_u32 s22, 0, s23
	s_add_u32 s24, s20, s21
	s_cselect_b32 s20, -1, 0
	s_cmp_lg_u32 s20, 0
	s_addc_u32 s15, s15, s22
	s_ashr_i32 s20, s17, 31
	s_add_u32 s22, s11, s20
	s_mov_b32 s21, s20
	s_addc_u32 s23, s17, s20
	s_xor_b64 s[22:23], s[22:23], s[20:21]
	s_mul_i32 s25, s22, s15
	s_mul_hi_u32 s26, s22, s24
	s_mul_hi_u32 s17, s22, s15
	;; [unrolled: 1-line block ×3, first 2 shown]
	s_mul_i32 s24, s23, s24
	s_add_u32 s25, s26, s25
	s_addc_u32 s17, 0, s17
	s_mul_hi_u32 s27, s23, s15
	s_add_u32 s24, s25, s24
	s_mul_i32 s15, s23, s15
	s_addc_u32 s17, s17, s28
	s_addc_u32 s24, s27, 0
	s_add_u32 s15, s17, s15
	s_addc_u32 s17, 0, s24
	s_mul_hi_u32 s24, s18, s15
	s_mul_i32 s25, s18, s17
	s_mul_i32 s26, s19, s15
	s_add_i32 s24, s24, s25
	s_mul_i32 s25, s18, s15
	s_add_i32 s24, s24, s26
	s_sub_i32 s26, s23, s24
	s_sub_u32 s22, s22, s25
	s_cselect_b32 s25, -1, 0
	s_cmp_lg_u32 s25, 0
	s_subb_u32 s26, s26, s19
	s_sub_u32 s27, s22, s18
	s_cselect_b32 s28, -1, 0
	s_cmp_lg_u32 s28, 0
	s_subb_u32 s26, s26, 0
	s_cmp_ge_u32 s26, s19
	s_cselect_b32 s28, -1, 0
	s_cmp_ge_u32 s27, s18
	s_cselect_b32 s27, -1, 0
	s_cmp_eq_u32 s26, s19
	s_cselect_b32 s26, s27, s28
	s_add_u32 s27, s15, 1
	s_addc_u32 s28, s17, 0
	s_add_u32 s29, s15, 2
	s_addc_u32 s30, s17, 0
	s_cmp_lg_u32 s26, 0
	s_cselect_b32 s26, s29, s27
	s_cselect_b32 s27, s30, s28
	s_cmp_lg_u32 s25, 0
	s_subb_u32 s23, s23, s24
	s_cmp_ge_u32 s23, s19
	s_cselect_b32 s24, -1, 0
	s_cmp_ge_u32 s22, s18
	s_cselect_b32 s18, -1, 0
	s_cmp_eq_u32 s23, s19
	s_cselect_b32 s18, s18, s24
	s_cmp_lg_u32 s18, 0
	s_cselect_b32 s19, s27, s17
	s_cselect_b32 s18, s26, s15
	s_xor_b64 s[20:21], s[20:21], 0
	s_xor_b64 s[18:19], s[18:19], s[20:21]
	s_sub_u32 s18, s18, s20
	s_andn2_b32 vcc_lo, exec_lo, s16
	s_cbranch_vccnz .LBB12_6
.LBB12_5:
	v_cvt_f32_u32_e32 v1, s9
	s_sub_i32 s16, 0, s9
	v_rcp_iflag_f32_e32 v1, v1
	v_mul_f32_e32 v1, 0x4f7ffffe, v1
	v_cvt_u32_f32_e32 v1, v1
	s_waitcnt lgkmcnt(0)
	v_readfirstlane_b32 s15, v1
	s_mul_i32 s16, s16, s15
	s_mul_hi_u32 s16, s15, s16
	s_add_i32 s15, s15, s16
	s_mul_hi_u32 s15, s11, s15
	s_mul_i32 s16, s15, s9
	s_sub_i32 s11, s11, s16
	s_add_i32 s16, s15, 1
	s_sub_i32 s17, s11, s9
	s_cmp_ge_u32 s11, s9
	s_cselect_b32 s15, s16, s15
	s_cselect_b32 s11, s17, s11
	s_add_i32 s16, s15, 1
	s_cmp_ge_u32 s11, s9
	s_cselect_b32 s18, s16, s15
.LBB12_6:
	s_cmp_eq_u32 s10, s18
	s_waitcnt lgkmcnt(0)
	s_mul_hi_u32 s11, s10, s12
	s_cselect_b32 s15, -1, 0
	s_add_i32 s11, s11, s10
	s_lshr_b32 s11, s11, s13
	s_mul_i32 s16, s11, s14
	s_cmp_eq_u32 s16, s10
	s_mul_hi_u32 s16, s18, s12
	s_cselect_b32 s17, -1, 0
	s_add_i32 s16, s16, s18
	s_lshr_b32 s16, s16, s13
	s_cmp_eq_u32 s11, s16
	s_mul_i32 s16, s16, s14
	s_cselect_b32 s19, -1, 0
	s_cmp_lg_u32 s16, s18
	s_cselect_b32 s16, -1, 0
	s_or_b32 s15, s15, s17
	s_and_b32 s16, s19, s16
	s_or_b32 s15, s15, s16
	s_and_b32 vcc_lo, exec_lo, s15
	s_cbranch_vccnz .LBB12_24
; %bb.7:
	s_clause 0x1
	s_load_dwordx8 s[20:27], s[4:5], 0x20
	s_load_dword s16, s[4:5], 0x40
	s_waitcnt lgkmcnt(0)
	s_mul_hi_u32 s15, s10, s20
	s_add_i32 s15, s15, s10
	s_lshr_b32 s15, s15, s21
	s_mul_i32 s17, s15, s22
	s_sub_i32 s17, s10, s17
	s_mul_hi_u32 s18, s17, s23
	s_add_i32 s18, s17, s18
	s_lshr_b32 s22, s18, s24
	s_mul_i32 s18, s22, s25
	s_sub_i32 s17, s17, s18
	s_mul_hi_u32 s18, s17, s26
	s_add_i32 s18, s17, s18
	s_lshr_b32 s18, s18, s27
	s_mul_i32 s16, s18, s16
	s_lshl_b32 s24, s18, 3
	s_sub_i32 s16, s17, s16
	s_mul_hi_u32 s17, s16, s12
	s_add_i32 s16, s16, s17
	s_lshr_b32 s23, s16, s13
	s_lshl_b32 s16, s23, 1
	s_add_i32 s16, s16, s7
	s_cmp_lt_i32 s16, s0
	s_cselect_b32 s16, -1, 0
	s_add_i32 s17, s24, s8
	s_cmp_lt_i32 s17, s2
	s_cselect_b32 s17, -1, 0
	s_and_b32 s16, s16, s17
	s_andn2_b32 vcc_lo, exec_lo, s16
	s_cbranch_vccnz .LBB12_24
; %bb.8:
	s_load_dwordx4 s[16:19], s[4:5], 0x0
	s_mov_b32 s4, 0
	s_lshl_b32 s20, s9, 6
	s_mov_b32 s21, s4
	s_lshl_b32 s5, s7, 3
	s_lshl_b64 s[20:21], s[20:21], 2
	s_mul_i32 s0, s15, s0
	s_add_i32 s15, s5, s8
	s_mul_i32 s22, s22, s2
	v_cvt_f32_u32_e32 v4, s9
	v_rcp_iflag_f32_e32 v4, v4
	s_waitcnt lgkmcnt(0)
	s_add_u32 s20, s18, s20
	s_addc_u32 s21, s19, s21
	s_add_i32 s0, s0, s7
	s_mul_i32 s0, s0, s1
	s_mul_i32 s1, s1, s23
	s_add_i32 s0, s0, s8
	s_lshl_b32 s1, s1, 8
	s_add_i32 s0, s0, s22
	v_mul_f32_e32 v4, 0x4f7ffffe, v4
	s_add_i32 s0, s0, s24
	s_lshl_b32 s0, s0, 7
	s_add_i32 s1, s1, s0
	s_lshl_b32 s0, s6, 4
	v_or_b32_e32 v1, s1, v0
	s_add_i32 s0, s15, s0
	v_lshl_or_b32 v0, s15, 7, v0
	s_ashr_i32 s1, s0, 31
	v_cvt_u32_f32_e32 v4, v4
	v_ashrrev_i32_e32 v2, 31, v1
	s_lshl_b64 s[0:1], s[0:1], 3
	s_add_u32 s0, s18, s0
	s_addc_u32 s1, s19, s1
	v_lshlrev_b64 v[1:2], 2, v[1:2]
	s_load_dwordx2 s[0:1], s[0:1], 0x0
	s_add_i32 s8, s6, -1
	s_sub_i32 s2, 0, s9
	v_add_co_u32 v1, vcc_lo, s16, v1
	v_add_co_ci_u32_e64 v2, null, s17, v2, vcc_lo
	global_load_dword v3, v[1:2], off
	s_waitcnt lgkmcnt(0)
	v_mov_b32_e32 v5, s1
	v_mov_b32_e32 v6, s0
.LBB12_9:                               ; =>This Inner Loop Header: Depth=1
	s_mul_hi_i32 s5, s8, s3
	s_mul_i32 s6, s8, s3
	s_cmp_lg_u64 s[4:5], 0
	s_mov_b32 s7, -1
                                        ; implicit-def: $sgpr0_sgpr1
	s_cbranch_scc0 .LBB12_11
; %bb.10:                               ;   in Loop: Header=BB12_9 Depth=1
	s_add_u32 s0, s9, 0
	s_addc_u32 s1, 0, 0
	s_xor_b64 s[0:1], s[0:1], 0
	v_cvt_f32_u32_e32 v7, s0
	v_cvt_f32_u32_e32 v8, s1
	s_sub_u32 s17, 0, s0
	s_subb_u32 s22, 0, s1
	v_fmac_f32_e32 v7, 0x4f800000, v8
	v_rcp_f32_e32 v7, v7
	v_mul_f32_e32 v7, 0x5f7ffffc, v7
	v_mul_f32_e32 v8, 0x2f800000, v7
	v_trunc_f32_e32 v8, v8
	v_fmac_f32_e32 v7, 0xcf800000, v8
	v_cvt_u32_f32_e32 v8, v8
	v_cvt_u32_f32_e32 v7, v7
	v_readfirstlane_b32 s7, v8
	v_readfirstlane_b32 s16, v7
	s_mul_i32 s23, s17, s7
	s_mul_hi_u32 s25, s17, s16
	s_mul_i32 s24, s22, s16
	s_add_i32 s23, s25, s23
	s_mul_i32 s26, s17, s16
	s_add_i32 s23, s23, s24
	s_mul_hi_u32 s25, s16, s26
	s_mul_i32 s28, s16, s23
	s_mul_hi_u32 s27, s7, s26
	s_mul_i32 s24, s7, s26
	s_mul_hi_u32 s26, s16, s23
	s_add_u32 s25, s25, s28
	s_addc_u32 s26, 0, s26
	s_mul_hi_u32 s29, s7, s23
	s_add_u32 s24, s25, s24
	s_mul_i32 s23, s7, s23
	s_addc_u32 s24, s26, s27
	s_addc_u32 s25, s29, 0
	s_add_u32 s23, s24, s23
	s_addc_u32 s24, 0, s25
	s_add_u32 s16, s16, s23
	s_cselect_b32 s23, -1, 0
	s_mul_hi_u32 s25, s17, s16
	s_cmp_lg_u32 s23, 0
	s_mul_i32 s23, s17, s16
	s_addc_u32 s7, s7, s24
	s_mul_i32 s22, s22, s16
	s_mul_i32 s17, s17, s7
	s_mul_hi_u32 s24, s16, s23
	s_add_i32 s17, s25, s17
	s_mul_hi_u32 s25, s7, s23
	s_add_i32 s17, s17, s22
	s_mul_i32 s22, s7, s23
	s_mul_i32 s27, s16, s17
	s_mul_hi_u32 s26, s16, s17
	s_add_u32 s24, s24, s27
	s_addc_u32 s26, 0, s26
	s_mul_hi_u32 s23, s7, s17
	s_add_u32 s22, s24, s22
	s_mul_i32 s17, s7, s17
	s_addc_u32 s22, s26, s25
	s_addc_u32 s23, s23, 0
	s_add_u32 s17, s22, s17
	s_addc_u32 s22, 0, s23
	s_add_u32 s24, s16, s17
	s_cselect_b32 s16, -1, 0
	s_cmp_lg_u32 s16, 0
	s_addc_u32 s7, s7, s22
	s_ashr_i32 s16, s5, 31
	s_add_u32 s22, s6, s16
	s_mov_b32 s17, s16
	s_addc_u32 s23, s5, s16
	s_xor_b64 s[22:23], s[22:23], s[16:17]
	s_mul_i32 s25, s22, s7
	s_mul_hi_u32 s26, s22, s24
	s_mul_hi_u32 s5, s22, s7
	;; [unrolled: 1-line block ×3, first 2 shown]
	s_mul_i32 s24, s23, s24
	s_add_u32 s25, s26, s25
	s_addc_u32 s5, 0, s5
	s_mul_hi_u32 s27, s23, s7
	s_add_u32 s24, s25, s24
	s_mul_i32 s7, s23, s7
	s_addc_u32 s5, s5, s28
	s_addc_u32 s24, s27, 0
	s_add_u32 s5, s5, s7
	s_addc_u32 s7, 0, s24
	s_mul_hi_u32 s24, s0, s5
	s_mul_i32 s25, s0, s7
	s_mul_i32 s26, s1, s5
	s_add_i32 s24, s24, s25
	s_mul_i32 s25, s0, s5
	s_add_i32 s24, s24, s26
	s_sub_i32 s26, s23, s24
	s_sub_u32 s22, s22, s25
	s_cselect_b32 s25, -1, 0
	s_cmp_lg_u32 s25, 0
	s_subb_u32 s26, s26, s1
	s_sub_u32 s27, s22, s0
	s_cselect_b32 s28, -1, 0
	s_cmp_lg_u32 s28, 0
	s_subb_u32 s26, s26, 0
	s_cmp_ge_u32 s26, s1
	s_cselect_b32 s28, -1, 0
	s_cmp_ge_u32 s27, s0
	s_cselect_b32 s27, -1, 0
	s_cmp_eq_u32 s26, s1
	s_cselect_b32 s26, s27, s28
	s_add_u32 s27, s5, 1
	s_addc_u32 s28, s7, 0
	s_add_u32 s29, s5, 2
	s_addc_u32 s30, s7, 0
	s_cmp_lg_u32 s26, 0
	s_cselect_b32 s26, s29, s27
	s_cselect_b32 s27, s30, s28
	s_cmp_lg_u32 s25, 0
	s_subb_u32 s23, s23, s24
	s_cmp_ge_u32 s23, s1
	s_cselect_b32 s24, -1, 0
	s_cmp_ge_u32 s22, s0
	s_cselect_b32 s0, -1, 0
	s_cmp_eq_u32 s23, s1
	s_cselect_b32 s0, s0, s24
	s_cmp_lg_u32 s0, 0
	s_cselect_b32 s1, s27, s7
	s_cselect_b32 s0, s26, s5
	s_xor_b64 s[16:17], s[16:17], 0
	s_mov_b32 s7, 0
	s_xor_b64 s[0:1], s[0:1], s[16:17]
	s_sub_u32 s0, s0, s16
.LBB12_11:                              ;   in Loop: Header=BB12_9 Depth=1
	s_andn2_b32 vcc_lo, exec_lo, s7
	s_cbranch_vccnz .LBB12_13
; %bb.12:                               ;   in Loop: Header=BB12_9 Depth=1
	v_readfirstlane_b32 s0, v4
	s_mul_i32 s1, s2, s0
	s_mul_hi_u32 s1, s0, s1
	s_add_i32 s0, s0, s1
	s_mul_hi_u32 s0, s6, s0
	s_mul_i32 s1, s0, s9
	s_add_i32 s5, s0, 1
	s_sub_i32 s1, s6, s1
	s_sub_i32 s6, s1, s9
	s_cmp_ge_u32 s1, s9
	s_cselect_b32 s0, s5, s0
	s_cselect_b32 s1, s6, s1
	s_add_i32 s5, s0, 1
	s_cmp_ge_u32 s1, s9
	s_cselect_b32 s0, s5, s0
.LBB12_13:                              ;   in Loop: Header=BB12_9 Depth=1
	s_cmp_lg_u32 s10, s0
	s_mov_b32 s6, -1
                                        ; implicit-def: $sgpr5
                                        ; implicit-def: $vgpr8
                                        ; implicit-def: $vgpr7
                                        ; implicit-def: $vgpr9
                                        ; implicit-def: $sgpr1
                                        ; implicit-def: $sgpr16
	s_cbranch_scc0 .LBB12_18
; %bb.14:                               ;   in Loop: Header=BB12_9 Depth=1
	s_add_i32 s1, s8, s9
	s_mov_b32 s7, s4
	s_lshl_b32 s1, s1, 4
	s_mov_b32 s16, s10
	s_add_i32 s6, s1, s15
	s_mul_hi_u32 s1, s0, s12
	s_lshl_b64 s[6:7], s[6:7], 3
	s_add_u32 s6, s18, s6
	s_addc_u32 s7, s19, s7
	s_add_i32 s1, s1, s0
	s_lshr_b32 s1, s1, s13
	s_mul_i32 s5, s1, s14
	s_cmp_eq_u32 s5, s0
	s_cselect_b32 s5, -1, 0
	s_cmp_lt_u32 s1, s11
	s_cselect_b32 s1, -1, 0
	s_or_b32 s1, s1, s5
	s_mov_b32 s5, -1
	s_and_b32 vcc_lo, exec_lo, s1
	s_mov_b32 s1, s8
	s_cbranch_vccnz .LBB12_16
; %bb.15:                               ;   in Loop: Header=BB12_9 Depth=1
	s_add_i32 s1, s8, -1
	s_mov_b32 s5, 0
	s_mov_b32 s16, s0
.LBB12_16:                              ;   in Loop: Header=BB12_9 Depth=1
	v_lshl_add_u32 v7, s8, 11, v0
	s_load_dwordx2 s[6:7], s[6:7], 0x0
	v_ashrrev_i32_e32 v8, 31, v7
	v_lshlrev_b64 v[7:8], 2, v[7:8]
	v_add_co_u32 v7, vcc_lo, s20, v7
	v_add_co_ci_u32_e64 v8, null, s21, v8, vcc_lo
	s_waitcnt lgkmcnt(0)
	v_max_f32_e64 v9, s6, s6
	global_load_dword v8, v[7:8], off
	v_max_f32_e32 v7, v6, v6
	v_max_f32_e32 v7, v7, v9
	v_sub_f32_e32 v9, s6, v7
	v_sub_f32_e32 v10, v6, v7
	v_mul_f32_e32 v11, 0x3fb8aa3b, v9
	v_mul_f32_e32 v12, 0x3fb8aa3b, v10
	v_cmp_ngt_f32_e32 vcc_lo, 0xc2ce8ed0, v9
	v_fma_f32 v13, 0x3fb8aa3b, v9, -v11
	v_rndne_f32_e32 v14, v11
	v_fma_f32 v15, 0x3fb8aa3b, v10, -v12
	v_rndne_f32_e32 v16, v12
	v_fmac_f32_e32 v13, 0x32a5705f, v9
	v_sub_f32_e32 v11, v11, v14
	v_fmac_f32_e32 v15, 0x32a5705f, v10
	v_sub_f32_e32 v12, v12, v16
	v_add_f32_e32 v11, v11, v13
	v_cvt_i32_f32_e32 v13, v14
	v_add_f32_e32 v12, v12, v15
	v_cvt_i32_f32_e32 v14, v16
	v_exp_f32_e32 v11, v11
	v_exp_f32_e32 v12, v12
	v_ldexp_f32 v11, v11, v13
	v_ldexp_f32 v12, v12, v14
	v_cndmask_b32_e32 v11, 0, v11, vcc_lo
	v_cmp_ngt_f32_e32 vcc_lo, 0xc2ce8ed0, v10
	v_cndmask_b32_e32 v12, 0, v12, vcc_lo
	v_cmp_nlt_f32_e32 vcc_lo, 0x42b17218, v9
	v_cndmask_b32_e32 v11, 0x7f800000, v11, vcc_lo
	v_cmp_nlt_f32_e32 vcc_lo, 0x42b17218, v10
	v_cndmask_b32_e32 v12, 0x7f800000, v12, vcc_lo
	v_cmp_le_f32_e32 vcc_lo, 0xc1a00000, v9
	v_cndmask_b32_e32 v9, 0, v11, vcc_lo
	v_cmp_le_f32_e32 vcc_lo, 0xc1a00000, v10
	v_cndmask_b32_e32 v10, 0, v12, vcc_lo
	s_waitcnt vmcnt(0)
	v_mul_f32_e32 v8, v8, v9
	v_mul_f32_e32 v9, s7, v9
	v_fmac_f32_e32 v8, v3, v10
	v_fmac_f32_e32 v9, v5, v10
	s_cbranch_execz .LBB12_19
.LBB12_17:                              ;   in Loop: Header=BB12_9 Depth=1
	s_andn2_b32 vcc_lo, exec_lo, s5
	s_cbranch_vccnz .LBB12_20
	s_branch .LBB12_23
.LBB12_18:                              ;   in Loop: Header=BB12_9 Depth=1
	s_andn2_b32 vcc_lo, exec_lo, s6
	s_cbranch_vccnz .LBB12_17
.LBB12_19:                              ;   in Loop: Header=BB12_9 Depth=1
	v_mov_b32_e32 v9, v5
	v_mov_b32_e32 v7, v6
	s_waitcnt vmcnt(0)
	v_mov_b32_e32 v8, v3
	s_add_i32 s1, s8, -1
	s_mov_b32 s16, s10
	s_cbranch_execz .LBB12_23
.LBB12_20:                              ;   in Loop: Header=BB12_9 Depth=1
	v_mov_b32_e32 v5, v9
	v_mov_b32_e32 v6, v7
	s_waitcnt vmcnt(0)
	v_mov_b32_e32 v3, v8
	s_mov_b32 s10, s16
	s_mov_b32 s8, s1
	s_branch .LBB12_9
.LBB12_21:
                                        ; implicit-def: $sgpr10_sgpr11
	s_load_dwordx4 s[12:15], s[4:5], 0x44
	s_branch .LBB12_2
.LBB12_22:
                                        ; implicit-def: $sgpr18_sgpr19
	s_branch .LBB12_5
.LBB12_23:
	v_div_scale_f32 v0, null, v9, v9, v8
	s_waitcnt vmcnt(0)
	v_rcp_f32_e32 v3, v0
	v_fma_f32 v4, -v0, v3, 1.0
	v_fmac_f32_e32 v3, v4, v3
	v_div_scale_f32 v4, vcc_lo, v8, v9, v8
	v_mul_f32_e32 v5, v4, v3
	v_fma_f32 v6, -v0, v5, v4
	v_fmac_f32_e32 v5, v6, v3
	v_fma_f32 v0, -v0, v5, v4
	v_div_fmas_f32 v0, v0, v3, v5
	v_div_fixup_f32 v0, v0, v9, v8
	global_store_dword v[1:2], v0, off
.LBB12_24:
	s_endpgm
	.section	.rodata,"a",@progbits
	.p2align	6, 0x0
	.amdhsa_kernel _ZL33flash_attn_stream_k_fixup_generalILi128ELi2ELi8EEvPfPK15HIP_vector_typeIfLj2EEiiiiS1_IjLj3EES5_S5_S5_
		.amdhsa_group_segment_fixed_size 0
		.amdhsa_private_segment_fixed_size 0
		.amdhsa_kernarg_size 336
		.amdhsa_user_sgpr_count 6
		.amdhsa_user_sgpr_private_segment_buffer 1
		.amdhsa_user_sgpr_dispatch_ptr 0
		.amdhsa_user_sgpr_queue_ptr 0
		.amdhsa_user_sgpr_kernarg_segment_ptr 1
		.amdhsa_user_sgpr_dispatch_id 0
		.amdhsa_user_sgpr_flat_scratch_init 0
		.amdhsa_user_sgpr_private_segment_size 0
		.amdhsa_wavefront_size32 1
		.amdhsa_uses_dynamic_stack 0
		.amdhsa_system_sgpr_private_segment_wavefront_offset 0
		.amdhsa_system_sgpr_workgroup_id_x 1
		.amdhsa_system_sgpr_workgroup_id_y 1
		.amdhsa_system_sgpr_workgroup_id_z 1
		.amdhsa_system_sgpr_workgroup_info 0
		.amdhsa_system_vgpr_workitem_id 0
		.amdhsa_next_free_vgpr 17
		.amdhsa_next_free_sgpr 31
		.amdhsa_reserve_vcc 1
		.amdhsa_reserve_flat_scratch 0
		.amdhsa_float_round_mode_32 0
		.amdhsa_float_round_mode_16_64 0
		.amdhsa_float_denorm_mode_32 3
		.amdhsa_float_denorm_mode_16_64 3
		.amdhsa_dx10_clamp 1
		.amdhsa_ieee_mode 1
		.amdhsa_fp16_overflow 0
		.amdhsa_workgroup_processor_mode 1
		.amdhsa_memory_ordered 1
		.amdhsa_forward_progress 1
		.amdhsa_shared_vgpr_count 0
		.amdhsa_exception_fp_ieee_invalid_op 0
		.amdhsa_exception_fp_denorm_src 0
		.amdhsa_exception_fp_ieee_div_zero 0
		.amdhsa_exception_fp_ieee_overflow 0
		.amdhsa_exception_fp_ieee_underflow 0
		.amdhsa_exception_fp_ieee_inexact 0
		.amdhsa_exception_int_div_zero 0
	.end_amdhsa_kernel
	.section	.text._ZL33flash_attn_stream_k_fixup_generalILi128ELi2ELi8EEvPfPK15HIP_vector_typeIfLj2EEiiiiS1_IjLj3EES5_S5_S5_,"axG",@progbits,_ZL33flash_attn_stream_k_fixup_generalILi128ELi2ELi8EEvPfPK15HIP_vector_typeIfLj2EEiiiiS1_IjLj3EES5_S5_S5_,comdat
.Lfunc_end12:
	.size	_ZL33flash_attn_stream_k_fixup_generalILi128ELi2ELi8EEvPfPK15HIP_vector_typeIfLj2EEiiiiS1_IjLj3EES5_S5_S5_, .Lfunc_end12-_ZL33flash_attn_stream_k_fixup_generalILi128ELi2ELi8EEvPfPK15HIP_vector_typeIfLj2EEiiiiS1_IjLj3EES5_S5_S5_
                                        ; -- End function
	.set _ZL33flash_attn_stream_k_fixup_generalILi128ELi2ELi8EEvPfPK15HIP_vector_typeIfLj2EEiiiiS1_IjLj3EES5_S5_S5_.num_vgpr, 17
	.set _ZL33flash_attn_stream_k_fixup_generalILi128ELi2ELi8EEvPfPK15HIP_vector_typeIfLj2EEiiiiS1_IjLj3EES5_S5_S5_.num_agpr, 0
	.set _ZL33flash_attn_stream_k_fixup_generalILi128ELi2ELi8EEvPfPK15HIP_vector_typeIfLj2EEiiiiS1_IjLj3EES5_S5_S5_.numbered_sgpr, 31
	.set _ZL33flash_attn_stream_k_fixup_generalILi128ELi2ELi8EEvPfPK15HIP_vector_typeIfLj2EEiiiiS1_IjLj3EES5_S5_S5_.num_named_barrier, 0
	.set _ZL33flash_attn_stream_k_fixup_generalILi128ELi2ELi8EEvPfPK15HIP_vector_typeIfLj2EEiiiiS1_IjLj3EES5_S5_S5_.private_seg_size, 0
	.set _ZL33flash_attn_stream_k_fixup_generalILi128ELi2ELi8EEvPfPK15HIP_vector_typeIfLj2EEiiiiS1_IjLj3EES5_S5_S5_.uses_vcc, 1
	.set _ZL33flash_attn_stream_k_fixup_generalILi128ELi2ELi8EEvPfPK15HIP_vector_typeIfLj2EEiiiiS1_IjLj3EES5_S5_S5_.uses_flat_scratch, 0
	.set _ZL33flash_attn_stream_k_fixup_generalILi128ELi2ELi8EEvPfPK15HIP_vector_typeIfLj2EEiiiiS1_IjLj3EES5_S5_S5_.has_dyn_sized_stack, 0
	.set _ZL33flash_attn_stream_k_fixup_generalILi128ELi2ELi8EEvPfPK15HIP_vector_typeIfLj2EEiiiiS1_IjLj3EES5_S5_S5_.has_recursion, 0
	.set _ZL33flash_attn_stream_k_fixup_generalILi128ELi2ELi8EEvPfPK15HIP_vector_typeIfLj2EEiiiiS1_IjLj3EES5_S5_S5_.has_indirect_call, 0
	.section	.AMDGPU.csdata,"",@progbits
; Kernel info:
; codeLenInByte = 2944
; TotalNumSgprs: 33
; NumVgprs: 17
; ScratchSize: 0
; MemoryBound: 0
; FloatMode: 240
; IeeeMode: 1
; LDSByteSize: 0 bytes/workgroup (compile time only)
; SGPRBlocks: 0
; VGPRBlocks: 2
; NumSGPRsForWavesPerEU: 33
; NumVGPRsForWavesPerEU: 17
; Occupancy: 16
; WaveLimiterHint : 0
; COMPUTE_PGM_RSRC2:SCRATCH_EN: 0
; COMPUTE_PGM_RSRC2:USER_SGPR: 6
; COMPUTE_PGM_RSRC2:TRAP_HANDLER: 0
; COMPUTE_PGM_RSRC2:TGID_X_EN: 1
; COMPUTE_PGM_RSRC2:TGID_Y_EN: 1
; COMPUTE_PGM_RSRC2:TGID_Z_EN: 1
; COMPUTE_PGM_RSRC2:TIDIG_COMP_CNT: 0
	.section	.text._ZL15flash_attn_tileILi128ELi128ELi1ELi8ELb0EEvPKcS1_S1_S1_S1_PKiPfP15HIP_vector_typeIfLj2EEffffjfiS5_IjLj3EEiiiiiiiiiiiliiliiiiil,"axG",@progbits,_ZL15flash_attn_tileILi128ELi128ELi1ELi8ELb0EEvPKcS1_S1_S1_S1_PKiPfP15HIP_vector_typeIfLj2EEffffjfiS5_IjLj3EEiiiiiiiiiiiliiliiiiil,comdat
	.globl	_ZL15flash_attn_tileILi128ELi128ELi1ELi8ELb0EEvPKcS1_S1_S1_S1_PKiPfP15HIP_vector_typeIfLj2EEffffjfiS5_IjLj3EEiiiiiiiiiiiliiliiiiil ; -- Begin function _ZL15flash_attn_tileILi128ELi128ELi1ELi8ELb0EEvPKcS1_S1_S1_S1_PKiPfP15HIP_vector_typeIfLj2EEffffjfiS5_IjLj3EEiiiiiiiiiiiliiliiiiil
	.p2align	8
	.type	_ZL15flash_attn_tileILi128ELi128ELi1ELi8ELb0EEvPKcS1_S1_S1_S1_PKiPfP15HIP_vector_typeIfLj2EEffffjfiS5_IjLj3EEiiiiiiiiiiiliiliiiiil,@function
_ZL15flash_attn_tileILi128ELi128ELi1ELi8ELb0EEvPKcS1_S1_S1_S1_PKiPfP15HIP_vector_typeIfLj2EEffffjfiS5_IjLj3EEiiiiiiiiiiiliiliiiiil: ; @_ZL15flash_attn_tileILi128ELi128ELi1ELi8ELb0EEvPKcS1_S1_S1_S1_PKiPfP15HIP_vector_typeIfLj2EEffffjfiS5_IjLj3EEiiiiiiiiiiiliiliiiiil
; %bb.0:
	s_clause 0x1
	s_load_dwordx4 s[24:27], s[4:5], 0x5c
	s_load_dwordx2 s[30:31], s[4:5], 0x80
	s_mov_b32 s28, s7
	s_mov_b64 s[34:35], 0
	s_waitcnt lgkmcnt(0)
	s_ashr_i32 s0, s27, 31
	s_lshr_b32 s0, s0, 29
	s_add_i32 s0, s27, s0
	s_ashr_i32 s0, s0, 3
	v_cvt_f32_u32_e32 v2, s0
	s_sub_i32 s2, 0, s0
	v_rcp_iflag_f32_e32 v2, v2
	v_mul_f32_e32 v2, 0x4f7ffffe, v2
	v_cvt_u32_f32_e32 v2, v2
	v_readfirstlane_b32 s1, v2
	s_mul_i32 s2, s2, s1
	s_mul_hi_u32 s2, s1, s2
	s_add_i32 s1, s1, s2
	s_mul_hi_u32 s1, s8, s1
	s_mul_i32 s2, s1, s0
	s_add_i32 s3, s1, 1
	s_sub_i32 s2, s8, s2
	s_sub_i32 s7, s2, s0
	s_cmp_ge_u32 s2, s0
	s_cselect_b32 s1, s3, s1
	s_cselect_b32 s2, s7, s2
	s_add_i32 s3, s1, 1
	s_cmp_ge_u32 s2, s0
	s_cselect_b32 s29, s3, s1
	s_abs_i32 s0, s31
	s_lshl_b32 s3, s8, 3
	v_cvt_f32_u32_e32 v2, s0
	s_sub_i32 s2, 0, s0
	s_abs_i32 s8, s27
	s_mul_i32 s7, s29, s27
	v_rcp_iflag_f32_e32 v2, v2
	s_sub_i32 s33, s3, s7
	v_mul_f32_e32 v2, 0x4f7ffffe, v2
	v_cvt_u32_f32_e32 v2, v2
	v_readfirstlane_b32 s1, v2
	s_mul_i32 s2, s2, s1
	s_mul_hi_u32 s2, s1, s2
	s_add_i32 s1, s1, s2
	s_xor_b32 s2, s27, s31
	s_mul_hi_u32 s1, s8, s1
	s_ashr_i32 s2, s2, 31
	s_mul_i32 s3, s1, s0
	s_add_i32 s7, s1, 1
	s_sub_i32 s3, s8, s3
	s_sub_i32 s8, s3, s0
	s_cmp_ge_u32 s3, s0
	s_cselect_b32 s1, s7, s1
	s_cselect_b32 s3, s8, s3
	s_add_i32 s7, s1, 1
	s_cmp_ge_u32 s3, s0
	s_clause 0x1
	s_load_dwordx16 s[8:23], s[4:5], 0x0
	s_load_dwordx2 s[36:37], s[4:5], 0xb8
	s_cselect_b32 s0, s7, s1
	s_xor_b32 s0, s0, s2
	s_sub_i32 s31, s0, s2
	s_abs_i32 s7, s31
	v_cvt_f32_u32_e32 v2, s7
	v_rcp_iflag_f32_e32 v2, v2
	s_waitcnt lgkmcnt(0)
	s_cmp_eq_u64 s[14:15], 0
	v_mul_f32_e32 v2, 0x4f7ffffe, v2
	v_cvt_u32_f32_e32 v2, v2
	v_readfirstlane_b32 s38, v2
	s_cbranch_scc1 .LBB13_2
; %bb.1:
	s_abs_i32 s2, s36
	s_abs_i32 s3, s29
	v_cvt_f32_u32_e32 v2, s2
	s_sub_i32 s1, 0, s2
	v_rcp_iflag_f32_e32 v2, v2
	v_mul_f32_e32 v2, 0x4f7ffffe, v2
	v_cvt_u32_f32_e32 v2, v2
	v_readfirstlane_b32 s0, v2
	s_mul_i32 s1, s1, s0
	s_mul_hi_u32 s1, s0, s1
	s_add_i32 s0, s0, s1
	s_mul_hi_u32 s34, s3, s0
	s_load_dwordx2 s[0:1], s[4:5], 0xc8
	s_mul_i32 s34, s34, s2
	s_sub_i32 s3, s3, s34
	s_ashr_i32 s34, s29, 31
	s_sub_i32 s35, s3, s2
	s_cmp_ge_u32 s3, s2
	s_cselect_b32 s3, s35, s3
	s_sub_i32 s35, s3, s2
	s_cmp_ge_u32 s3, s2
	s_cselect_b32 s2, s35, s3
	s_xor_b32 s2, s2, s34
	s_sub_i32 s2, s2, s34
	s_ashr_i32 s3, s2, 31
	s_waitcnt lgkmcnt(0)
	s_mul_hi_u32 s34, s0, s2
	s_mul_i32 s3, s0, s3
	s_mul_i32 s1, s1, s2
	s_add_i32 s3, s34, s3
	s_mul_i32 s0, s0, s2
	s_add_i32 s3, s3, s1
	s_add_u32 s34, s14, s0
	s_addc_u32 s35, s15, s3
.LBB13_2:
	v_lshrrev_b32_e32 v2, 2, v1
	s_load_dwordx4 s[0:3], s[4:5], 0x70
	v_lshlrev_b32_e32 v4, 1, v1
	v_lshlrev_b32_e32 v32, 3, v0
	v_add_nc_u32_e32 v2, s6, v2
	v_and_b32_e32 v31, 6, v4
	v_or_b32_e32 v14, 1, v4
	v_mul_hi_u32 v3, s24, v2
	v_and_b32_e32 v15, 7, v14
	v_add_nc_u32_e32 v3, v2, v3
	s_waitcnt lgkmcnt(0)
	s_mul_i32 s3, s29, s2
	s_mul_i32 s14, s33, s1
	v_lshrrev_b32_e32 v3, s25, v3
	s_ashr_i32 s15, s3, 31
	s_add_u32 s3, s8, s3
	s_addc_u32 s8, s9, s15
	s_ashr_i32 s9, s14, 31
	v_mul_lo_u32 v3, v3, s26
	s_add_u32 s14, s3, s14
	s_mov_b32 s2, s1
	s_addc_u32 s15, s8, s9
	s_ashr_i32 s3, s1, 31
	s_ashr_i32 s1, s0, 31
	s_lshr_b64 s[8:9], s[0:1], 2
	v_sub_nc_u32_e32 v3, v2, v3
	s_lshr_b32 s0, s1, 2
	v_mad_u64_u32 v[5:6], null, s8, v3, 0
	s_lshr_b64 s[8:9], s[2:3], 2
	v_mad_u64_u32 v[7:8], null, s8, v31, 0
	v_mad_u64_u32 v[9:10], null, s8, v15, 0
	;; [unrolled: 1-line block ×3, first 2 shown]
	v_mov_b32_e32 v6, v8
	s_lshr_b32 s0, s3, 2
	v_mov_b32_e32 v8, v10
	s_cmp_eq_u64 s[18:19], 0
	v_mad_u64_u32 v[12:13], null, s0, v31, v[6:7]
	v_mov_b32_e32 v6, v11
	v_mad_u64_u32 v[10:11], null, s0, v15, v[8:9]
	v_lshlrev_b32_e32 v11, 4, v0
	s_load_dword s0, s[4:5], 0x40
	v_lshlrev_b64 v[5:6], 2, v[5:6]
	v_mov_b32_e32 v8, v12
	v_or_b32_e32 v15, 0x2400, v32
	v_add_co_u32 v12, vcc_lo, s14, v5
	v_add_co_ci_u32_e64 v13, null, s15, v6, vcc_lo
	v_lshlrev_b64 v[5:6], 2, v[7:8]
	v_add_co_u32 v11, vcc_lo, v12, v11
	v_lshlrev_b64 v[7:8], 2, v[9:10]
	v_add_co_ci_u32_e64 v12, null, 0, v13, vcc_lo
	v_add_co_u32 v5, vcc_lo, v11, v5
	v_add_co_ci_u32_e64 v6, null, v12, v6, vcc_lo
	v_add_co_u32 v10, vcc_lo, v11, v7
	v_add_co_ci_u32_e64 v11, null, v12, v8, vcc_lo
	s_clause 0x1
	global_load_dwordx4 v[6:9], v[5:6], off
	global_load_dwordx4 v[10:13], v[10:11], off
	v_lshlrev_b32_e32 v5, 9, v1
	v_add_nc_u32_e32 v16, v15, v5
	s_waitcnt vmcnt(1) lgkmcnt(0)
	v_fma_mixlo_f16 v6, s0, v6, 0
	v_fma_mixlo_f16 v7, s0, v7, 0
	s_waitcnt vmcnt(0)
	v_fma_mixlo_f16 v10, s0, v10, 0
	v_fma_mixlo_f16 v11, s0, v11, 0
	;; [unrolled: 1-line block ×4, first 2 shown]
	v_lshlrev_b32_e32 v7, 16, v7
	v_and_b32_e32 v6, 0xffff, v6
	v_fma_mixlo_f16 v12, s0, v12, 0
	v_fma_mixlo_f16 v13, s0, v13, 0
	v_lshlrev_b32_e32 v11, 16, v11
	v_and_b32_e32 v10, 0xffff, v10
	v_lshlrev_b32_e32 v9, 16, v9
	v_and_b32_e32 v8, 0xffff, v8
	v_or_b32_e32 v6, v7, v6
	v_lshlrev_b32_e32 v13, 16, v13
	v_and_b32_e32 v12, 0xffff, v12
	v_or_b32_e32 v10, v11, v10
	v_or3_b32 v7, v9, v8, 0
	v_or3_b32 v6, 0, 0, v6
	v_lshl_add_u32 v11, v14, 8, v15
	v_or3_b32 v9, v13, v12, 0
	v_or3_b32 v8, 0, 0, v10
	ds_write_b64 v16, v[6:7]
	ds_write_b64 v11, v[8:9]
	s_waitcnt lgkmcnt(0)
	s_barrier
	buffer_gl0_inv
	s_cbranch_scc1 .LBB13_4
; %bb.3:
	s_load_dword s0, s[4:5], 0xd0
	s_mov_b32 s1, 0
	s_waitcnt lgkmcnt(0)
	s_mul_i32 s0, s0, s29
	s_add_i32 s0, s0, s6
	s_lshl_b64 s[0:1], s[0:1], 2
	s_add_u32 s0, s18, s0
	s_addc_u32 s1, s19, s1
	s_load_dword s30, s[0:1], 0x0
.LBB13_4:
	v_mbcnt_lo_u32_b32 v33, -1, 0
	s_lshl_b32 s18, s28, 6
	s_waitcnt lgkmcnt(0)
	s_cmp_lt_i32 s18, s30
	s_cbranch_scc1 .LBB13_7
; %bb.5:
	v_mbcnt_lo_u32_b32 v7, -1, 0
	v_mov_b32_e32 v6, 32
	v_xor_b32_e32 v38, 16, v7
	v_xor_b32_e32 v37, 8, v7
	;; [unrolled: 1-line block ×5, first 2 shown]
	v_lshlrev_b32_e32 v30, 2, v0
	s_cbranch_execz .LBB13_8
; %bb.6:
	v_mov_b32_e32 v60, 0
	v_mov_b32_e32 v1, 0
	;; [unrolled: 1-line block ×8, first 2 shown]
	s_branch .LBB13_11
.LBB13_7:
                                        ; implicit-def: $vgpr7
                                        ; implicit-def: $vgpr6
                                        ; implicit-def: $vgpr38
                                        ; implicit-def: $vgpr37
                                        ; implicit-def: $vgpr36
                                        ; implicit-def: $vgpr35
                                        ; implicit-def: $vgpr34
	v_lshlrev_b32_e32 v30, 2, v0
.LBB13_8:
	s_clause 0x1
	s_load_dwordx4 s[0:3], s[4:5], 0x98
	s_load_dwordx2 s[8:9], s[4:5], 0x8c
	s_sub_i32 s6, 0, s7
	s_abs_i32 s25, s33
	s_mul_i32 s6, s6, s38
	s_ashr_i32 s36, s33, 31
	s_mul_hi_u32 s6, s38, s6
	s_ashr_i32 s31, s31, 31
	s_add_i32 s38, s38, s6
	s_ashr_i32 s6, s37, 1
	s_mul_hi_u32 s37, s25, s38
	s_ashr_i32 s38, s29, 31
	s_load_dwordx2 s[14:15], s[4:5], 0xa8
	s_mul_i32 s39, s37, s7
	v_lshrrev_b32_e32 v6, 3, v0
	v_and_b32_e32 v23, 28, v30
	v_lshrrev_b32_e32 v9, 4, v0
	v_and_b32_e32 v24, 60, v30
	v_lshl_add_u32 v47, v1, 8, 0x2c00
	v_lshl_add_u32 v7, v1, 2, v6
	s_waitcnt lgkmcnt(0)
	s_ashr_i32 s19, s2, 2
	s_ashr_i32 s24, s8, 2
	s_mul_hi_u32 s2, s0, s29
	s_mul_i32 s8, s0, s38
	s_mul_i32 s1, s1, s29
	s_add_i32 s2, s2, s8
	s_mul_i32 s0, s0, s29
	s_add_i32 s2, s2, s1
	s_add_u32 s0, s10, s0
	s_addc_u32 s1, s11, s2
	s_sub_i32 s8, s25, s39
	s_xor_b32 s2, s36, s31
	s_add_i32 s10, s37, 1
	s_sub_i32 s11, s8, s7
	s_cmp_ge_u32 s8, s7
	v_mul_lo_u32 v6, s24, v7
	s_cselect_b32 s10, s10, s37
	s_cselect_b32 s8, s11, s8
	s_add_i32 s11, s10, 1
	s_cmp_ge_u32 s8, s7
	s_mul_hi_u32 s8, s14, s29
	s_cselect_b32 s7, s11, s10
	s_mul_i32 s10, s15, s29
	s_xor_b32 s7, s7, s2
	v_lshlrev_b32_e32 v8, 2, v23
	s_sub_i32 s2, s7, s2
	s_mul_i32 s7, s14, s38
	s_mul_i32 s9, s2, s9
	;; [unrolled: 1-line block ×3, first 2 shown]
	s_ashr_i32 s11, s9, 31
	s_add_u32 s25, s0, s9
	s_addc_u32 s31, s1, s11
	s_add_i32 s0, s8, s7
	s_mul_i32 s1, s14, s29
	s_add_i32 s0, s0, s10
	s_add_u32 s1, s12, s1
	s_addc_u32 s0, s13, s0
	s_ashr_i32 s3, s2, 31
	s_add_u32 s13, s1, s2
	s_addc_u32 s36, s0, s3
	s_lshl_b32 s0, s24, 4
	v_add_nc_u32_e32 v4, v9, v4
	v_mad_u32_u24 v39, 0x90, v7, v8
	v_add_nc_u32_e32 v8, s0, v6
	v_lshlrev_b32_e32 v13, 2, v24
	v_ashrrev_i32_e32 v7, 31, v6
	v_mul_lo_u32 v12, s19, v4
	v_add_nc_u32_e32 v44, 0x2400, v5
	v_add_nc_u32_e32 v10, s0, v8
	v_ashrrev_i32_e32 v9, 31, v8
	v_lshl_or_b32 v46, v4, 8, v13
	v_mad_u64_u32 v[3:4], null, v3, s6, v[0:1]
	v_add_nc_u32_e32 v14, s0, v10
	s_lshl_b32 s0, s19, 3
	v_ashrrev_i32_e32 v11, 31, v10
	v_add_nc_u32_e32 v16, s0, v12
	v_ashrrev_i32_e32 v13, 31, v12
	v_ashrrev_i32_e32 v15, 31, v14
	v_lshlrev_b64 v[4:5], 2, v[6:7]
	v_lshlrev_b64 v[6:7], 2, v[8:9]
	v_add_nc_u32_e32 v18, s0, v16
	v_ashrrev_i32_e32 v17, 31, v16
	v_lshlrev_b64 v[8:9], 2, v[10:11]
	v_lshlrev_b64 v[10:11], 2, v[14:15]
	v_lshlrev_b64 v[12:13], 2, v[12:13]
	v_add_nc_u32_e32 v21, s0, v18
	v_ashrrev_i32_e32 v19, 31, v18
	v_lshlrev_b64 v[14:15], 2, v[16:17]
	v_mov_b32_e32 v58, 0
	v_add_nc_u32_e32 v41, 0x900, v39
	v_ashrrev_i32_e32 v22, 31, v21
	v_lshlrev_b64 v[16:17], 2, v[18:19]
	v_add_nc_u32_e32 v42, 0x1200, v39
	v_add_nc_u32_e32 v43, 0x1b00, v39
	v_mul_u32_u24_e32 v45, 0x90, v0
	v_lshlrev_b64 v[18:19], 2, v[21:22]
	v_add_nc_u32_e32 v48, 0x800, v46
	v_add_nc_u32_e32 v49, 0x1000, v46
	;; [unrolled: 1-line block ×3, first 2 shown]
	v_mov_b32_e32 v20, 0xfeffffff
	v_lshlrev_b32_e32 v51, 2, v23
	v_xor_b32_e32 v38, 16, v33
	v_xor_b32_e32 v37, 8, v33
	;; [unrolled: 1-line block ×5, first 2 shown]
	v_add_nc_u32_e32 v52, v47, v30
	v_lshlrev_b32_e32 v53, 2, v24
	v_mov_b32_e32 v54, 0x10001
	v_add_nc_u32_e32 v55, 0x800, v32
	v_add_nc_u32_e32 v56, 0x1000, v32
	;; [unrolled: 1-line block ×3, first 2 shown]
	v_mov_b32_e32 v59, 0
	v_mov_b32_e32 v61, 0
	;; [unrolled: 1-line block ×6, first 2 shown]
	s_add_u32 s14, s4, 0xd0
	s_addc_u32 s15, s5, 0
.LBB13_9:                               ; =>This Inner Loop Header: Depth=1
	s_mul_hi_i32 s7, s18, s24
	s_mul_i32 s6, s18, s24
	v_cmp_gt_i32_e64 s3, 32, v35
	v_cmp_gt_i32_e64 s0, 32, v38
	s_lshl_b64 s[6:7], s[6:7], 2
	v_cmp_gt_i32_e64 s1, 32, v37
	v_cmp_gt_i32_e64 s2, 32, v36
	s_add_u32 s6, s25, s6
	v_mov_b32_e32 v62, v21
	v_cndmask_b32_e64 v25, v33, v35, s3
	s_addc_u32 s7, s31, s7
	v_add_co_u32 v21, s3, s6, v4
	v_cndmask_b32_e64 v22, v33, v38, s0
	v_add_co_u32 v27, s0, s6, v6
	v_cndmask_b32_e64 v23, v33, v37, s1
	v_add_co_u32 v29, s1, s6, v8
	v_add_co_ci_u32_e64 v26, null, s7, v5, s3
	v_cndmask_b32_e64 v24, v33, v36, s2
	v_add_co_u32 v69, s2, s6, v10
	v_add_co_ci_u32_e64 v28, null, s7, v7, s0
	v_add_co_ci_u32_e64 v68, null, s7, v9, s1
	;; [unrolled: 1-line block ×3, first 2 shown]
	v_add_co_u32 v87, s3, v21, v51
	v_add_co_u32 v81, s0, v27, v51
	;; [unrolled: 1-line block ×3, first 2 shown]
	v_add_co_ci_u32_e64 v88, null, 0, v26, s3
	v_add_co_u32 v85, s2, v69, v51
	v_add_co_ci_u32_e64 v82, null, 0, v28, s0
	v_add_co_ci_u32_e64 v84, null, 0, v68, s1
	;; [unrolled: 1-line block ×3, first 2 shown]
	s_clause 0x3
	global_load_dwordx4 v[26:29], v[87:88], off
	global_load_dwordx4 v[68:71], v[81:82], off
	;; [unrolled: 1-line block ×4, first 2 shown]
	v_mov_b32_e32 v64, 0
	v_mov_b32_e32 v65, 0
	;; [unrolled: 1-line block ×5, first 2 shown]
	v_add_nc_u32_e32 v20, s18, v3
	v_cmp_gt_i32_e32 vcc_lo, 32, v34
	s_mul_hi_i32 s9, s18, s19
	s_mul_i32 s8, s18, s19
	s_waitcnt vmcnt(3)
	ds_write_b128 v39, v[26:29]
	s_waitcnt vmcnt(2)
	ds_write_b128 v41, v[68:71]
	;; [unrolled: 2-line block ×4, first 2 shown]
	s_waitcnt lgkmcnt(0)
	s_barrier
	buffer_gl0_inv
	ds_read_b128 v[26:29], v45
	ds_read_b128 v[68:71], v44
	ds_read_b128 v[72:75], v44 offset:256
	ds_read_b128 v[76:79], v45 offset:4608
	s_waitcnt lgkmcnt(2)
	;;#ASMSTART
	v_dot2_f32_f16 v64, v26, v68, v64
	;;#ASMEND
	;;#ASMSTART
	v_dot2_f32_f16 v64, v27, v69, v64
	;;#ASMEND
	;;#ASMSTART
	v_dot2_f32_f16 v64, v28, v70, v64
	;;#ASMEND
	;;#ASMSTART
	v_dot2_f32_f16 v64, v29, v71, v64
	;;#ASMEND
	s_waitcnt lgkmcnt(1)
	;;#ASMSTART
	v_dot2_f32_f16 v65, v26, v72, v65
	;;#ASMEND
	;;#ASMSTART
	v_dot2_f32_f16 v65, v27, v73, v65
	;;#ASMEND
	;;#ASMSTART
	v_dot2_f32_f16 v65, v28, v74, v65
	;;#ASMEND
	;;#ASMSTART
	v_dot2_f32_f16 v65, v29, v75, v65
	;;#ASMEND
	s_waitcnt lgkmcnt(0)
	;;#ASMSTART
	v_dot2_f32_f16 v66, v76, v68, v66
	;;#ASMEND
	;;#ASMSTART
	v_dot2_f32_f16 v66, v77, v69, v66
	;;#ASMEND
	;;#ASMSTART
	v_dot2_f32_f16 v66, v78, v70, v66
	;;#ASMEND
	;;#ASMSTART
	v_dot2_f32_f16 v66, v79, v71, v66
	;;#ASMEND
	;;#ASMSTART
	v_dot2_f32_f16 v67, v76, v72, v67
	;;#ASMEND
	;;#ASMSTART
	v_dot2_f32_f16 v67, v77, v73, v67
	;;#ASMEND
	;;#ASMSTART
	v_dot2_f32_f16 v67, v78, v74, v67
	;;#ASMEND
	;;#ASMSTART
	v_dot2_f32_f16 v67, v79, v75, v67
	;;#ASMEND
	ds_read_b128 v[26:29], v45 offset:16
	ds_read_b128 v[68:71], v44 offset:16
	ds_read_b128 v[72:75], v44 offset:272
	ds_read_b128 v[76:79], v45 offset:4624
	s_waitcnt lgkmcnt(2)
	;;#ASMSTART
	v_dot2_f32_f16 v64, v26, v68, v64
	;;#ASMEND
	;;#ASMSTART
	v_dot2_f32_f16 v64, v27, v69, v64
	;;#ASMEND
	;;#ASMSTART
	v_dot2_f32_f16 v64, v28, v70, v64
	;;#ASMEND
	;;#ASMSTART
	v_dot2_f32_f16 v64, v29, v71, v64
	;;#ASMEND
	s_waitcnt lgkmcnt(1)
	;;#ASMSTART
	v_dot2_f32_f16 v65, v26, v72, v65
	;;#ASMEND
	;;#ASMSTART
	v_dot2_f32_f16 v65, v27, v73, v65
	;;#ASMEND
	;;#ASMSTART
	v_dot2_f32_f16 v65, v28, v74, v65
	;;#ASMEND
	;;#ASMSTART
	v_dot2_f32_f16 v65, v29, v75, v65
	;;#ASMEND
	s_waitcnt lgkmcnt(0)
	;;#ASMSTART
	v_dot2_f32_f16 v66, v76, v68, v66
	;;#ASMEND
	;;#ASMSTART
	v_dot2_f32_f16 v66, v77, v69, v66
	;;#ASMEND
	;;#ASMSTART
	v_dot2_f32_f16 v66, v78, v70, v66
	;;#ASMEND
	;;#ASMSTART
	v_dot2_f32_f16 v66, v79, v71, v66
	;;#ASMEND
	;;#ASMSTART
	v_dot2_f32_f16 v67, v76, v72, v67
	;;#ASMEND
	;;#ASMSTART
	v_dot2_f32_f16 v67, v77, v73, v67
	;;#ASMEND
	;;#ASMSTART
	v_dot2_f32_f16 v67, v78, v74, v67
	;;#ASMEND
	;;#ASMSTART
	v_dot2_f32_f16 v67, v79, v75, v67
	;;#ASMEND
	ds_read_b128 v[26:29], v45 offset:32
	ds_read_b128 v[68:71], v44 offset:32
	;; [unrolled: 55-line block ×7, first 2 shown]
	ds_read_b128 v[73:76], v44 offset:368
	ds_read_b128 v[77:80], v45 offset:4720
	s_waitcnt lgkmcnt(2)
	;;#ASMSTART
	v_dot2_f32_f16 v64, v26, v68, v64
	;;#ASMEND
	;;#ASMSTART
	v_dot2_f32_f16 v64, v27, v69, v64
	;;#ASMEND
	;; [unrolled: 3-line block ×4, first 2 shown]
	s_waitcnt lgkmcnt(1)
	;;#ASMSTART
	v_dot2_f32_f16 v65, v26, v73, v65
	;;#ASMEND
	;;#ASMSTART
	v_dot2_f32_f16 v65, v27, v74, v65
	;;#ASMEND
	;; [unrolled: 3-line block ×4, first 2 shown]
	s_waitcnt lgkmcnt(0)
	;;#ASMSTART
	v_dot2_f32_f16 v66, v77, v68, v66
	;;#ASMEND
	v_cndmask_b32_e32 v26, v33, v34, vcc_lo
	v_ashrrev_i32_e32 v21, 31, v20
	;;#ASMSTART
	v_dot2_f32_f16 v66, v78, v69, v66
	;;#ASMEND
	;;#ASMSTART
	v_dot2_f32_f16 v66, v79, v70, v66
	;;#ASMEND
	;;#ASMSTART
	v_dot2_f32_f16 v66, v80, v71, v66
	;;#ASMEND
	;;#ASMSTART
	v_dot2_f32_f16 v67, v77, v73, v67
	;;#ASMEND
	;;#ASMSTART
	v_dot2_f32_f16 v67, v78, v74, v67
	;;#ASMEND
	;;#ASMSTART
	v_dot2_f32_f16 v67, v79, v75, v67
	;;#ASMEND
	v_lshlrev_b32_e32 v72, 2, v22
	v_lshlrev_b32_e32 v71, 2, v23
	;; [unrolled: 1-line block ×5, first 2 shown]
	v_lshlrev_b64 v[28:29], 1, v[20:21]
	;;#ASMSTART
	v_dot2_f32_f16 v67, v80, v76, v67
	;;#ASMEND
	s_barrier
	buffer_gl0_inv
	s_clause 0x3
	global_load_dwordx4 v[20:23], v[87:88], off offset:128
	global_load_dwordx4 v[24:27], v[81:82], off offset:128
	;; [unrolled: 1-line block ×4, first 2 shown]
	s_lshl_b64 s[0:1], s[8:9], 2
	s_waitcnt vmcnt(3)
	ds_write_b128 v39, v[20:23]
	s_waitcnt vmcnt(2)
	ds_write_b128 v41, v[24:27]
	;; [unrolled: 2-line block ×4, first 2 shown]
	s_waitcnt lgkmcnt(0)
	s_barrier
	buffer_gl0_inv
	ds_read_b128 v[20:23], v45
	ds_read_b128 v[24:27], v44 offset:128
	ds_read_b128 v[73:76], v44 offset:384
	ds_read_b128 v[77:80], v45 offset:4608
	s_waitcnt lgkmcnt(2)
	;;#ASMSTART
	v_dot2_f32_f16 v64, v20, v24, v64
	;;#ASMEND
	;;#ASMSTART
	v_dot2_f32_f16 v64, v21, v25, v64
	;;#ASMEND
	;;#ASMSTART
	v_dot2_f32_f16 v64, v22, v26, v64
	;;#ASMEND
	;;#ASMSTART
	v_dot2_f32_f16 v64, v23, v27, v64
	;;#ASMEND
	s_waitcnt lgkmcnt(1)
	;;#ASMSTART
	v_dot2_f32_f16 v65, v20, v73, v65
	;;#ASMEND
	;;#ASMSTART
	v_dot2_f32_f16 v65, v21, v74, v65
	;;#ASMEND
	;;#ASMSTART
	v_dot2_f32_f16 v65, v22, v75, v65
	;;#ASMEND
	;;#ASMSTART
	v_dot2_f32_f16 v65, v23, v76, v65
	;;#ASMEND
	s_waitcnt lgkmcnt(0)
	;;#ASMSTART
	v_dot2_f32_f16 v66, v77, v24, v66
	;;#ASMEND
	;;#ASMSTART
	v_dot2_f32_f16 v66, v78, v25, v66
	;;#ASMEND
	;;#ASMSTART
	v_dot2_f32_f16 v66, v79, v26, v66
	;;#ASMEND
	;;#ASMSTART
	v_dot2_f32_f16 v66, v80, v27, v66
	;;#ASMEND
	;;#ASMSTART
	v_dot2_f32_f16 v67, v77, v73, v67
	;;#ASMEND
	;;#ASMSTART
	v_dot2_f32_f16 v67, v78, v74, v67
	;;#ASMEND
	;;#ASMSTART
	v_dot2_f32_f16 v67, v79, v75, v67
	;;#ASMEND
	;;#ASMSTART
	v_dot2_f32_f16 v67, v80, v76, v67
	;;#ASMEND
	ds_read_b128 v[20:23], v45 offset:16
	ds_read_b128 v[24:27], v44 offset:144
	ds_read_b128 v[73:76], v44 offset:400
	ds_read_b128 v[77:80], v45 offset:4624
	s_waitcnt lgkmcnt(2)
	;;#ASMSTART
	v_dot2_f32_f16 v64, v20, v24, v64
	;;#ASMEND
	;;#ASMSTART
	v_dot2_f32_f16 v64, v21, v25, v64
	;;#ASMEND
	;;#ASMSTART
	v_dot2_f32_f16 v64, v22, v26, v64
	;;#ASMEND
	;;#ASMSTART
	v_dot2_f32_f16 v64, v23, v27, v64
	;;#ASMEND
	s_waitcnt lgkmcnt(1)
	;;#ASMSTART
	v_dot2_f32_f16 v65, v20, v73, v65
	;;#ASMEND
	;;#ASMSTART
	v_dot2_f32_f16 v65, v21, v74, v65
	;;#ASMEND
	;;#ASMSTART
	v_dot2_f32_f16 v65, v22, v75, v65
	;;#ASMEND
	;;#ASMSTART
	v_dot2_f32_f16 v65, v23, v76, v65
	;;#ASMEND
	s_waitcnt lgkmcnt(0)
	;;#ASMSTART
	v_dot2_f32_f16 v66, v77, v24, v66
	;;#ASMEND
	;;#ASMSTART
	v_dot2_f32_f16 v66, v78, v25, v66
	;;#ASMEND
	;;#ASMSTART
	v_dot2_f32_f16 v66, v79, v26, v66
	;;#ASMEND
	;;#ASMSTART
	v_dot2_f32_f16 v66, v80, v27, v66
	;;#ASMEND
	;;#ASMSTART
	v_dot2_f32_f16 v67, v77, v73, v67
	;;#ASMEND
	;;#ASMSTART
	v_dot2_f32_f16 v67, v78, v74, v67
	;;#ASMEND
	;;#ASMSTART
	v_dot2_f32_f16 v67, v79, v75, v67
	;;#ASMEND
	;;#ASMSTART
	v_dot2_f32_f16 v67, v80, v76, v67
	;;#ASMEND
	ds_read_b128 v[20:23], v45 offset:32
	;; [unrolled: 55-line block ×7, first 2 shown]
	ds_read_b128 v[24:27], v44 offset:240
	ds_read_b128 v[73:76], v44 offset:496
	;; [unrolled: 1-line block ×3, first 2 shown]
	s_add_u32 s2, s13, s0
	s_waitcnt lgkmcnt(2)
	;;#ASMSTART
	v_dot2_f32_f16 v64, v20, v24, v64
	;;#ASMEND
	s_addc_u32 s3, s36, s1
	v_add_co_u32 v89, vcc_lo, s2, v12
	;;#ASMSTART
	v_dot2_f32_f16 v64, v21, v25, v64
	;;#ASMEND
	s_or_b32 s6, s18, 32
	;;#ASMSTART
	v_dot2_f32_f16 v64, v22, v26, v64
	;;#ASMEND
	v_add_co_u32 v90, s0, s2, v14
	v_add_co_u32 v91, s1, s2, v16
	;; [unrolled: 1-line block ×3, first 2 shown]
	v_add_co_ci_u32_e64 v93, null, s3, v13, vcc_lo
	;;#ASMSTART
	v_dot2_f32_f16 v64, v23, v27, v64
	;;#ASMEND
	s_waitcnt lgkmcnt(1)
	;;#ASMSTART
	v_dot2_f32_f16 v65, v20, v73, v65
	;;#ASMEND
	s_mul_hi_i32 s7, s6, s19
	s_mul_i32 s6, s6, s19
	;;#ASMSTART
	v_dot2_f32_f16 v65, v21, v74, v65
	;;#ASMEND
	v_add_co_ci_u32_e64 v95, null, s3, v17, s1
	;;#ASMSTART
	v_dot2_f32_f16 v65, v22, v75, v65
	;;#ASMEND
	v_add_co_ci_u32_e64 v22, null, s3, v19, s2
	v_add_co_ci_u32_e64 v94, null, s3, v15, s0
	s_lshl_b64 s[2:3], s[6:7], 2
	v_add_co_u32 v20, s0, v89, v53
	v_add_co_u32 v81, vcc_lo, v92, v53
	s_add_u32 s6, s13, s2
	v_add_co_ci_u32_e64 v21, null, 0, v93, s0
	v_add_co_u32 v85, s0, v91, v53
	;;#ASMSTART
	v_dot2_f32_f16 v65, v23, v76, v65
	;;#ASMEND
	v_add_co_u32 v83, s1, v90, v53
	s_addc_u32 s7, s36, s3
	v_add_co_ci_u32_e64 v86, null, 0, v95, s0
	v_add_co_ci_u32_e64 v82, null, 0, v22, vcc_lo
	v_add_co_u32 v87, vcc_lo, s34, v28
	v_add_co_u32 v23, s0, s6, v14
	s_waitcnt lgkmcnt(0)
	;;#ASMSTART
	v_dot2_f32_f16 v66, v77, v24, v66
	;;#ASMEND
	v_add_co_u32 v24, s3, s6, v12
	v_add_co_ci_u32_e64 v84, null, 0, v94, s1
	;;#ASMSTART
	v_dot2_f32_f16 v66, v78, v25, v66
	;;#ASMEND
	v_add_co_u32 v25, s1, s6, v16
	v_add_co_ci_u32_e64 v88, null, s35, v29, vcc_lo
	v_add_co_ci_u32_e64 v89, null, s7, v15, s0
	;;#ASMSTART
	v_dot2_f32_f16 v66, v79, v26, v66
	;;#ASMEND
	;;#ASMSTART
	v_dot2_f32_f16 v66, v80, v27, v66
	;;#ASMEND
	;; [unrolled: 3-line block ×3, first 2 shown]
	v_add_co_u32 v22, s2, s6, v18
	v_add_co_ci_u32_e64 v90, null, s7, v17, s1
	;;#ASMSTART
	v_dot2_f32_f16 v67, v78, v74, v67
	;;#ASMEND
	v_add_co_u32 v28, s0, v24, v53
	v_add_co_u32 v24, s1, v23, v53
	;;#ASMSTART
	v_dot2_f32_f16 v67, v79, v75, v67
	;;#ASMEND
	;;#ASMSTART
	v_dot2_f32_f16 v67, v80, v76, v67
	;;#ASMEND
	v_add_co_ci_u32_e64 v73, null, s7, v19, s2
	v_add_co_u32 v26, s2, v25, v53
	v_add_co_ci_u32_e64 v25, null, 0, v89, s1
	s_clause 0x1
	global_load_ushort v89, v[87:88], off
	global_load_ushort v87, v[87:88], off offset:64
	v_add_co_u32 v22, vcc_lo, v22, v53
	v_add_co_ci_u32_e64 v23, null, 0, v73, vcc_lo
	s_waitcnt vmcnt(0)
	s_barrier
	buffer_gl0_inv
	s_clause 0x1
	global_load_dwordx4 v[73:76], v[20:21], off
	global_load_dwordx4 v[77:80], v[83:84], off
	v_add_co_ci_u32_e64 v27, null, s7, v13, s3
	v_add_co_ci_u32_e64 v29, null, 0, v27, s0
	;; [unrolled: 1-line block ×3, first 2 shown]
	v_cvt_f32_f16_e32 v20, v89
	v_cvt_f32_f16_e32 v21, v87
	v_add_f32_e32 v64, v64, v20
	v_add_f32_e32 v66, v66, v21
	;; [unrolled: 1-line block ×8, first 2 shown]
	v_max3_f32 v20, v63, v20, v21
	v_max3_f32 v21, v62, v83, v84
	ds_bpermute_b32 v83, v72, v20
	ds_bpermute_b32 v72, v72, v21
	s_waitcnt lgkmcnt(1)
	v_max_f32_e32 v83, v83, v83
	s_waitcnt lgkmcnt(0)
	v_max_f32_e32 v72, v72, v72
	v_max_f32_e32 v20, v20, v83
	v_max_f32_e32 v21, v21, v72
	ds_bpermute_b32 v72, v71, v20
	ds_bpermute_b32 v71, v71, v21
	s_waitcnt lgkmcnt(1)
	v_max_f32_e32 v72, v72, v72
	s_waitcnt lgkmcnt(0)
	v_max_f32_e32 v71, v71, v71
	v_max_f32_e32 v20, v20, v72
	v_max_f32_e32 v21, v21, v71
	;; [unrolled: 8-line block ×5, first 2 shown]
	v_sub_f32_e32 v64, v64, v20
	v_sub_f32_e32 v63, v63, v20
	;; [unrolled: 1-line block ×5, first 2 shown]
	v_mul_f32_e32 v68, 0x3fb8aa3b, v64
	v_mul_f32_e32 v70, 0x3fb8aa3b, v63
	v_mul_f32_e32 v69, 0x3fb8aa3b, v66
	v_sub_f32_e32 v62, v62, v21
	v_mul_f32_e32 v71, 0x3fb8aa3b, v65
	v_fma_f32 v84, 0x3fb8aa3b, v64, -v68
	v_mul_f32_e32 v72, 0x3fb8aa3b, v67
	v_cmp_ngt_f32_e64 s6, 0xc2ce8ed0, v64
	v_cmp_nlt_f32_e64 s12, 0x42b17218, v64
	v_fma_f32 v87, 0x3fb8aa3b, v66, -v69
	v_fmac_f32_e32 v84, 0x32a5705f, v64
	v_fma_f32 v64, 0x3fb8aa3b, v63, -v70
	v_mul_f32_e32 v83, 0x3fb8aa3b, v62
	v_cmp_ngt_f32_e32 vcc_lo, 0xc2ce8ed0, v66
	v_cmp_ngt_f32_e64 s0, 0xc2ce8ed0, v63
	v_cmp_nlt_f32_e64 s7, 0x42b17218, v66
	v_cmp_nlt_f32_e64 s8, 0x42b17218, v63
	v_fmac_f32_e32 v87, 0x32a5705f, v66
	v_fma_f32 v66, 0x3fb8aa3b, v65, -v71
	v_fmac_f32_e32 v64, 0x32a5705f, v63
	v_fma_f32 v63, 0x3fb8aa3b, v67, -v72
	v_cmp_ngt_f32_e64 s1, 0xc2ce8ed0, v65
	v_cmp_ngt_f32_e64 s2, 0xc2ce8ed0, v67
	v_cmp_nlt_f32_e64 s9, 0x42b17218, v65
	v_cmp_nlt_f32_e64 s10, 0x42b17218, v67
	v_fmac_f32_e32 v66, 0x32a5705f, v65
	v_fma_f32 v65, 0x3fb8aa3b, v62, -v83
	v_fmac_f32_e32 v63, 0x32a5705f, v67
	v_rndne_f32_e32 v67, v68
	v_cmp_ngt_f32_e64 s3, 0xc2ce8ed0, v62
	v_cmp_nlt_f32_e64 s11, 0x42b17218, v62
	v_fmac_f32_e32 v65, 0x32a5705f, v62
	v_rndne_f32_e32 v62, v69
	v_sub_f32_e32 v68, v68, v67
	v_rndne_f32_e32 v88, v70
	v_rndne_f32_e32 v89, v71
	;; [unrolled: 1-line block ×4, first 2 shown]
	v_add_f32_e32 v84, v68, v84
	v_sub_f32_e32 v68, v69, v62
	v_cvt_i32_f32_e32 v62, v62
	v_sub_f32_e32 v69, v83, v91
	v_cvt_i32_f32_e32 v67, v67
	v_add_f32_e32 v87, v68, v87
	v_sub_f32_e32 v68, v70, v88
	v_add_f32_e32 v65, v69, v65
	v_exp_f32_e32 v83, v87
	v_add_f32_e32 v64, v68, v64
	v_sub_f32_e32 v68, v71, v89
	v_exp_f32_e32 v65, v65
	v_cvt_i32_f32_e32 v87, v91
	v_exp_f32_e32 v64, v64
	v_add_f32_e32 v66, v68, v66
	v_sub_f32_e32 v68, v72, v90
	v_exp_f32_e32 v72, v84
	v_ldexp_f32 v62, v83, v62
	global_load_dwordx4 v[81:84], v[81:82], off
	v_exp_f32_e32 v66, v66
	v_add_f32_e32 v63, v68, v63
	global_load_dwordx4 v[68:71], v[85:86], off
	v_cvt_i32_f32_e32 v85, v89
	v_cvt_i32_f32_e32 v86, v90
	v_ldexp_f32 v65, v65, v87
	v_exp_f32_e32 v63, v63
	v_ldexp_f32 v67, v72, v67
	v_cvt_i32_f32_e32 v72, v88
	v_ldexp_f32 v66, v66, v85
	v_cndmask_b32_e64 v65, 0, v65, s3
	v_cndmask_b32_e64 v67, 0, v67, s6
	v_ldexp_f32 v64, v64, v72
	v_cndmask_b32_e32 v72, 0, v62, vcc_lo
	v_ldexp_f32 v63, v63, v86
	v_cndmask_b32_e64 v62, 0x7f800000, v67, s12
	v_cndmask_b32_e64 v85, 0, v64, s0
	;; [unrolled: 1-line block ×8, first 2 shown]
	v_cvt_f16_f32_e32 v72, v62
	v_cndmask_b32_e64 v67, 0x7f800000, v86, s10
	v_cvt_f16_f32_e32 v86, v63
	v_cvt_f16_f32_e32 v85, v64
	;; [unrolled: 1-line block ×3, first 2 shown]
	v_pack_b32_f16 v72, v72, v85
	v_cvt_f16_f32_e32 v85, v66
	v_pack_b32_f16 v86, v86, v87
	v_cvt_f16_f32_e32 v87, v65
	ds_write2_b32 v52, v72, v86 offset1:32
	s_waitcnt vmcnt(3)
	ds_write_b128 v46, v[73:76]
	s_waitcnt vmcnt(2)
	ds_write_b128 v48, v[77:80]
	;; [unrolled: 2-line block ×3, first 2 shown]
	ds_write_b128 v50, v[81:84]
	s_waitcnt lgkmcnt(0)
	s_barrier
	buffer_gl0_inv
	ds_read_b128 v[68:71], v47
	ds_read2_b64 v[72:75], v32 offset1:32
	v_mul_u32_u24_sdwa v87, v87, v54 dst_sel:DWORD dst_unused:UNUSED_PAD src0_sel:WORD_0 src1_sel:DWORD
	v_mul_u32_u24_sdwa v85, v85, v54 dst_sel:DWORD dst_unused:UNUSED_PAD src0_sel:WORD_0 src1_sel:DWORD
	ds_read_b128 v[76:79], v47 offset:16
	ds_read2_b64 v[80:83], v32 offset0:64 offset1:96
	v_pk_mul_f16 v58, v58, v87
	v_pk_mul_f16 v61, v61, v85
	s_waitcnt lgkmcnt(3)
	v_mul_u32_u24_sdwa v84, v68, v54 dst_sel:DWORD dst_unused:UNUSED_PAD src0_sel:WORD_0 src1_sel:DWORD
	v_mul_u32_u24_sdwa v68, v68, v54 dst_sel:DWORD dst_unused:UNUSED_PAD src0_sel:WORD_1 src1_sel:DWORD
	s_waitcnt lgkmcnt(2)
	v_pk_mul_f16 v86, v72, v84
	v_pk_fma_f16 v58, v73, v68, v58
	v_pk_mul_f16 v68, v72, v68
	v_pk_fma_f16 v61, v73, v84, v61
	v_mul_u32_u24_sdwa v84, v70, v54 dst_sel:DWORD dst_unused:UNUSED_PAD src0_sel:WORD_0 src1_sel:DWORD
	v_pk_fma_f16 v60, v60, v85, v86
	v_mul_u32_u24_sdwa v85, v69, v54 dst_sel:DWORD dst_unused:UNUSED_PAD src0_sel:WORD_0 src1_sel:DWORD
	v_mul_u32_u24_sdwa v69, v69, v54 dst_sel:DWORD dst_unused:UNUSED_PAD src0_sel:WORD_1 src1_sel:DWORD
	v_pk_fma_f16 v59, v59, v87, v68
	v_mul_u32_u24_sdwa v86, v71, v54 dst_sel:DWORD dst_unused:UNUSED_PAD src0_sel:WORD_0 src1_sel:DWORD
	v_mul_u32_u24_sdwa v87, v71, v54 dst_sel:DWORD dst_unused:UNUSED_PAD src0_sel:WORD_1 src1_sel:DWORD
	v_pk_fma_f16 v72, v75, v85, v61
	v_pk_fma_f16 v73, v75, v69, v58
	;; [unrolled: 1-line block ×4, first 2 shown]
	ds_read2_b64 v[58:61], v32 offset0:128 offset1:160
	v_mul_u32_u24_sdwa v85, v70, v54 dst_sel:DWORD dst_unused:UNUSED_PAD src0_sel:WORD_1 src1_sel:DWORD
	s_waitcnt lgkmcnt(1)
	v_pk_fma_f16 v72, v81, v84, v72
	v_pk_fma_f16 v75, v80, v84, v75
	v_mul_u32_u24_sdwa v84, v76, v54 dst_sel:DWORD dst_unused:UNUSED_PAD src0_sel:WORD_0 src1_sel:DWORD
	v_mul_u32_u24_sdwa v76, v76, v54 dst_sel:DWORD dst_unused:UNUSED_PAD src0_sel:WORD_1 src1_sel:DWORD
	v_pk_fma_f16 v73, v81, v85, v73
	v_pk_fma_f16 v74, v80, v85, v74
	;; [unrolled: 1-line block ×3, first 2 shown]
	ds_read_b128 v[68:71], v47 offset:32
	v_mul_u32_u24_sdwa v85, v77, v54 dst_sel:DWORD dst_unused:UNUSED_PAD src0_sel:WORD_0 src1_sel:DWORD
	v_pk_fma_f16 v81, v83, v87, v73
	v_pk_fma_f16 v83, v82, v86, v75
	;; [unrolled: 1-line block ×3, first 2 shown]
	ds_read2_b64 v[72:75], v32 offset0:192 offset1:224
	v_mul_u32_u24_sdwa v77, v77, v54 dst_sel:DWORD dst_unused:UNUSED_PAD src0_sel:WORD_1 src1_sel:DWORD
	v_mul_u32_u24_sdwa v86, v79, v54 dst_sel:DWORD dst_unused:UNUSED_PAD src0_sel:WORD_0 src1_sel:DWORD
	v_mul_u32_u24_sdwa v87, v79, v54 dst_sel:DWORD dst_unused:UNUSED_PAD src0_sel:WORD_1 src1_sel:DWORD
	s_waitcnt lgkmcnt(2)
	v_pk_fma_f16 v80, v59, v84, v80
	v_pk_fma_f16 v59, v59, v76, v81
	;; [unrolled: 1-line block ×4, first 2 shown]
	v_mul_u32_u24_sdwa v84, v78, v54 dst_sel:DWORD dst_unused:UNUSED_PAD src0_sel:WORD_0 src1_sel:DWORD
	v_pk_fma_f16 v80, v61, v85, v80
	v_pk_fma_f16 v82, v61, v77, v59
	;; [unrolled: 1-line block ×4, first 2 shown]
	ds_read2_b64 v[58:61], v55 offset1:32
	v_mul_u32_u24_sdwa v85, v78, v54 dst_sel:DWORD dst_unused:UNUSED_PAD src0_sel:WORD_1 src1_sel:DWORD
	ds_read_b128 v[76:79], v47 offset:48
	s_waitcnt lgkmcnt(2)
	v_pk_fma_f16 v80, v73, v84, v80
	v_pk_fma_f16 v73, v73, v85, v82
	;; [unrolled: 1-line block ×4, first 2 shown]
	v_mul_u32_u24_sdwa v84, v68, v54 dst_sel:DWORD dst_unused:UNUSED_PAD src0_sel:WORD_0 src1_sel:DWORD
	v_pk_fma_f16 v80, v75, v86, v80
	v_pk_fma_f16 v82, v75, v87, v73
	;; [unrolled: 1-line block ×4, first 2 shown]
	ds_read2_b64 v[72:75], v55 offset0:64 offset1:96
	v_mul_u32_u24_sdwa v68, v68, v54 dst_sel:DWORD dst_unused:UNUSED_PAD src0_sel:WORD_1 src1_sel:DWORD
	v_mul_u32_u24_sdwa v85, v69, v54 dst_sel:DWORD dst_unused:UNUSED_PAD src0_sel:WORD_0 src1_sel:DWORD
	v_mul_u32_u24_sdwa v69, v69, v54 dst_sel:DWORD dst_unused:UNUSED_PAD src0_sel:WORD_1 src1_sel:DWORD
	v_mul_u32_u24_sdwa v86, v71, v54 dst_sel:DWORD dst_unused:UNUSED_PAD src0_sel:WORD_0 src1_sel:DWORD
	v_mul_u32_u24_sdwa v87, v71, v54 dst_sel:DWORD dst_unused:UNUSED_PAD src0_sel:WORD_1 src1_sel:DWORD
	s_waitcnt lgkmcnt(2)
	v_pk_fma_f16 v80, v59, v84, v80
	v_pk_fma_f16 v59, v59, v68, v82
	;; [unrolled: 1-line block ×4, first 2 shown]
	v_mul_u32_u24_sdwa v84, v70, v54 dst_sel:DWORD dst_unused:UNUSED_PAD src0_sel:WORD_0 src1_sel:DWORD
	v_pk_fma_f16 v80, v61, v85, v80
	v_pk_fma_f16 v82, v61, v69, v59
	;; [unrolled: 1-line block ×4, first 2 shown]
	ds_read2_b64 v[58:61], v55 offset0:128 offset1:160
	v_mul_u32_u24_sdwa v85, v70, v54 dst_sel:DWORD dst_unused:UNUSED_PAD src0_sel:WORD_1 src1_sel:DWORD
	ds_read2_b64 v[68:71], v55 offset0:192 offset1:224
	s_waitcnt lgkmcnt(2)
	v_pk_fma_f16 v80, v73, v84, v80
	v_pk_fma_f16 v73, v73, v85, v82
	;; [unrolled: 1-line block ×4, first 2 shown]
	v_mul_u32_u24_sdwa v84, v76, v54 dst_sel:DWORD dst_unused:UNUSED_PAD src0_sel:WORD_0 src1_sel:DWORD
	v_pk_fma_f16 v80, v75, v86, v80
	v_pk_fma_f16 v82, v75, v87, v73
	;; [unrolled: 1-line block ×4, first 2 shown]
	v_mul_u32_u24_sdwa v76, v76, v54 dst_sel:DWORD dst_unused:UNUSED_PAD src0_sel:WORD_1 src1_sel:DWORD
	ds_read_b128 v[72:75], v47 offset:64
	v_mul_u32_u24_sdwa v85, v77, v54 dst_sel:DWORD dst_unused:UNUSED_PAD src0_sel:WORD_0 src1_sel:DWORD
	v_mul_u32_u24_sdwa v77, v77, v54 dst_sel:DWORD dst_unused:UNUSED_PAD src0_sel:WORD_1 src1_sel:DWORD
	v_mul_u32_u24_sdwa v86, v79, v54 dst_sel:DWORD dst_unused:UNUSED_PAD src0_sel:WORD_0 src1_sel:DWORD
	v_mul_u32_u24_sdwa v87, v79, v54 dst_sel:DWORD dst_unused:UNUSED_PAD src0_sel:WORD_1 src1_sel:DWORD
	s_waitcnt lgkmcnt(2)
	v_pk_fma_f16 v80, v59, v84, v80
	v_pk_fma_f16 v59, v59, v76, v82
	;; [unrolled: 1-line block ×4, first 2 shown]
	v_mul_u32_u24_sdwa v84, v78, v54 dst_sel:DWORD dst_unused:UNUSED_PAD src0_sel:WORD_0 src1_sel:DWORD
	v_pk_fma_f16 v80, v61, v85, v80
	v_pk_fma_f16 v82, v61, v77, v59
	;; [unrolled: 1-line block ×4, first 2 shown]
	ds_read2_b64 v[58:61], v56 offset1:32
	v_mul_u32_u24_sdwa v85, v78, v54 dst_sel:DWORD dst_unused:UNUSED_PAD src0_sel:WORD_1 src1_sel:DWORD
	s_waitcnt lgkmcnt(2)
	v_pk_fma_f16 v80, v69, v84, v80
	v_pk_fma_f16 v81, v68, v84, v81
	ds_read2_b64 v[76:79], v56 offset0:64 offset1:96
	v_pk_fma_f16 v69, v69, v85, v82
	v_pk_fma_f16 v68, v68, v85, v83
	v_pk_fma_f16 v80, v71, v86, v80
	v_pk_fma_f16 v81, v70, v86, v81
	v_pk_fma_f16 v82, v71, v87, v69
	v_pk_fma_f16 v83, v70, v87, v68
	ds_read_b128 v[68:71], v47 offset:80
	s_waitcnt lgkmcnt(3)
	v_mul_u32_u24_sdwa v84, v72, v54 dst_sel:DWORD dst_unused:UNUSED_PAD src0_sel:WORD_0 src1_sel:DWORD
	v_mul_u32_u24_sdwa v72, v72, v54 dst_sel:DWORD dst_unused:UNUSED_PAD src0_sel:WORD_1 src1_sel:DWORD
	v_mul_u32_u24_sdwa v85, v73, v54 dst_sel:DWORD dst_unused:UNUSED_PAD src0_sel:WORD_0 src1_sel:DWORD
	v_mul_u32_u24_sdwa v73, v73, v54 dst_sel:DWORD dst_unused:UNUSED_PAD src0_sel:WORD_1 src1_sel:DWORD
	;; [unrolled: 2-line block ×3, first 2 shown]
	s_waitcnt lgkmcnt(2)
	v_pk_fma_f16 v80, v59, v84, v80
	v_pk_fma_f16 v59, v59, v72, v82
	;; [unrolled: 1-line block ×4, first 2 shown]
	v_mul_u32_u24_sdwa v84, v74, v54 dst_sel:DWORD dst_unused:UNUSED_PAD src0_sel:WORD_0 src1_sel:DWORD
	v_pk_fma_f16 v80, v61, v85, v80
	v_pk_fma_f16 v82, v61, v73, v59
	;; [unrolled: 1-line block ×4, first 2 shown]
	ds_read2_b64 v[58:61], v56 offset0:128 offset1:160
	v_mul_u32_u24_sdwa v85, v74, v54 dst_sel:DWORD dst_unused:UNUSED_PAD src0_sel:WORD_1 src1_sel:DWORD
	s_waitcnt lgkmcnt(2)
	v_pk_fma_f16 v80, v77, v84, v80
	v_pk_fma_f16 v81, v76, v84, v81
	ds_read2_b64 v[72:75], v56 offset0:192 offset1:224
	s_waitcnt lgkmcnt(2)
	v_mul_u32_u24_sdwa v84, v68, v54 dst_sel:DWORD dst_unused:UNUSED_PAD src0_sel:WORD_0 src1_sel:DWORD
	v_pk_fma_f16 v77, v77, v85, v82
	v_pk_fma_f16 v76, v76, v85, v83
	;; [unrolled: 1-line block ×4, first 2 shown]
	v_mul_u32_u24_sdwa v68, v68, v54 dst_sel:DWORD dst_unused:UNUSED_PAD src0_sel:WORD_1 src1_sel:DWORD
	v_pk_fma_f16 v82, v79, v87, v77
	v_pk_fma_f16 v83, v78, v87, v76
	ds_read_b128 v[76:79], v47 offset:96
	v_mul_u32_u24_sdwa v85, v69, v54 dst_sel:DWORD dst_unused:UNUSED_PAD src0_sel:WORD_0 src1_sel:DWORD
	v_mul_u32_u24_sdwa v69, v69, v54 dst_sel:DWORD dst_unused:UNUSED_PAD src0_sel:WORD_1 src1_sel:DWORD
	v_mul_u32_u24_sdwa v86, v71, v54 dst_sel:DWORD dst_unused:UNUSED_PAD src0_sel:WORD_0 src1_sel:DWORD
	v_mul_u32_u24_sdwa v87, v71, v54 dst_sel:DWORD dst_unused:UNUSED_PAD src0_sel:WORD_1 src1_sel:DWORD
	s_waitcnt lgkmcnt(2)
	v_pk_fma_f16 v80, v59, v84, v80
	v_pk_fma_f16 v59, v59, v68, v82
	;; [unrolled: 1-line block ×4, first 2 shown]
	v_mul_u32_u24_sdwa v84, v70, v54 dst_sel:DWORD dst_unused:UNUSED_PAD src0_sel:WORD_0 src1_sel:DWORD
	v_pk_fma_f16 v80, v61, v85, v80
	v_pk_fma_f16 v82, v61, v69, v59
	;; [unrolled: 1-line block ×4, first 2 shown]
	ds_read2_b64 v[58:61], v57 offset1:32
	v_mul_u32_u24_sdwa v85, v70, v54 dst_sel:DWORD dst_unused:UNUSED_PAD src0_sel:WORD_1 src1_sel:DWORD
	s_waitcnt lgkmcnt(2)
	v_pk_fma_f16 v80, v73, v84, v80
	v_pk_fma_f16 v81, v72, v84, v81
	s_waitcnt lgkmcnt(1)
	v_mul_u32_u24_sdwa v84, v76, v54 dst_sel:DWORD dst_unused:UNUSED_PAD src0_sel:WORD_0 src1_sel:DWORD
	v_mul_u32_u24_sdwa v76, v76, v54 dst_sel:DWORD dst_unused:UNUSED_PAD src0_sel:WORD_1 src1_sel:DWORD
	v_pk_fma_f16 v73, v73, v85, v82
	v_pk_fma_f16 v72, v72, v85, v83
	v_pk_fma_f16 v80, v75, v86, v80
	v_pk_fma_f16 v81, v74, v86, v81
	ds_read2_b64 v[68:71], v57 offset0:64 offset1:96
	v_pk_fma_f16 v82, v75, v87, v73
	v_pk_fma_f16 v83, v74, v87, v72
	v_mul_u32_u24_sdwa v85, v77, v54 dst_sel:DWORD dst_unused:UNUSED_PAD src0_sel:WORD_0 src1_sel:DWORD
	v_mul_u32_u24_sdwa v77, v77, v54 dst_sel:DWORD dst_unused:UNUSED_PAD src0_sel:WORD_1 src1_sel:DWORD
	ds_read2_b64 v[72:75], v57 offset0:128 offset1:160
	v_mul_u32_u24_sdwa v86, v79, v54 dst_sel:DWORD dst_unused:UNUSED_PAD src0_sel:WORD_0 src1_sel:DWORD
	v_mul_u32_u24_sdwa v87, v79, v54 dst_sel:DWORD dst_unused:UNUSED_PAD src0_sel:WORD_1 src1_sel:DWORD
	s_waitcnt lgkmcnt(2)
	v_pk_fma_f16 v80, v59, v84, v80
	v_pk_fma_f16 v59, v59, v76, v82
	;; [unrolled: 1-line block ×4, first 2 shown]
	v_mul_u32_u24_sdwa v84, v78, v54 dst_sel:DWORD dst_unused:UNUSED_PAD src0_sel:WORD_0 src1_sel:DWORD
	v_pk_fma_f16 v80, v61, v85, v80
	v_pk_fma_f16 v82, v61, v77, v59
	;; [unrolled: 1-line block ×4, first 2 shown]
	ds_read_b128 v[58:61], v47 offset:112
	v_mul_u32_u24_sdwa v85, v78, v54 dst_sel:DWORD dst_unused:UNUSED_PAD src0_sel:WORD_1 src1_sel:DWORD
	s_waitcnt lgkmcnt(2)
	v_pk_fma_f16 v88, v69, v84, v80
	v_pk_fma_f16 v84, v68, v84, v81
	ds_read2_b64 v[76:79], v57 offset0:192 offset1:224
	s_waitcnt lgkmcnt(0)
	v_pk_fma_f16 v69, v69, v85, v82
	v_pk_fma_f16 v68, v68, v85, v83
	s_barrier
	buffer_gl0_inv
	global_load_dwordx4 v[80:83], v[28:29], off
	v_pk_fma_f16 v28, v71, v86, v88
	v_pk_fma_f16 v29, v71, v87, v69
	;; [unrolled: 1-line block ×4, first 2 shown]
	s_clause 0x1
	global_load_dwordx4 v[68:71], v[24:25], off
	global_load_dwordx4 v[24:27], v[26:27], off
	v_mul_u32_u24_sdwa v86, v58, v54 dst_sel:DWORD dst_unused:UNUSED_PAD src0_sel:WORD_0 src1_sel:DWORD
	v_mul_u32_u24_sdwa v58, v58, v54 dst_sel:DWORD dst_unused:UNUSED_PAD src0_sel:WORD_1 src1_sel:DWORD
	v_pk_fma_f16 v28, v73, v86, v28
	v_pk_fma_f16 v84, v72, v86, v84
	v_mul_u32_u24_sdwa v86, v59, v54 dst_sel:DWORD dst_unused:UNUSED_PAD src0_sel:WORD_0 src1_sel:DWORD
	v_pk_fma_f16 v29, v73, v58, v29
	v_pk_fma_f16 v58, v72, v58, v85
	v_mul_u32_u24_sdwa v59, v59, v54 dst_sel:DWORD dst_unused:UNUSED_PAD src0_sel:WORD_1 src1_sel:DWORD
	v_pk_fma_f16 v28, v75, v86, v28
	v_pk_fma_f16 v84, v74, v86, v84
	;; [unrolled: 1-line block ×4, first 2 shown]
	global_load_dwordx4 v[72:75], v[22:23], off
	v_mul_u32_u24_sdwa v22, v60, v54 dst_sel:DWORD dst_unused:UNUSED_PAD src0_sel:WORD_0 src1_sel:DWORD
	v_mul_u32_u24_sdwa v23, v60, v54 dst_sel:DWORD dst_unused:UNUSED_PAD src0_sel:WORD_1 src1_sel:DWORD
	v_mul_u32_u24_sdwa v59, v61, v54 dst_sel:DWORD dst_unused:UNUSED_PAD src0_sel:WORD_0 src1_sel:DWORD
	v_mul_u32_u24_sdwa v60, v61, v54 dst_sel:DWORD dst_unused:UNUSED_PAD src0_sel:WORD_1 src1_sel:DWORD
	s_waitcnt vmcnt(3)
	ds_write_b128 v46, v[80:83]
	s_waitcnt vmcnt(2)
	ds_write_b128 v48, v[68:71]
	;; [unrolled: 2-line block ×4, first 2 shown]
	v_pk_fma_f16 v28, v77, v22, v28
	v_pk_fma_f16 v29, v77, v23, v29
	;; [unrolled: 1-line block ×4, first 2 shown]
	s_waitcnt lgkmcnt(0)
	v_pk_fma_f16 v84, v79, v59, v28
	v_pk_fma_f16 v85, v79, v60, v29
	;; [unrolled: 1-line block ×4, first 2 shown]
	s_barrier
	buffer_gl0_inv
	ds_read_b128 v[22:25], v47 offset:128
	ds_read2_b64 v[26:29], v32 offset1:32
	ds_read_b128 v[58:61], v47 offset:144
	ds_read_b128 v[68:71], v47 offset:160
	;; [unrolled: 1-line block ×3, first 2 shown]
	ds_read2_b64 v[76:79], v32 offset0:64 offset1:96
	s_waitcnt lgkmcnt(5)
	v_mul_u32_u24_sdwa v80, v22, v54 dst_sel:DWORD dst_unused:UNUSED_PAD src0_sel:WORD_0 src1_sel:DWORD
	v_mul_u32_u24_sdwa v22, v22, v54 dst_sel:DWORD dst_unused:UNUSED_PAD src0_sel:WORD_1 src1_sel:DWORD
	v_mul_u32_u24_sdwa v81, v23, v54 dst_sel:DWORD dst_unused:UNUSED_PAD src0_sel:WORD_0 src1_sel:DWORD
	v_mul_u32_u24_sdwa v23, v23, v54 dst_sel:DWORD dst_unused:UNUSED_PAD src0_sel:WORD_1 src1_sel:DWORD
	s_waitcnt lgkmcnt(4)
	v_pk_fma_f16 v82, v26, v80, v86
	v_pk_fma_f16 v80, v27, v80, v84
	;; [unrolled: 1-line block ×4, first 2 shown]
	v_mul_u32_u24_sdwa v84, v24, v54 dst_sel:DWORD dst_unused:UNUSED_PAD src0_sel:WORD_0 src1_sel:DWORD
	v_pk_fma_f16 v82, v28, v81, v82
	v_pk_fma_f16 v80, v29, v81, v80
	;; [unrolled: 1-line block ×4, first 2 shown]
	ds_read2_b64 v[26:29], v32 offset0:128 offset1:160
	v_mul_u32_u24_sdwa v85, v24, v54 dst_sel:DWORD dst_unused:UNUSED_PAD src0_sel:WORD_1 src1_sel:DWORD
	v_mul_u32_u24_sdwa v86, v25, v54 dst_sel:DWORD dst_unused:UNUSED_PAD src0_sel:WORD_0 src1_sel:DWORD
	v_mul_u32_u24_sdwa v87, v25, v54 dst_sel:DWORD dst_unused:UNUSED_PAD src0_sel:WORD_1 src1_sel:DWORD
	ds_read2_b64 v[22:25], v32 offset0:192 offset1:224
	s_waitcnt lgkmcnt(2)
	v_pk_fma_f16 v82, v76, v84, v82
	v_pk_fma_f16 v80, v77, v84, v80
	v_pk_fma_f16 v76, v76, v85, v81
	v_pk_fma_f16 v77, v77, v85, v83
	v_mul_u32_u24_sdwa v84, v58, v54 dst_sel:DWORD dst_unused:UNUSED_PAD src0_sel:WORD_0 src1_sel:DWORD
	v_mul_u32_u24_sdwa v81, v58, v54 dst_sel:DWORD dst_unused:UNUSED_PAD src0_sel:WORD_1 src1_sel:DWORD
	v_pk_fma_f16 v82, v78, v86, v82
	v_pk_fma_f16 v80, v79, v86, v80
	;; [unrolled: 1-line block ×4, first 2 shown]
	v_mul_u32_u24_sdwa v83, v59, v54 dst_sel:DWORD dst_unused:UNUSED_PAD src0_sel:WORD_0 src1_sel:DWORD
	v_mul_u32_u24_sdwa v78, v59, v54 dst_sel:DWORD dst_unused:UNUSED_PAD src0_sel:WORD_1 src1_sel:DWORD
	v_mul_u32_u24_sdwa v79, v60, v54 dst_sel:DWORD dst_unused:UNUSED_PAD src0_sel:WORD_0 src1_sel:DWORD
	v_mul_u32_u24_sdwa v85, v60, v54 dst_sel:DWORD dst_unused:UNUSED_PAD src0_sel:WORD_1 src1_sel:DWORD
	;; [unrolled: 2-line block ×3, first 2 shown]
	ds_read2_b64 v[58:61], v55 offset1:32
	s_waitcnt lgkmcnt(2)
	v_pk_fma_f16 v82, v26, v84, v82
	v_pk_fma_f16 v80, v27, v84, v80
	;; [unrolled: 1-line block ×4, first 2 shown]
	v_mul_u32_u24_sdwa v84, v68, v54 dst_sel:DWORD dst_unused:UNUSED_PAD src0_sel:WORD_0 src1_sel:DWORD
	v_pk_fma_f16 v76, v28, v83, v82
	v_pk_fma_f16 v77, v29, v83, v80
	;; [unrolled: 1-line block ×4, first 2 shown]
	ds_read_b128 v[26:29], v47 offset:192
	s_waitcnt lgkmcnt(2)
	v_pk_fma_f16 v76, v22, v79, v76
	v_pk_fma_f16 v77, v23, v79, v77
	;; [unrolled: 1-line block ×4, first 2 shown]
	v_mul_u32_u24_sdwa v68, v68, v54 dst_sel:DWORD dst_unused:UNUSED_PAD src0_sel:WORD_1 src1_sel:DWORD
	v_pk_fma_f16 v76, v24, v86, v76
	v_pk_fma_f16 v77, v25, v86, v77
	;; [unrolled: 1-line block ×4, first 2 shown]
	v_mul_u32_u24_sdwa v80, v69, v54 dst_sel:DWORD dst_unused:UNUSED_PAD src0_sel:WORD_0 src1_sel:DWORD
	v_mul_u32_u24_sdwa v69, v69, v54 dst_sel:DWORD dst_unused:UNUSED_PAD src0_sel:WORD_1 src1_sel:DWORD
	ds_read2_b64 v[22:25], v55 offset0:64 offset1:96
	s_waitcnt lgkmcnt(2)
	v_pk_fma_f16 v76, v58, v84, v76
	v_pk_fma_f16 v77, v59, v84, v77
	v_pk_fma_f16 v58, v58, v68, v81
	v_pk_fma_f16 v59, v59, v68, v85
	v_mul_u32_u24_sdwa v82, v70, v54 dst_sel:DWORD dst_unused:UNUSED_PAD src0_sel:WORD_0 src1_sel:DWORD
	v_pk_fma_f16 v76, v60, v80, v76
	v_pk_fma_f16 v77, v61, v80, v77
	s_waitcnt lgkmcnt(1)
	v_mul_u32_u24_sdwa v84, v26, v54 dst_sel:DWORD dst_unused:UNUSED_PAD src0_sel:WORD_0 src1_sel:DWORD
	v_mul_u32_u24_sdwa v68, v26, v54 dst_sel:DWORD dst_unused:UNUSED_PAD src0_sel:WORD_1 src1_sel:DWORD
	v_mul_u32_u24_sdwa v80, v27, v54 dst_sel:DWORD dst_unused:UNUSED_PAD src0_sel:WORD_0 src1_sel:DWORD
	v_pk_fma_f16 v58, v60, v69, v58
	v_pk_fma_f16 v59, v61, v69, v59
	v_mul_u32_u24_sdwa v69, v27, v54 dst_sel:DWORD dst_unused:UNUSED_PAD src0_sel:WORD_1 src1_sel:DWORD
	v_mul_u32_u24_sdwa v81, v28, v54 dst_sel:DWORD dst_unused:UNUSED_PAD src0_sel:WORD_0 src1_sel:DWORD
	v_mul_u32_u24_sdwa v85, v28, v54 dst_sel:DWORD dst_unused:UNUSED_PAD src0_sel:WORD_1 src1_sel:DWORD
	v_mul_u32_u24_sdwa v88, v29, v54 dst_sel:DWORD dst_unused:UNUSED_PAD src0_sel:WORD_0 src1_sel:DWORD
	v_mul_u32_u24_sdwa v89, v29, v54 dst_sel:DWORD dst_unused:UNUSED_PAD src0_sel:WORD_1 src1_sel:DWORD
	ds_read_b128 v[26:29], v47 offset:208
	v_mul_u32_u24_sdwa v70, v70, v54 dst_sel:DWORD dst_unused:UNUSED_PAD src0_sel:WORD_1 src1_sel:DWORD
	v_mul_u32_u24_sdwa v83, v71, v54 dst_sel:DWORD dst_unused:UNUSED_PAD src0_sel:WORD_0 src1_sel:DWORD
	v_mul_u32_u24_sdwa v71, v71, v54 dst_sel:DWORD dst_unused:UNUSED_PAD src0_sel:WORD_1 src1_sel:DWORD
	s_waitcnt lgkmcnt(1)
	v_pk_fma_f16 v60, v22, v82, v76
	v_pk_fma_f16 v61, v23, v82, v77
	v_pk_fma_f16 v22, v22, v70, v58
	v_pk_fma_f16 v23, v23, v70, v59
	v_mul_u32_u24_sdwa v79, v72, v54 dst_sel:DWORD dst_unused:UNUSED_PAD src0_sel:WORD_0 src1_sel:DWORD
	v_mul_u32_u24_sdwa v72, v72, v54 dst_sel:DWORD dst_unused:UNUSED_PAD src0_sel:WORD_1 src1_sel:DWORD
	v_pk_fma_f16 v58, v25, v83, v61
	v_pk_fma_f16 v59, v24, v71, v22
	v_mul_u32_u24_sdwa v78, v73, v54 dst_sel:DWORD dst_unused:UNUSED_PAD src0_sel:WORD_0 src1_sel:DWORD
	v_mul_u32_u24_sdwa v73, v73, v54 dst_sel:DWORD dst_unused:UNUSED_PAD src0_sel:WORD_1 src1_sel:DWORD
	v_mul_u32_u24_sdwa v86, v74, v54 dst_sel:DWORD dst_unused:UNUSED_PAD src0_sel:WORD_0 src1_sel:DWORD
	v_mul_u32_u24_sdwa v74, v74, v54 dst_sel:DWORD dst_unused:UNUSED_PAD src0_sel:WORD_1 src1_sel:DWORD
	;; [unrolled: 2-line block ×3, first 2 shown]
	s_waitcnt lgkmcnt(0)
	v_mul_u32_u24_sdwa v76, v26, v54 dst_sel:DWORD dst_unused:UNUSED_PAD src0_sel:WORD_0 src1_sel:DWORD
	v_mul_u32_u24_sdwa v70, v26, v54 dst_sel:DWORD dst_unused:UNUSED_PAD src0_sel:WORD_1 src1_sel:DWORD
	v_pk_fma_f16 v26, v24, v83, v60
	v_pk_fma_f16 v60, v25, v71, v23
	ds_read_b128 v[22:25], v47 offset:224
	v_mul_u32_u24_sdwa v77, v27, v54 dst_sel:DWORD dst_unused:UNUSED_PAD src0_sel:WORD_0 src1_sel:DWORD
	v_mul_u32_u24_sdwa v71, v27, v54 dst_sel:DWORD dst_unused:UNUSED_PAD src0_sel:WORD_1 src1_sel:DWORD
	v_mul_u32_u24_sdwa v82, v28, v54 dst_sel:DWORD dst_unused:UNUSED_PAD src0_sel:WORD_0 src1_sel:DWORD
	v_mul_u32_u24_sdwa v83, v28, v54 dst_sel:DWORD dst_unused:UNUSED_PAD src0_sel:WORD_1 src1_sel:DWORD
	;; [unrolled: 2-line block ×3, first 2 shown]
	s_waitcnt lgkmcnt(0)
	v_mul_u32_u24_sdwa v92, v22, v54 dst_sel:DWORD dst_unused:UNUSED_PAD src0_sel:WORD_0 src1_sel:DWORD
	v_mul_u32_u24_sdwa v93, v22, v54 dst_sel:DWORD dst_unused:UNUSED_PAD src0_sel:WORD_1 src1_sel:DWORD
	v_mov_b32_e32 v22, v40
	v_add_f32_e32 v40, v62, v63
	v_mul_u32_u24_sdwa v94, v23, v54 dst_sel:DWORD dst_unused:UNUSED_PAD src0_sel:WORD_0 src1_sel:DWORD
	v_mul_u32_u24_sdwa v95, v23, v54 dst_sel:DWORD dst_unused:UNUSED_PAD src0_sel:WORD_1 src1_sel:DWORD
	v_mov_b32_e32 v23, v1
	v_mul_u32_u24_sdwa v96, v24, v54 dst_sel:DWORD dst_unused:UNUSED_PAD src0_sel:WORD_0 src1_sel:DWORD
	v_fmac_f32_e32 v40, v22, v66
	v_add_f32_e32 v22, v64, v67
	v_mul_u32_u24_sdwa v97, v24, v54 dst_sel:DWORD dst_unused:UNUSED_PAD src0_sel:WORD_1 src1_sel:DWORD
	v_mul_u32_u24_sdwa v98, v25, v54 dst_sel:DWORD dst_unused:UNUSED_PAD src0_sel:WORD_0 src1_sel:DWORD
	v_mul_u32_u24_sdwa v99, v25, v54 dst_sel:DWORD dst_unused:UNUSED_PAD src0_sel:WORD_1 src1_sel:DWORD
	v_mov_b32_e32 v1, v22
	v_fmac_f32_e32 v1, v23, v65
	ds_read2_b64 v[22:25], v55 offset0:128 offset1:160
	s_waitcnt lgkmcnt(0)
	v_pk_fma_f16 v26, v22, v79, v26
	v_pk_fma_f16 v27, v23, v79, v58
	v_pk_fma_f16 v22, v22, v72, v59
	v_pk_fma_f16 v23, v23, v72, v60
	v_pk_fma_f16 v26, v24, v78, v26
	v_pk_fma_f16 v27, v25, v78, v27
	v_pk_fma_f16 v28, v24, v73, v22
	v_pk_fma_f16 v29, v25, v73, v23
	ds_read2_b64 v[22:25], v55 offset0:192 offset1:224
	s_waitcnt lgkmcnt(0)
	v_pk_fma_f16 v58, v22, v86, v26
	v_pk_fma_f16 v59, v23, v86, v27
	;; [unrolled: 1-line block ×4, first 2 shown]
	ds_read2_b64 v[26:29], v56 offset1:32
	v_pk_fma_f16 v58, v24, v87, v58
	v_pk_fma_f16 v59, v25, v87, v59
	v_pk_fma_f16 v60, v24, v75, v22
	v_pk_fma_f16 v61, v25, v75, v23
	ds_read2_b64 v[22:25], v56 offset0:64 offset1:96
	s_waitcnt lgkmcnt(1)
	v_pk_fma_f16 v62, v26, v84, v58
	v_pk_fma_f16 v63, v27, v84, v59
	;; [unrolled: 1-line block ×4, first 2 shown]
	ds_read2_b64 v[58:61], v56 offset0:128 offset1:160
	v_pk_fma_f16 v62, v28, v80, v62
	v_pk_fma_f16 v63, v29, v80, v63
	;; [unrolled: 1-line block ×4, first 2 shown]
	ds_read2_b64 v[26:29], v56 offset0:192 offset1:224
	s_waitcnt lgkmcnt(2)
	v_pk_fma_f16 v66, v22, v81, v62
	v_pk_fma_f16 v67, v23, v81, v63
	;; [unrolled: 1-line block ×4, first 2 shown]
	ds_read_b128 v[62:65], v47 offset:240
	v_pk_fma_f16 v66, v24, v88, v66
	v_pk_fma_f16 v67, v25, v88, v67
	;; [unrolled: 1-line block ×4, first 2 shown]
	ds_read2_b64 v[22:25], v57 offset1:32
	s_waitcnt lgkmcnt(3)
	v_pk_fma_f16 v72, v58, v76, v66
	v_pk_fma_f16 v58, v58, v70, v68
	;; [unrolled: 1-line block ×4, first 2 shown]
	ds_read2_b64 v[66:69], v57 offset0:64 offset1:96
	v_pk_fma_f16 v70, v60, v77, v72
	v_pk_fma_f16 v72, v60, v71, v58
	;; [unrolled: 1-line block ×4, first 2 shown]
	ds_read2_b64 v[58:61], v57 offset0:128 offset1:160
	s_waitcnt lgkmcnt(4)
	v_pk_fma_f16 v74, v26, v82, v70
	v_pk_fma_f16 v26, v26, v83, v72
	;; [unrolled: 1-line block ×4, first 2 shown]
	s_waitcnt lgkmcnt(3)
	v_mul_u32_u24_sdwa v76, v62, v54 dst_sel:DWORD dst_unused:UNUSED_PAD src0_sel:WORD_0 src1_sel:DWORD
	v_pk_fma_f16 v74, v28, v90, v74
	v_pk_fma_f16 v26, v28, v91, v26
	;; [unrolled: 1-line block ×4, first 2 shown]
	v_mul_u32_u24_sdwa v28, v62, v54 dst_sel:DWORD dst_unused:UNUSED_PAD src0_sel:WORD_1 src1_sel:DWORD
	s_waitcnt lgkmcnt(2)
	v_pk_fma_f16 v62, v22, v92, v74
	v_pk_fma_f16 v22, v22, v93, v26
	;; [unrolled: 1-line block ×4, first 2 shown]
	ds_read2_b64 v[70:73], v57 offset0:192 offset1:224
	v_pk_fma_f16 v62, v24, v94, v62
	v_pk_fma_f16 v22, v24, v95, v22
	;; [unrolled: 1-line block ×4, first 2 shown]
	s_waitcnt lgkmcnt(0)
	v_pk_fma_f16 v26, v66, v96, v62
	v_pk_fma_f16 v22, v66, v97, v22
	;; [unrolled: 1-line block ×4, first 2 shown]
	s_barrier
	buffer_gl0_inv
	s_load_dword s0, s[14:15], 0x4
	v_pk_fma_f16 v26, v68, v98, v26
	v_pk_fma_f16 v22, v68, v99, v22
	v_pk_fma_f16 v24, v69, v98, v24
	v_pk_fma_f16 v23, v69, v99, v23
	v_mul_u32_u24_sdwa v29, v63, v54 dst_sel:DWORD dst_unused:UNUSED_PAD src0_sel:WORD_0 src1_sel:DWORD
	v_mul_u32_u24_sdwa v27, v63, v54 dst_sel:DWORD dst_unused:UNUSED_PAD src0_sel:WORD_1 src1_sel:DWORD
	v_pk_fma_f16 v26, v58, v76, v26
	v_pk_fma_f16 v22, v58, v28, v22
	v_pk_fma_f16 v24, v59, v76, v24
	v_pk_fma_f16 v23, v59, v28, v23
	v_mul_u32_u24_sdwa v25, v64, v54 dst_sel:DWORD dst_unused:UNUSED_PAD src0_sel:WORD_0 src1_sel:DWORD
	v_mul_u32_u24_sdwa v62, v64, v54 dst_sel:DWORD dst_unused:UNUSED_PAD src0_sel:WORD_1 src1_sel:DWORD
	;; [unrolled: 6-line block ×3, first 2 shown]
	v_pk_fma_f16 v26, v70, v25, v26
	v_pk_fma_f16 v22, v70, v62, v22
	;; [unrolled: 1-line block ×4, first 2 shown]
	s_waitcnt lgkmcnt(0)
	s_lshl_b32 s0, s0, 6
	v_pk_fma_f16 v60, v72, v63, v26
	v_pk_fma_f16 v59, v72, v28, v22
	;; [unrolled: 1-line block ×4, first 2 shown]
	s_add_i32 s18, s0, s18
	s_cmp_ge_i32 s18, s30
	s_cbranch_scc0 .LBB13_9
; %bb.10:
	v_mov_b32_e32 v6, 32
	v_mov_b32_e32 v7, v33
.LBB13_11:
	v_cmp_lt_i32_e32 vcc_lo, v38, v6
	s_cmp_lg_u64 s[16:17], 0
	s_cselect_b32 s0, -1, 0
	s_cmp_eq_u32 s28, 0
	v_cndmask_b32_e32 v3, v7, v38, vcc_lo
	v_cmp_lt_i32_e32 vcc_lo, v37, v6
	s_cselect_b32 s1, -1, 0
	s_and_b32 s0, s1, s0
	v_lshlrev_b32_e32 v3, 2, v3
	v_cndmask_b32_e32 v5, v7, v37, vcc_lo
	v_cmp_lt_i32_e32 vcc_lo, v36, v6
	ds_bpermute_b32 v4, v3, v40
	ds_bpermute_b32 v3, v3, v1
	v_lshlrev_b32_e32 v5, 2, v5
	v_cndmask_b32_e32 v8, v7, v36, vcc_lo
	v_cmp_lt_i32_e32 vcc_lo, v35, v6
	v_lshlrev_b32_e32 v8, 2, v8
	s_waitcnt lgkmcnt(1)
	v_add_f32_e32 v4, v40, v4
	s_waitcnt lgkmcnt(0)
	v_add_f32_e32 v1, v1, v3
	ds_bpermute_b32 v3, v5, v4
	ds_bpermute_b32 v5, v5, v1
	s_waitcnt lgkmcnt(1)
	v_add_f32_e32 v3, v4, v3
	s_waitcnt lgkmcnt(0)
	v_add_f32_e32 v1, v1, v5
	ds_bpermute_b32 v4, v8, v3
	ds_bpermute_b32 v5, v8, v1
	v_cndmask_b32_e32 v8, v7, v35, vcc_lo
	v_cmp_lt_i32_e32 vcc_lo, v34, v6
	v_lshlrev_b32_e32 v8, 2, v8
	v_cndmask_b32_e32 v6, v7, v34, vcc_lo
	s_and_b32 vcc_lo, exec_lo, s0
	s_mov_b32 s0, 0
	v_lshlrev_b32_e32 v6, 2, v6
	s_waitcnt lgkmcnt(1)
	v_add_f32_e32 v3, v3, v4
	s_waitcnt lgkmcnt(0)
	v_add_f32_e32 v1, v1, v5
	ds_bpermute_b32 v4, v8, v3
	ds_bpermute_b32 v5, v8, v1
	s_waitcnt lgkmcnt(1)
	v_add_f32_e32 v3, v3, v4
	s_waitcnt lgkmcnt(0)
	v_add_f32_e32 v1, v1, v5
	ds_bpermute_b32 v4, v6, v3
	ds_bpermute_b32 v5, v6, v1
	s_waitcnt lgkmcnt(1)
	v_add_f32_e32 v3, v3, v4
	s_waitcnt lgkmcnt(0)
	v_add_f32_e32 v4, v1, v5
	v_add_nc_u32_e32 v5, s33, v31
	s_cbranch_vccnz .LBB13_14
; %bb.12:
	v_mov_b32_e32 v7, v4
	v_add_nc_u32_e32 v1, s33, v31
	v_mov_b32_e32 v6, v3
	s_andn2_b32 vcc_lo, exec_lo, s0
	s_cbranch_vccz .LBB13_15
; %bb.13:
	v_mov_b32_e32 v5, v1
	s_branch .LBB13_16
.LBB13_14:
                                        ; implicit-def: $vgpr1
                                        ; implicit-def: $vgpr6_vgpr7
.LBB13_15:
	v_ashrrev_i32_e32 v6, 31, v5
	v_max_f32_e32 v1, v20, v20
	v_max_f32_e32 v9, v21, v21
	v_lshlrev_b64 v[6:7], 2, v[5:6]
	v_add_co_u32 v6, vcc_lo, s16, v6
	v_add_co_ci_u32_e64 v7, null, s17, v7, vcc_lo
	global_load_dwordx2 v[6:7], v[6:7], off
	s_waitcnt vmcnt(0)
	v_max_f32_e32 v8, v6, v6
	v_max_f32_e32 v10, v7, v7
	;; [unrolled: 1-line block ×4, first 2 shown]
	v_sub_f32_e32 v1, v20, v8
	v_sub_f32_e32 v10, v21, v9
	;; [unrolled: 1-line block ×4, first 2 shown]
	v_mul_f32_e32 v11, 0x3fb8aa3b, v1
	v_mul_f32_e32 v13, 0x3fb8aa3b, v10
	;; [unrolled: 1-line block ×4, first 2 shown]
	v_cmp_ngt_f32_e32 vcc_lo, 0xc2ce8ed0, v1
	v_fma_f32 v15, 0x3fb8aa3b, v1, -v11
	v_rndne_f32_e32 v16, v11
	v_fma_f32 v19, 0x3fb8aa3b, v10, -v13
	v_rndne_f32_e32 v20, v13
	v_fma_f32 v17, 0x3fb8aa3b, v6, -v12
	v_fmac_f32_e32 v15, 0x32a5705f, v1
	v_sub_f32_e32 v11, v11, v16
	v_rndne_f32_e32 v18, v12
	v_fmac_f32_e32 v19, 0x32a5705f, v10
	v_sub_f32_e32 v13, v13, v20
	v_fmac_f32_e32 v17, 0x32a5705f, v6
	v_add_f32_e32 v11, v11, v15
	v_sub_f32_e32 v12, v12, v18
	v_cvt_i32_f32_e32 v15, v16
	v_add_f32_e32 v13, v13, v19
	v_fma_f32 v21, 0x3fb8aa3b, v7, -v14
	v_exp_f32_e32 v11, v11
	v_add_f32_e32 v12, v12, v17
	v_rndne_f32_e32 v22, v14
	v_exp_f32_e32 v13, v13
	v_cvt_i32_f32_e32 v17, v20
	v_fmac_f32_e32 v21, 0x32a5705f, v7
	v_exp_f32_e32 v12, v12
	v_sub_f32_e32 v14, v14, v22
	v_cvt_i32_f32_e32 v16, v18
	v_cvt_i32_f32_e32 v18, v22
	v_ldexp_f32 v11, v11, v15
	v_mov_b32_e32 v19, 0x10001
	v_add_f32_e32 v14, v14, v21
	v_ldexp_f32 v13, v13, v17
	v_mov_b32_e32 v21, v9
	v_cndmask_b32_e32 v11, 0, v11, vcc_lo
	v_cmp_ngt_f32_e32 vcc_lo, 0xc2ce8ed0, v10
	v_ldexp_f32 v12, v12, v16
	v_exp_f32_e32 v14, v14
	v_mov_b32_e32 v20, v8
	v_cndmask_b32_e32 v13, 0, v13, vcc_lo
	v_cmp_ngt_f32_e32 vcc_lo, 0xc2ce8ed0, v6
	v_cndmask_b32_e32 v12, 0, v12, vcc_lo
	v_cmp_nlt_f32_e32 vcc_lo, 0x42b17218, v1
	v_ldexp_f32 v14, v14, v18
	v_cndmask_b32_e32 v1, 0x7f800000, v11, vcc_lo
	v_cmp_nlt_f32_e32 vcc_lo, 0x42b17218, v10
	v_cndmask_b32_e32 v10, 0x7f800000, v13, vcc_lo
	v_cmp_ngt_f32_e32 vcc_lo, 0xc2ce8ed0, v7
	v_cvt_f16_f32_e32 v13, v10
	v_cndmask_b32_e32 v11, 0, v14, vcc_lo
	v_cmp_nlt_f32_e32 vcc_lo, 0x42b17218, v6
	v_mul_u32_u24_sdwa v8, v13, v19 dst_sel:DWORD dst_unused:UNUSED_PAD src0_sel:WORD_0 src1_sel:DWORD
	v_cndmask_b32_e32 v6, 0x7f800000, v12, vcc_lo
	v_cmp_nlt_f32_e32 vcc_lo, 0x42b17218, v7
	v_cvt_f16_f32_e32 v12, v1
	v_pk_mul_f16 v59, v59, v8
	v_pk_mul_f16 v58, v58, v8
	v_fmac_f32_e32 v6, v3, v1
	v_cndmask_b32_e32 v7, 0x7f800000, v11, vcc_lo
	v_mul_u32_u24_sdwa v1, v12, v19 dst_sel:DWORD dst_unused:UNUSED_PAD src0_sel:WORD_0 src1_sel:DWORD
	v_mov_b32_e32 v3, v6
	v_fmac_f32_e32 v7, v4, v10
	v_pk_mul_f16 v60, v60, v1
	v_pk_mul_f16 v61, v61, v1
	v_mov_b32_e32 v4, v7
.LBB13_16:
	s_load_dword s1, s[4:5], 0xd4
	v_mov_b32_e32 v8, 1.0
	s_waitcnt lgkmcnt(0)
	s_cmp_lg_u32 s1, 1
	s_cselect_b32 s3, -1, 0
	s_cmp_eq_u32 s1, 1
	s_cselect_b32 s2, -1, 0
	s_and_b32 vcc_lo, exec_lo, s3
	s_cbranch_vccnz .LBB13_18
; %bb.17:
	v_div_scale_f32 v1, null, v3, v3, 1.0
	v_rcp_f32_e32 v8, v1
	v_fma_f32 v9, -v1, v8, 1.0
	v_fmac_f32_e32 v8, v9, v8
	v_div_scale_f32 v9, vcc_lo, 1.0, v3, 1.0
	v_mul_f32_e32 v10, v9, v8
	v_fma_f32 v11, -v1, v10, v9
	v_fmac_f32_e32 v10, v11, v8
	v_fma_f32 v1, -v1, v10, v9
	v_div_fmas_f32 v1, v1, v8, v10
	v_div_fixup_f32 v8, v1, v3, 1.0
.LBB13_18:
	v_mad_u64_u32 v[1:2], null, s29, s26, v[2:3]
	v_mov_b32_e32 v3, 0
	v_cmp_eq_u32_e32 vcc_lo, 0, v0
	v_cvt_f32_f16_e32 v0, v60
	v_cvt_f32_f16_e32 v11, v61
	v_cvt_f32_f16_sdwa v12, v61 dst_sel:DWORD dst_unused:UNUSED_PAD src0_sel:WORD_1
	v_mad_u64_u32 v[1:2], null, v1, s27, v[5:6]
	v_cvt_f32_f16_sdwa v5, v60 dst_sel:DWORD dst_unused:UNUSED_PAD src0_sel:WORD_1
	v_mul_f32_e32 v9, v8, v0
	v_mul_f32_e32 v11, v8, v11
	;; [unrolled: 1-line block ×4, first 2 shown]
	v_mad_u64_u32 v[1:2], null, s1, v1, s[28:29]
	v_lshl_add_u32 v2, v1, 7, v30
	v_lshlrev_b64 v[2:3], 2, v[2:3]
	v_add_co_u32 v2, s0, s20, v2
	v_add_co_ci_u32_e64 v3, null, s21, v3, s0
	s_and_b32 s0, vcc_lo, s3
	global_store_dwordx4 v[2:3], v[9:12], off
	s_and_saveexec_b32 s3, s0
	s_cbranch_execz .LBB13_20
; %bb.19:
	v_ashrrev_i32_e32 v2, 31, v1
	v_mov_b32_e32 v5, v20
	v_lshlrev_b64 v[2:3], 3, v[1:2]
	v_add_co_u32 v2, vcc_lo, s22, v2
	v_add_co_ci_u32_e64 v3, null, s23, v3, vcc_lo
	global_store_dwordx2 v[2:3], v[5:6], off
.LBB13_20:
	s_or_b32 exec_lo, exec_lo, s3
	v_mov_b32_e32 v2, 1.0
	s_andn2_b32 vcc_lo, exec_lo, s2
	s_cbranch_vccnz .LBB13_22
; %bb.21:
	v_div_scale_f32 v0, null, v4, v4, 1.0
	v_rcp_f32_e32 v2, v0
	v_fma_f32 v3, -v0, v2, 1.0
	v_fmac_f32_e32 v2, v3, v2
	v_div_scale_f32 v3, vcc_lo, 1.0, v4, 1.0
	v_mul_f32_e32 v5, v3, v2
	v_fma_f32 v6, -v0, v5, v3
	v_fmac_f32_e32 v5, v6, v2
	v_fma_f32 v0, -v0, v5, v3
	v_div_fmas_f32 v0, v0, v2, v5
	v_div_fixup_f32 v2, v0, v4, 1.0
.LBB13_22:
	v_add_nc_u32_e32 v0, s1, v1
	v_mov_b32_e32 v4, 0
	v_cvt_f32_f16_e32 v1, v59
	v_cvt_f32_f16_sdwa v5, v59 dst_sel:DWORD dst_unused:UNUSED_PAD src0_sel:WORD_1
	v_cvt_f32_f16_e32 v6, v58
	v_lshl_add_u32 v3, v0, 7, v30
	v_cvt_f32_f16_sdwa v10, v58 dst_sel:DWORD dst_unused:UNUSED_PAD src0_sel:WORD_1
	v_lshlrev_b64 v[8:9], 2, v[3:4]
	v_mul_f32_e32 v3, v2, v1
	v_mul_f32_e32 v4, v2, v5
	;; [unrolled: 1-line block ×4, first 2 shown]
	v_add_co_u32 v1, vcc_lo, s20, v8
	v_add_co_ci_u32_e64 v2, null, s21, v9, vcc_lo
	global_store_dwordx4 v[1:2], v[3:6], off
	s_and_saveexec_b32 s1, s0
	s_cbranch_execz .LBB13_24
; %bb.23:
	v_ashrrev_i32_e32 v1, 31, v0
	v_mov_b32_e32 v6, v21
	v_lshlrev_b64 v[0:1], 3, v[0:1]
	v_add_co_u32 v0, vcc_lo, s22, v0
	v_add_co_ci_u32_e64 v1, null, s23, v1, vcc_lo
	global_store_dwordx2 v[0:1], v[6:7], off
.LBB13_24:
	s_endpgm
	.section	.rodata,"a",@progbits
	.p2align	6, 0x0
	.amdhsa_kernel _ZL15flash_attn_tileILi128ELi128ELi1ELi8ELb0EEvPKcS1_S1_S1_S1_PKiPfP15HIP_vector_typeIfLj2EEffffjfiS5_IjLj3EEiiiiiiiiiiiliiliiiiil
		.amdhsa_group_segment_fixed_size 12288
		.amdhsa_private_segment_fixed_size 0
		.amdhsa_kernarg_size 464
		.amdhsa_user_sgpr_count 6
		.amdhsa_user_sgpr_private_segment_buffer 1
		.amdhsa_user_sgpr_dispatch_ptr 0
		.amdhsa_user_sgpr_queue_ptr 0
		.amdhsa_user_sgpr_kernarg_segment_ptr 1
		.amdhsa_user_sgpr_dispatch_id 0
		.amdhsa_user_sgpr_flat_scratch_init 0
		.amdhsa_user_sgpr_private_segment_size 0
		.amdhsa_wavefront_size32 1
		.amdhsa_uses_dynamic_stack 0
		.amdhsa_system_sgpr_private_segment_wavefront_offset 0
		.amdhsa_system_sgpr_workgroup_id_x 1
		.amdhsa_system_sgpr_workgroup_id_y 1
		.amdhsa_system_sgpr_workgroup_id_z 1
		.amdhsa_system_sgpr_workgroup_info 0
		.amdhsa_system_vgpr_workitem_id 1
		.amdhsa_next_free_vgpr 100
		.amdhsa_next_free_sgpr 40
		.amdhsa_reserve_vcc 1
		.amdhsa_reserve_flat_scratch 0
		.amdhsa_float_round_mode_32 0
		.amdhsa_float_round_mode_16_64 0
		.amdhsa_float_denorm_mode_32 3
		.amdhsa_float_denorm_mode_16_64 3
		.amdhsa_dx10_clamp 1
		.amdhsa_ieee_mode 1
		.amdhsa_fp16_overflow 0
		.amdhsa_workgroup_processor_mode 1
		.amdhsa_memory_ordered 1
		.amdhsa_forward_progress 1
		.amdhsa_shared_vgpr_count 0
		.amdhsa_exception_fp_ieee_invalid_op 0
		.amdhsa_exception_fp_denorm_src 0
		.amdhsa_exception_fp_ieee_div_zero 0
		.amdhsa_exception_fp_ieee_overflow 0
		.amdhsa_exception_fp_ieee_underflow 0
		.amdhsa_exception_fp_ieee_inexact 0
		.amdhsa_exception_int_div_zero 0
	.end_amdhsa_kernel
	.section	.text._ZL15flash_attn_tileILi128ELi128ELi1ELi8ELb0EEvPKcS1_S1_S1_S1_PKiPfP15HIP_vector_typeIfLj2EEffffjfiS5_IjLj3EEiiiiiiiiiiiliiliiiiil,"axG",@progbits,_ZL15flash_attn_tileILi128ELi128ELi1ELi8ELb0EEvPKcS1_S1_S1_S1_PKiPfP15HIP_vector_typeIfLj2EEffffjfiS5_IjLj3EEiiiiiiiiiiiliiliiiiil,comdat
.Lfunc_end13:
	.size	_ZL15flash_attn_tileILi128ELi128ELi1ELi8ELb0EEvPKcS1_S1_S1_S1_PKiPfP15HIP_vector_typeIfLj2EEffffjfiS5_IjLj3EEiiiiiiiiiiiliiliiiiil, .Lfunc_end13-_ZL15flash_attn_tileILi128ELi128ELi1ELi8ELb0EEvPKcS1_S1_S1_S1_PKiPfP15HIP_vector_typeIfLj2EEffffjfiS5_IjLj3EEiiiiiiiiiiiliiliiiiil
                                        ; -- End function
	.set _ZL15flash_attn_tileILi128ELi128ELi1ELi8ELb0EEvPKcS1_S1_S1_S1_PKiPfP15HIP_vector_typeIfLj2EEffffjfiS5_IjLj3EEiiiiiiiiiiiliiliiiiil.num_vgpr, 100
	.set _ZL15flash_attn_tileILi128ELi128ELi1ELi8ELb0EEvPKcS1_S1_S1_S1_PKiPfP15HIP_vector_typeIfLj2EEffffjfiS5_IjLj3EEiiiiiiiiiiiliiliiiiil.num_agpr, 0
	.set _ZL15flash_attn_tileILi128ELi128ELi1ELi8ELb0EEvPKcS1_S1_S1_S1_PKiPfP15HIP_vector_typeIfLj2EEffffjfiS5_IjLj3EEiiiiiiiiiiiliiliiiiil.numbered_sgpr, 40
	.set _ZL15flash_attn_tileILi128ELi128ELi1ELi8ELb0EEvPKcS1_S1_S1_S1_PKiPfP15HIP_vector_typeIfLj2EEffffjfiS5_IjLj3EEiiiiiiiiiiiliiliiiiil.num_named_barrier, 0
	.set _ZL15flash_attn_tileILi128ELi128ELi1ELi8ELb0EEvPKcS1_S1_S1_S1_PKiPfP15HIP_vector_typeIfLj2EEffffjfiS5_IjLj3EEiiiiiiiiiiiliiliiiiil.private_seg_size, 0
	.set _ZL15flash_attn_tileILi128ELi128ELi1ELi8ELb0EEvPKcS1_S1_S1_S1_PKiPfP15HIP_vector_typeIfLj2EEffffjfiS5_IjLj3EEiiiiiiiiiiiliiliiiiil.uses_vcc, 1
	.set _ZL15flash_attn_tileILi128ELi128ELi1ELi8ELb0EEvPKcS1_S1_S1_S1_PKiPfP15HIP_vector_typeIfLj2EEffffjfiS5_IjLj3EEiiiiiiiiiiiliiliiiiil.uses_flat_scratch, 0
	.set _ZL15flash_attn_tileILi128ELi128ELi1ELi8ELb0EEvPKcS1_S1_S1_S1_PKiPfP15HIP_vector_typeIfLj2EEffffjfiS5_IjLj3EEiiiiiiiiiiiliiliiiiil.has_dyn_sized_stack, 0
	.set _ZL15flash_attn_tileILi128ELi128ELi1ELi8ELb0EEvPKcS1_S1_S1_S1_PKiPfP15HIP_vector_typeIfLj2EEffffjfiS5_IjLj3EEiiiiiiiiiiiliiliiiiil.has_recursion, 0
	.set _ZL15flash_attn_tileILi128ELi128ELi1ELi8ELb0EEvPKcS1_S1_S1_S1_PKiPfP15HIP_vector_typeIfLj2EEffffjfiS5_IjLj3EEiiiiiiiiiiiliiliiiiil.has_indirect_call, 0
	.section	.AMDGPU.csdata,"",@progbits
; Kernel info:
; codeLenInByte = 14612
; TotalNumSgprs: 42
; NumVgprs: 100
; ScratchSize: 0
; MemoryBound: 0
; FloatMode: 240
; IeeeMode: 1
; LDSByteSize: 12288 bytes/workgroup (compile time only)
; SGPRBlocks: 0
; VGPRBlocks: 12
; NumSGPRsForWavesPerEU: 42
; NumVGPRsForWavesPerEU: 100
; Occupancy: 9
; WaveLimiterHint : 1
; COMPUTE_PGM_RSRC2:SCRATCH_EN: 0
; COMPUTE_PGM_RSRC2:USER_SGPR: 6
; COMPUTE_PGM_RSRC2:TRAP_HANDLER: 0
; COMPUTE_PGM_RSRC2:TGID_X_EN: 1
; COMPUTE_PGM_RSRC2:TGID_Y_EN: 1
; COMPUTE_PGM_RSRC2:TGID_Z_EN: 1
; COMPUTE_PGM_RSRC2:TIDIG_COMP_CNT: 1
	.section	.text._ZL25flash_attn_mask_to_KV_maxILi1EEvPK7__half2Piiii,"axG",@progbits,_ZL25flash_attn_mask_to_KV_maxILi1EEvPK7__half2Piiii,comdat
	.globl	_ZL25flash_attn_mask_to_KV_maxILi1EEvPK7__half2Piiii ; -- Begin function _ZL25flash_attn_mask_to_KV_maxILi1EEvPK7__half2Piiii
	.p2align	8
	.type	_ZL25flash_attn_mask_to_KV_maxILi1EEvPK7__half2Piiii,@function
_ZL25flash_attn_mask_to_KV_maxILi1EEvPK7__half2Piiii: ; @_ZL25flash_attn_mask_to_KV_maxILi1EEvPK7__half2Piiii
; %bb.0:
	s_load_dwordx4 s[8:11], s[4:5], 0x0
	s_mov_b32 s0, exec_lo
	v_cmpx_gt_u32_e32 32, v0
; %bb.1:
	v_lshlrev_b32_e32 v1, 2, v0
	v_mov_b32_e32 v2, 1
	ds_write_b32 v1, v2
; %bb.2:
	s_or_b32 exec_lo, exec_lo, s0
	s_clause 0x1
	s_load_dwordx4 s[12:15], s[4:5], 0x10
	s_load_dword s1, s[4:5], 0x20
	v_and_b32_e32 v1, 31, v0
	v_lshrrev_b32_e32 v3, 3, v0
	v_mov_b32_e32 v2, 0
	v_mov_b32_e32 v4, 0x204
	s_waitcnt lgkmcnt(0)
	v_lshlrev_b32_e32 v5, 2, v1
	s_barrier
	buffer_gl0_inv
	s_mul_i32 s0, s14, s7
	s_mul_i32 s2, s13, s6
	s_add_i32 s2, s0, s2
	v_cmp_eq_u32_e64 s0, 0, v1
	s_ashr_i32 s3, s2, 31
	s_lshl_b64 s[4:5], s[2:3], 2
	s_add_u32 s3, s8, s4
	s_addc_u32 s4, s9, s5
	s_lshl_b32 s5, s12, 8
	s_branch .LBB14_4
	.p2align	6
.LBB14_3:                               ;   in Loop: Header=BB14_4 Depth=1
	s_or_b32 exec_lo, exec_lo, s9
	s_waitcnt lgkmcnt(0)
	s_barrier
	buffer_gl0_inv
	ds_read_b32 v1, v5
	s_waitcnt lgkmcnt(0)
	s_barrier
	buffer_gl0_inv
	v_cmp_ne_u32_e32 vcc_lo, 0, v1
	s_cmp_lg_u32 vcc_lo, exec_lo
	s_cselect_b32 s8, -1, 0
	s_and_b32 vcc_lo, exec_lo, s8
	s_cbranch_vccnz .LBB14_8
.LBB14_4:                               ; =>This Inner Loop Header: Depth=1
	s_mov_b32 s2, s5
	s_addk_i32 s5, 0xff00
	s_cmp_lt_i32 s5, 0
	s_cbranch_scc1 .LBB14_7
; %bb.5:                                ;   in Loop: Header=BB14_4 Depth=1
	s_lshr_b32 s9, s5, 1
	s_mov_b32 s8, exec_lo
	v_add_nc_u32_e32 v1, s9, v0
	v_lshlrev_b64 v[6:7], 2, v[1:2]
	v_add_co_u32 v6, vcc_lo, s3, v6
	v_add_co_ci_u32_e64 v7, null, s4, v7, vcc_lo
	global_load_dword v1, v[6:7], off
	s_waitcnt vmcnt(0)
	v_cmp_class_f16_e64 s9, v1, 0x204
	v_cmp_class_f16_sdwa s12, v1, v4 src0_sel:WORD_1 src1_sel:DWORD
	s_and_b32 s9, s9, s12
	v_cndmask_b32_e64 v1, 0, 1, s9
	v_cmp_ne_u32_e32 vcc_lo, 0, v1
	s_and_saveexec_b32 s9, s0
	s_cbranch_execz .LBB14_3
; %bb.6:                                ;   in Loop: Header=BB14_4 Depth=1
	s_cmp_eq_u32 vcc_lo, s8
	s_cselect_b32 s8, -1, 0
	v_cndmask_b32_e64 v1, 0, 1, s8
	ds_write_b32 v3, v1
	s_branch .LBB14_3
.LBB14_7:                               ;   in Loop: Header=BB14_4 Depth=1
	s_cbranch_execz .LBB14_4
.LBB14_8:
	s_mov_b32 s0, exec_lo
	v_cmpx_eq_u32_e32 0, v0
	s_cbranch_execz .LBB14_10
; %bb.9:
	s_mul_i32 s0, s1, s7
	v_mov_b32_e32 v0, 0
	s_add_i32 s0, s0, s6
	v_mov_b32_e32 v1, s2
	s_ashr_i32 s1, s0, 31
	s_lshl_b64 s[0:1], s[0:1], 2
	s_add_u32 s0, s10, s0
	s_addc_u32 s1, s11, s1
	global_store_dword v0, v1, s[0:1]
.LBB14_10:
	s_endpgm
	.section	.rodata,"a",@progbits
	.p2align	6, 0x0
	.amdhsa_kernel _ZL25flash_attn_mask_to_KV_maxILi1EEvPK7__half2Piiii
		.amdhsa_group_segment_fixed_size 128
		.amdhsa_private_segment_fixed_size 0
		.amdhsa_kernarg_size 288
		.amdhsa_user_sgpr_count 6
		.amdhsa_user_sgpr_private_segment_buffer 1
		.amdhsa_user_sgpr_dispatch_ptr 0
		.amdhsa_user_sgpr_queue_ptr 0
		.amdhsa_user_sgpr_kernarg_segment_ptr 1
		.amdhsa_user_sgpr_dispatch_id 0
		.amdhsa_user_sgpr_flat_scratch_init 0
		.amdhsa_user_sgpr_private_segment_size 0
		.amdhsa_wavefront_size32 1
		.amdhsa_uses_dynamic_stack 0
		.amdhsa_system_sgpr_private_segment_wavefront_offset 0
		.amdhsa_system_sgpr_workgroup_id_x 1
		.amdhsa_system_sgpr_workgroup_id_y 1
		.amdhsa_system_sgpr_workgroup_id_z 0
		.amdhsa_system_sgpr_workgroup_info 0
		.amdhsa_system_vgpr_workitem_id 0
		.amdhsa_next_free_vgpr 8
		.amdhsa_next_free_sgpr 16
		.amdhsa_reserve_vcc 1
		.amdhsa_reserve_flat_scratch 0
		.amdhsa_float_round_mode_32 0
		.amdhsa_float_round_mode_16_64 0
		.amdhsa_float_denorm_mode_32 3
		.amdhsa_float_denorm_mode_16_64 3
		.amdhsa_dx10_clamp 1
		.amdhsa_ieee_mode 1
		.amdhsa_fp16_overflow 0
		.amdhsa_workgroup_processor_mode 1
		.amdhsa_memory_ordered 1
		.amdhsa_forward_progress 1
		.amdhsa_shared_vgpr_count 0
		.amdhsa_exception_fp_ieee_invalid_op 0
		.amdhsa_exception_fp_denorm_src 0
		.amdhsa_exception_fp_ieee_div_zero 0
		.amdhsa_exception_fp_ieee_overflow 0
		.amdhsa_exception_fp_ieee_underflow 0
		.amdhsa_exception_fp_ieee_inexact 0
		.amdhsa_exception_int_div_zero 0
	.end_amdhsa_kernel
	.section	.text._ZL25flash_attn_mask_to_KV_maxILi1EEvPK7__half2Piiii,"axG",@progbits,_ZL25flash_attn_mask_to_KV_maxILi1EEvPK7__half2Piiii,comdat
.Lfunc_end14:
	.size	_ZL25flash_attn_mask_to_KV_maxILi1EEvPK7__half2Piiii, .Lfunc_end14-_ZL25flash_attn_mask_to_KV_maxILi1EEvPK7__half2Piiii
                                        ; -- End function
	.set _ZL25flash_attn_mask_to_KV_maxILi1EEvPK7__half2Piiii.num_vgpr, 8
	.set _ZL25flash_attn_mask_to_KV_maxILi1EEvPK7__half2Piiii.num_agpr, 0
	.set _ZL25flash_attn_mask_to_KV_maxILi1EEvPK7__half2Piiii.numbered_sgpr, 16
	.set _ZL25flash_attn_mask_to_KV_maxILi1EEvPK7__half2Piiii.num_named_barrier, 0
	.set _ZL25flash_attn_mask_to_KV_maxILi1EEvPK7__half2Piiii.private_seg_size, 0
	.set _ZL25flash_attn_mask_to_KV_maxILi1EEvPK7__half2Piiii.uses_vcc, 1
	.set _ZL25flash_attn_mask_to_KV_maxILi1EEvPK7__half2Piiii.uses_flat_scratch, 0
	.set _ZL25flash_attn_mask_to_KV_maxILi1EEvPK7__half2Piiii.has_dyn_sized_stack, 0
	.set _ZL25flash_attn_mask_to_KV_maxILi1EEvPK7__half2Piiii.has_recursion, 0
	.set _ZL25flash_attn_mask_to_KV_maxILi1EEvPK7__half2Piiii.has_indirect_call, 0
	.section	.AMDGPU.csdata,"",@progbits
; Kernel info:
; codeLenInByte = 452
; TotalNumSgprs: 18
; NumVgprs: 8
; ScratchSize: 0
; MemoryBound: 0
; FloatMode: 240
; IeeeMode: 1
; LDSByteSize: 128 bytes/workgroup (compile time only)
; SGPRBlocks: 0
; VGPRBlocks: 0
; NumSGPRsForWavesPerEU: 18
; NumVGPRsForWavesPerEU: 8
; Occupancy: 16
; WaveLimiterHint : 0
; COMPUTE_PGM_RSRC2:SCRATCH_EN: 0
; COMPUTE_PGM_RSRC2:USER_SGPR: 6
; COMPUTE_PGM_RSRC2:TRAP_HANDLER: 0
; COMPUTE_PGM_RSRC2:TGID_X_EN: 1
; COMPUTE_PGM_RSRC2:TGID_Y_EN: 1
; COMPUTE_PGM_RSRC2:TGID_Z_EN: 0
; COMPUTE_PGM_RSRC2:TIDIG_COMP_CNT: 0
	.section	.text._ZL33flash_attn_stream_k_fixup_uniformILi128ELi1ELi8EEvPfPK15HIP_vector_typeIfLj2EEiiiiiiS1_IjLj3EES5_S5_,"axG",@progbits,_ZL33flash_attn_stream_k_fixup_uniformILi128ELi1ELi8EEvPfPK15HIP_vector_typeIfLj2EEiiiiiiS1_IjLj3EES5_S5_,comdat
	.globl	_ZL33flash_attn_stream_k_fixup_uniformILi128ELi1ELi8EEvPfPK15HIP_vector_typeIfLj2EEiiiiiiS1_IjLj3EES5_S5_ ; -- Begin function _ZL33flash_attn_stream_k_fixup_uniformILi128ELi1ELi8EEvPfPK15HIP_vector_typeIfLj2EEiiiiiiS1_IjLj3EES5_S5_
	.p2align	8
	.type	_ZL33flash_attn_stream_k_fixup_uniformILi128ELi1ELi8EEvPfPK15HIP_vector_typeIfLj2EEiiiiiiS1_IjLj3EES5_S5_,@function
_ZL33flash_attn_stream_k_fixup_uniformILi128ELi1ELi8EEvPfPK15HIP_vector_typeIfLj2EEiiiiiiS1_IjLj3EES5_S5_: ; @_ZL33flash_attn_stream_k_fixup_uniformILi128ELi1ELi8EEvPfPK15HIP_vector_typeIfLj2EEiiiiiiS1_IjLj3EES5_S5_
; %bb.0:
	s_clause 0x1
	s_load_dwordx8 s[12:19], s[4:5], 0x1c
	s_load_dwordx4 s[0:3], s[4:5], 0x3c
	s_waitcnt lgkmcnt(0)
	s_mul_hi_u32 s9, s15, s6
	s_add_i32 s9, s6, s9
	s_lshr_b32 s9, s9, s16
	s_mul_i32 s10, s9, s17
	s_sub_i32 s16, s6, s10
	s_load_dwordx2 s[10:11], s[4:5], 0x10
	s_mul_hi_u32 s15, s16, s18
	s_add_i32 s15, s16, s15
	s_lshr_b32 s15, s15, s19
	s_mul_i32 s0, s15, s0
	s_sub_i32 s0, s16, s0
	s_mul_hi_u32 s1, s0, s1
	s_add_i32 s1, s0, s1
	s_lshr_b32 s1, s1, s2
	s_mul_i32 s2, s1, s3
	s_lshl_b32 s17, s1, 3
	s_sub_i32 s16, s0, s2
	s_add_i32 s16, s16, s7
	s_waitcnt lgkmcnt(0)
	s_cmp_lt_i32 s16, s10
	s_cselect_b32 s0, -1, 0
	s_add_i32 s17, s17, s8
	s_cmp_lt_i32 s17, s13
	s_cselect_b32 s1, -1, 0
	s_and_b32 s0, s0, s1
	s_andn2_b32 vcc_lo, exec_lo, s0
	s_cbranch_vccnz .LBB15_6
; %bb.1:
	s_mul_i32 s9, s9, s10
	s_load_dwordx4 s[0:3], s[4:5], 0x0
	s_mul_i32 s15, s15, s13
	s_add_i32 s4, s16, s9
	s_add_i32 s5, s17, s15
	s_mul_i32 s4, s4, s11
	s_add_i32 s5, s5, s4
	s_mul_i32 s4, s14, s6
	v_lshl_or_b32 v1, s5, 7, v0
	s_add_i32 s10, s4, s14
	v_ashrrev_i32_e32 v2, 31, v1
	v_lshlrev_b64 v[1:2], 2, v[1:2]
	s_waitcnt lgkmcnt(0)
	v_add_co_u32 v1, vcc_lo, s0, v1
	v_add_co_ci_u32_e64 v2, null, s1, v2, vcc_lo
	s_add_i32 s0, s7, s10
	s_lshl_b32 s0, s0, 3
	global_load_dword v5, v[1:2], off
	s_add_i32 s0, s0, s8
	s_add_i32 s0, s0, -8
	s_ashr_i32 s1, s0, 31
	s_lshl_b64 s[0:1], s[0:1], 3
	s_add_u32 s0, s2, s0
	s_addc_u32 s1, s3, s1
	s_add_i32 s5, s10, -2
	s_load_dword s11, s[0:1], 0x4
	s_cmp_lt_i32 s5, s4
	s_cbranch_scc1 .LBB15_4
; %bb.2:
	s_lshl_b32 s16, s12, 5
	s_load_dword s13, s[0:1], 0x0
	s_ashr_i32 s17, s16, 31
	s_waitcnt lgkmcnt(0)
	v_mov_b32_e32 v6, s11
	s_lshl_b64 s[0:1], s[16:17], 2
	s_add_u32 s5, s2, s0
	s_addc_u32 s9, s3, s1
	s_add_i32 s6, s6, 1
	s_lshl_b32 s0, s8, 7
	s_lshl_b32 s1, s7, 10
	s_mul_i32 s6, s14, s6
	s_add_i32 s0, s0, s1
	s_lshl_b32 s1, s6, 10
	s_add_i32 s6, s10, -1
	s_add_i32 s0, s0, s1
	s_add_i32 s1, s7, s12
	v_or_b32_e32 v0, s0, v0
	s_add_i32 s1, s1, s10
	s_lshl_b32 s0, s1, 3
	v_add_nc_u32_e32 v3, 0xfffff800, v0
	v_mov_b32_e32 v0, s13
	s_add_i32 s0, s8, s0
	s_add_i32 s0, s0, -16
.LBB15_3:                               ; =>This Inner Loop Header: Depth=1
	v_ashrrev_i32_e32 v4, 31, v3
	s_ashr_i32 s1, s0, 31
	s_lshl_b64 s[10:11], s[0:1], 3
	s_add_u32 s10, s2, s10
	v_lshlrev_b64 v[7:8], 2, v[3:4]
	s_addc_u32 s11, s3, s11
	v_add_nc_u32_e32 v3, 0xfffffc00, v3
	s_add_i32 s6, s6, -1
	s_add_i32 s0, s0, -8
	s_cmp_le_i32 s6, s4
	v_add_co_u32 v7, vcc_lo, s5, v7
	v_add_co_ci_u32_e64 v8, null, s9, v8, vcc_lo
	s_load_dwordx2 s[10:11], s[10:11], 0x0
	global_load_dword v4, v[7:8], off
	v_max_f32_e32 v7, v0, v0
	s_waitcnt lgkmcnt(0)
	v_max_f32_e64 v8, s10, s10
	v_max_f32_e32 v7, v7, v8
	v_sub_f32_e32 v8, s10, v7
	v_sub_f32_e32 v0, v0, v7
	v_mul_f32_e32 v9, 0x3fb8aa3b, v8
	v_mul_f32_e32 v12, 0x3fb8aa3b, v0
	v_cmp_ngt_f32_e32 vcc_lo, 0xc2ce8ed0, v8
	v_fma_f32 v10, 0x3fb8aa3b, v8, -v9
	v_rndne_f32_e32 v11, v9
	v_fma_f32 v13, 0x3fb8aa3b, v0, -v12
	v_rndne_f32_e32 v14, v12
	v_fmac_f32_e32 v10, 0x32a5705f, v8
	v_sub_f32_e32 v9, v9, v11
	v_fmac_f32_e32 v13, 0x32a5705f, v0
	v_cvt_i32_f32_e32 v11, v11
	v_add_f32_e32 v9, v9, v10
	v_sub_f32_e32 v10, v12, v14
	v_exp_f32_e32 v9, v9
	v_add_f32_e32 v10, v10, v13
	v_exp_f32_e32 v10, v10
	v_ldexp_f32 v9, v9, v11
	v_cvt_i32_f32_e32 v11, v14
	v_cndmask_b32_e32 v9, 0, v9, vcc_lo
	v_cmp_nlt_f32_e32 vcc_lo, 0x42b17218, v8
	v_ldexp_f32 v10, v10, v11
	v_mov_b32_e32 v11, v6
	v_cndmask_b32_e32 v9, 0x7f800000, v9, vcc_lo
	v_cmp_ngt_f32_e32 vcc_lo, 0xc2ce8ed0, v0
	v_cndmask_b32_e32 v10, 0, v10, vcc_lo
	v_cmp_le_f32_e32 vcc_lo, 0xc1a00000, v8
	v_cndmask_b32_e32 v8, 0, v9, vcc_lo
	v_cmp_nlt_f32_e32 vcc_lo, 0x42b17218, v0
	s_waitcnt vmcnt(1)
	v_mov_b32_e32 v9, v5
	v_cndmask_b32_e32 v5, 0x7f800000, v10, vcc_lo
	v_mul_f32_e32 v10, s11, v8
	v_cmp_le_f32_e32 vcc_lo, 0xc1a00000, v0
	v_mov_b32_e32 v0, v7
	v_mov_b32_e32 v6, v10
	v_cndmask_b32_e32 v12, 0, v5, vcc_lo
	v_fmac_f32_e32 v6, v11, v12
	s_waitcnt vmcnt(0)
	v_mul_f32_e32 v5, v4, v8
	v_fmac_f32_e32 v5, v9, v12
	s_cbranch_scc0 .LBB15_3
	s_branch .LBB15_5
.LBB15_4:
	s_waitcnt lgkmcnt(0)
	v_mov_b32_e32 v6, s11
.LBB15_5:
	s_waitcnt vmcnt(0)
	v_div_scale_f32 v0, null, v6, v6, v5
	v_rcp_f32_e32 v3, v0
	v_fma_f32 v4, -v0, v3, 1.0
	v_fmac_f32_e32 v3, v4, v3
	v_div_scale_f32 v4, vcc_lo, v5, v6, v5
	v_mul_f32_e32 v7, v4, v3
	v_fma_f32 v8, -v0, v7, v4
	v_fmac_f32_e32 v7, v8, v3
	v_fma_f32 v0, -v0, v7, v4
	v_div_fmas_f32 v0, v0, v3, v7
	v_div_fixup_f32 v0, v0, v6, v5
	global_store_dword v[1:2], v0, off
.LBB15_6:
	s_endpgm
	.section	.rodata,"a",@progbits
	.p2align	6, 0x0
	.amdhsa_kernel _ZL33flash_attn_stream_k_fixup_uniformILi128ELi1ELi8EEvPfPK15HIP_vector_typeIfLj2EEiiiiiiS1_IjLj3EES5_S5_
		.amdhsa_group_segment_fixed_size 0
		.amdhsa_private_segment_fixed_size 0
		.amdhsa_kernarg_size 76
		.amdhsa_user_sgpr_count 6
		.amdhsa_user_sgpr_private_segment_buffer 1
		.amdhsa_user_sgpr_dispatch_ptr 0
		.amdhsa_user_sgpr_queue_ptr 0
		.amdhsa_user_sgpr_kernarg_segment_ptr 1
		.amdhsa_user_sgpr_dispatch_id 0
		.amdhsa_user_sgpr_flat_scratch_init 0
		.amdhsa_user_sgpr_private_segment_size 0
		.amdhsa_wavefront_size32 1
		.amdhsa_uses_dynamic_stack 0
		.amdhsa_system_sgpr_private_segment_wavefront_offset 0
		.amdhsa_system_sgpr_workgroup_id_x 1
		.amdhsa_system_sgpr_workgroup_id_y 1
		.amdhsa_system_sgpr_workgroup_id_z 1
		.amdhsa_system_sgpr_workgroup_info 0
		.amdhsa_system_vgpr_workitem_id 0
		.amdhsa_next_free_vgpr 15
		.amdhsa_next_free_sgpr 20
		.amdhsa_reserve_vcc 1
		.amdhsa_reserve_flat_scratch 0
		.amdhsa_float_round_mode_32 0
		.amdhsa_float_round_mode_16_64 0
		.amdhsa_float_denorm_mode_32 3
		.amdhsa_float_denorm_mode_16_64 3
		.amdhsa_dx10_clamp 1
		.amdhsa_ieee_mode 1
		.amdhsa_fp16_overflow 0
		.amdhsa_workgroup_processor_mode 1
		.amdhsa_memory_ordered 1
		.amdhsa_forward_progress 1
		.amdhsa_shared_vgpr_count 0
		.amdhsa_exception_fp_ieee_invalid_op 0
		.amdhsa_exception_fp_denorm_src 0
		.amdhsa_exception_fp_ieee_div_zero 0
		.amdhsa_exception_fp_ieee_overflow 0
		.amdhsa_exception_fp_ieee_underflow 0
		.amdhsa_exception_fp_ieee_inexact 0
		.amdhsa_exception_int_div_zero 0
	.end_amdhsa_kernel
	.section	.text._ZL33flash_attn_stream_k_fixup_uniformILi128ELi1ELi8EEvPfPK15HIP_vector_typeIfLj2EEiiiiiiS1_IjLj3EES5_S5_,"axG",@progbits,_ZL33flash_attn_stream_k_fixup_uniformILi128ELi1ELi8EEvPfPK15HIP_vector_typeIfLj2EEiiiiiiS1_IjLj3EES5_S5_,comdat
.Lfunc_end15:
	.size	_ZL33flash_attn_stream_k_fixup_uniformILi128ELi1ELi8EEvPfPK15HIP_vector_typeIfLj2EEiiiiiiS1_IjLj3EES5_S5_, .Lfunc_end15-_ZL33flash_attn_stream_k_fixup_uniformILi128ELi1ELi8EEvPfPK15HIP_vector_typeIfLj2EEiiiiiiS1_IjLj3EES5_S5_
                                        ; -- End function
	.set _ZL33flash_attn_stream_k_fixup_uniformILi128ELi1ELi8EEvPfPK15HIP_vector_typeIfLj2EEiiiiiiS1_IjLj3EES5_S5_.num_vgpr, 15
	.set _ZL33flash_attn_stream_k_fixup_uniformILi128ELi1ELi8EEvPfPK15HIP_vector_typeIfLj2EEiiiiiiS1_IjLj3EES5_S5_.num_agpr, 0
	.set _ZL33flash_attn_stream_k_fixup_uniformILi128ELi1ELi8EEvPfPK15HIP_vector_typeIfLj2EEiiiiiiS1_IjLj3EES5_S5_.numbered_sgpr, 20
	.set _ZL33flash_attn_stream_k_fixup_uniformILi128ELi1ELi8EEvPfPK15HIP_vector_typeIfLj2EEiiiiiiS1_IjLj3EES5_S5_.num_named_barrier, 0
	.set _ZL33flash_attn_stream_k_fixup_uniformILi128ELi1ELi8EEvPfPK15HIP_vector_typeIfLj2EEiiiiiiS1_IjLj3EES5_S5_.private_seg_size, 0
	.set _ZL33flash_attn_stream_k_fixup_uniformILi128ELi1ELi8EEvPfPK15HIP_vector_typeIfLj2EEiiiiiiS1_IjLj3EES5_S5_.uses_vcc, 1
	.set _ZL33flash_attn_stream_k_fixup_uniformILi128ELi1ELi8EEvPfPK15HIP_vector_typeIfLj2EEiiiiiiS1_IjLj3EES5_S5_.uses_flat_scratch, 0
	.set _ZL33flash_attn_stream_k_fixup_uniformILi128ELi1ELi8EEvPfPK15HIP_vector_typeIfLj2EEiiiiiiS1_IjLj3EES5_S5_.has_dyn_sized_stack, 0
	.set _ZL33flash_attn_stream_k_fixup_uniformILi128ELi1ELi8EEvPfPK15HIP_vector_typeIfLj2EEiiiiiiS1_IjLj3EES5_S5_.has_recursion, 0
	.set _ZL33flash_attn_stream_k_fixup_uniformILi128ELi1ELi8EEvPfPK15HIP_vector_typeIfLj2EEiiiiiiS1_IjLj3EES5_S5_.has_indirect_call, 0
	.section	.AMDGPU.csdata,"",@progbits
; Kernel info:
; codeLenInByte = 824
; TotalNumSgprs: 22
; NumVgprs: 15
; ScratchSize: 0
; MemoryBound: 0
; FloatMode: 240
; IeeeMode: 1
; LDSByteSize: 0 bytes/workgroup (compile time only)
; SGPRBlocks: 0
; VGPRBlocks: 1
; NumSGPRsForWavesPerEU: 22
; NumVGPRsForWavesPerEU: 15
; Occupancy: 16
; WaveLimiterHint : 0
; COMPUTE_PGM_RSRC2:SCRATCH_EN: 0
; COMPUTE_PGM_RSRC2:USER_SGPR: 6
; COMPUTE_PGM_RSRC2:TRAP_HANDLER: 0
; COMPUTE_PGM_RSRC2:TGID_X_EN: 1
; COMPUTE_PGM_RSRC2:TGID_Y_EN: 1
; COMPUTE_PGM_RSRC2:TGID_Z_EN: 1
; COMPUTE_PGM_RSRC2:TIDIG_COMP_CNT: 0
	.section	.text._ZL33flash_attn_stream_k_fixup_generalILi128ELi1ELi8EEvPfPK15HIP_vector_typeIfLj2EEiiiiS1_IjLj3EES5_S5_S5_,"axG",@progbits,_ZL33flash_attn_stream_k_fixup_generalILi128ELi1ELi8EEvPfPK15HIP_vector_typeIfLj2EEiiiiS1_IjLj3EES5_S5_S5_,comdat
	.globl	_ZL33flash_attn_stream_k_fixup_generalILi128ELi1ELi8EEvPfPK15HIP_vector_typeIfLj2EEiiiiS1_IjLj3EES5_S5_S5_ ; -- Begin function _ZL33flash_attn_stream_k_fixup_generalILi128ELi1ELi8EEvPfPK15HIP_vector_typeIfLj2EEiiiiS1_IjLj3EES5_S5_S5_
	.p2align	8
	.type	_ZL33flash_attn_stream_k_fixup_generalILi128ELi1ELi8EEvPfPK15HIP_vector_typeIfLj2EEiiiiS1_IjLj3EES5_S5_S5_,@function
_ZL33flash_attn_stream_k_fixup_generalILi128ELi1ELi8EEvPfPK15HIP_vector_typeIfLj2EEiiiiS1_IjLj3EES5_S5_S5_: ; @_ZL33flash_attn_stream_k_fixup_generalILi128ELi1ELi8EEvPfPK15HIP_vector_typeIfLj2EEiiiiS1_IjLj3EES5_S5_S5_
; %bb.0:
	s_clause 0x1
	s_load_dwordx4 s[0:3], s[4:5], 0x10
	s_load_dword s9, s[4:5], 0x50
	s_mov_b32 s16, 0
	s_waitcnt lgkmcnt(0)
	s_mul_hi_i32 s17, s3, s6
	s_mul_i32 s18, s3, s6
	s_cmp_lg_u64 s[16:17], 0
	s_cbranch_scc0 .LBB16_21
; %bb.1:
	s_add_u32 s10, s9, 0
	s_addc_u32 s11, 0, 0
	s_xor_b64 s[10:11], s[10:11], 0
	v_cvt_f32_u32_e32 v1, s10
	v_cvt_f32_u32_e32 v2, s11
	s_sub_u32 s14, 0, s10
	s_subb_u32 s15, 0, s11
	v_fmamk_f32 v1, v2, 0x4f800000, v1
	v_rcp_f32_e32 v1, v1
	v_mul_f32_e32 v1, 0x5f7ffffc, v1
	v_mul_f32_e32 v2, 0x2f800000, v1
	v_trunc_f32_e32 v2, v2
	v_fmamk_f32 v1, v2, 0xcf800000, v1
	v_cvt_u32_f32_e32 v2, v2
	v_cvt_u32_f32_e32 v1, v1
	v_readfirstlane_b32 s12, v2
	v_readfirstlane_b32 s13, v1
	s_mul_i32 s19, s14, s12
	s_mul_hi_u32 s21, s14, s13
	s_mul_i32 s20, s15, s13
	s_add_i32 s19, s21, s19
	s_mul_i32 s22, s14, s13
	s_add_i32 s19, s19, s20
	s_mul_hi_u32 s21, s13, s22
	s_mul_i32 s24, s13, s19
	s_mul_hi_u32 s23, s12, s22
	s_mul_i32 s20, s12, s22
	s_mul_hi_u32 s22, s13, s19
	s_add_u32 s21, s21, s24
	s_addc_u32 s22, 0, s22
	s_mul_hi_u32 s25, s12, s19
	s_add_u32 s20, s21, s20
	s_mul_i32 s19, s12, s19
	s_addc_u32 s20, s22, s23
	s_addc_u32 s21, s25, 0
	s_add_u32 s19, s20, s19
	s_addc_u32 s20, 0, s21
	s_add_u32 s13, s13, s19
	s_cselect_b32 s19, -1, 0
	s_mul_hi_u32 s21, s14, s13
	s_cmp_lg_u32 s19, 0
	s_mul_i32 s19, s14, s13
	s_addc_u32 s12, s12, s20
	s_mul_i32 s15, s15, s13
	s_mul_i32 s14, s14, s12
	s_mul_hi_u32 s20, s13, s19
	s_add_i32 s14, s21, s14
	s_mul_hi_u32 s21, s12, s19
	s_add_i32 s14, s14, s15
	s_mul_i32 s15, s12, s19
	s_mul_i32 s23, s13, s14
	s_mul_hi_u32 s22, s13, s14
	s_add_u32 s20, s20, s23
	s_addc_u32 s22, 0, s22
	s_mul_hi_u32 s19, s12, s14
	s_add_u32 s15, s20, s15
	s_mul_i32 s14, s12, s14
	s_addc_u32 s15, s22, s21
	s_addc_u32 s19, s19, 0
	s_add_u32 s14, s15, s14
	s_addc_u32 s15, 0, s19
	s_add_u32 s19, s13, s14
	s_cselect_b32 s13, -1, 0
	s_cmp_lg_u32 s13, 0
	s_addc_u32 s20, s12, s15
	s_ashr_i32 s12, s17, 31
	s_add_u32 s14, s18, s12
	s_mov_b32 s13, s12
	s_addc_u32 s15, s17, s12
	s_xor_b64 s[14:15], s[14:15], s[12:13]
	s_mul_i32 s21, s14, s20
	s_mul_hi_u32 s22, s14, s19
	s_mul_hi_u32 s17, s14, s20
	s_mul_hi_u32 s24, s15, s19
	s_mul_i32 s19, s15, s19
	s_add_u32 s21, s22, s21
	s_addc_u32 s17, 0, s17
	s_mul_hi_u32 s23, s15, s20
	s_add_u32 s19, s21, s19
	s_mul_i32 s20, s15, s20
	s_addc_u32 s17, s17, s24
	s_addc_u32 s19, s23, 0
	s_add_u32 s17, s17, s20
	s_addc_u32 s19, 0, s19
	s_mul_hi_u32 s20, s10, s17
	s_mul_i32 s21, s10, s19
	s_mul_i32 s22, s11, s17
	s_add_i32 s20, s20, s21
	s_mul_i32 s21, s10, s17
	s_add_i32 s20, s20, s22
	s_sub_i32 s22, s15, s20
	s_sub_u32 s14, s14, s21
	s_cselect_b32 s21, -1, 0
	s_cmp_lg_u32 s21, 0
	s_subb_u32 s22, s22, s11
	s_sub_u32 s23, s14, s10
	s_cselect_b32 s24, -1, 0
	s_cmp_lg_u32 s24, 0
	s_subb_u32 s22, s22, 0
	s_cmp_ge_u32 s22, s11
	s_cselect_b32 s24, -1, 0
	s_cmp_ge_u32 s23, s10
	s_cselect_b32 s23, -1, 0
	s_cmp_eq_u32 s22, s11
	s_cselect_b32 s22, s23, s24
	s_add_u32 s23, s17, 1
	s_addc_u32 s24, s19, 0
	s_add_u32 s25, s17, 2
	s_addc_u32 s26, s19, 0
	s_cmp_lg_u32 s22, 0
	s_cselect_b32 s22, s25, s23
	s_cselect_b32 s23, s26, s24
	s_cmp_lg_u32 s21, 0
	s_subb_u32 s15, s15, s20
	s_cmp_ge_u32 s15, s11
	s_cselect_b32 s20, -1, 0
	s_cmp_ge_u32 s14, s10
	s_cselect_b32 s10, -1, 0
	s_cmp_eq_u32 s15, s11
	s_cselect_b32 s10, s10, s20
	s_cmp_lg_u32 s10, 0
	s_cselect_b32 s11, s23, s19
	s_cselect_b32 s10, s22, s17
	s_xor_b64 s[12:13], s[12:13], 0
	s_xor_b64 s[10:11], s[10:11], s[12:13]
	s_sub_u32 s10, s10, s12
	s_load_dwordx4 s[12:15], s[4:5], 0x44
	s_andn2_b32 vcc_lo, exec_lo, s16
	s_cbranch_vccnz .LBB16_3
.LBB16_2:
	v_cvt_f32_u32_e32 v1, s9
	s_sub_i32 s11, 0, s9
	v_rcp_iflag_f32_e32 v1, v1
	v_mul_f32_e32 v1, 0x4f7ffffe, v1
	v_cvt_u32_f32_e32 v1, v1
	v_readfirstlane_b32 s10, v1
	s_mul_i32 s11, s11, s10
	s_mul_hi_u32 s11, s10, s11
	s_add_i32 s10, s10, s11
	s_mul_hi_u32 s10, s18, s10
	s_mul_i32 s11, s10, s9
	s_waitcnt lgkmcnt(0)
	s_add_i32 s15, s10, 1
	s_sub_i32 s11, s18, s11
	s_sub_i32 s16, s11, s9
	s_cmp_ge_u32 s11, s9
	s_cselect_b32 s10, s15, s10
	s_cselect_b32 s11, s16, s11
	s_add_i32 s15, s10, 1
	s_cmp_ge_u32 s11, s9
	s_cselect_b32 s10, s15, s10
.LBB16_3:
	s_add_i32 s11, s6, 1
	s_mov_b32 s16, 0
	s_mul_hi_i32 s17, s3, s11
	s_mul_i32 s11, s3, s11
	s_cmp_lg_u64 s[16:17], 0
	s_cbranch_scc0 .LBB16_22
; %bb.4:
	s_add_u32 s18, s9, 0
	s_addc_u32 s19, 0, 0
	s_xor_b64 s[18:19], s[18:19], 0
	v_cvt_f32_u32_e32 v1, s18
	v_cvt_f32_u32_e32 v2, s19
	s_sub_u32 s21, 0, s18
	s_subb_u32 s22, 0, s19
	v_fmamk_f32 v1, v2, 0x4f800000, v1
	v_rcp_f32_e32 v1, v1
	v_mul_f32_e32 v1, 0x5f7ffffc, v1
	v_mul_f32_e32 v2, 0x2f800000, v1
	v_trunc_f32_e32 v2, v2
	v_fmamk_f32 v1, v2, 0xcf800000, v1
	v_cvt_u32_f32_e32 v2, v2
	v_cvt_u32_f32_e32 v1, v1
	s_waitcnt lgkmcnt(0)
	v_readfirstlane_b32 s15, v2
	v_readfirstlane_b32 s20, v1
	s_mul_i32 s23, s21, s15
	s_mul_hi_u32 s25, s21, s20
	s_mul_i32 s24, s22, s20
	s_add_i32 s23, s25, s23
	s_mul_i32 s26, s21, s20
	s_add_i32 s23, s23, s24
	s_mul_hi_u32 s25, s20, s26
	s_mul_i32 s28, s20, s23
	s_mul_hi_u32 s27, s15, s26
	s_mul_i32 s24, s15, s26
	s_mul_hi_u32 s26, s20, s23
	s_add_u32 s25, s25, s28
	s_addc_u32 s26, 0, s26
	s_mul_hi_u32 s29, s15, s23
	s_add_u32 s24, s25, s24
	s_mul_i32 s23, s15, s23
	s_addc_u32 s24, s26, s27
	s_addc_u32 s25, s29, 0
	s_add_u32 s23, s24, s23
	s_addc_u32 s24, 0, s25
	s_add_u32 s20, s20, s23
	s_cselect_b32 s23, -1, 0
	s_mul_hi_u32 s25, s21, s20
	s_cmp_lg_u32 s23, 0
	s_mul_i32 s23, s21, s20
	s_addc_u32 s15, s15, s24
	s_mul_i32 s22, s22, s20
	s_mul_i32 s21, s21, s15
	s_mul_hi_u32 s24, s20, s23
	s_add_i32 s21, s25, s21
	s_mul_hi_u32 s25, s15, s23
	s_add_i32 s21, s21, s22
	s_mul_i32 s22, s15, s23
	s_mul_i32 s27, s20, s21
	s_mul_hi_u32 s26, s20, s21
	s_add_u32 s24, s24, s27
	s_addc_u32 s26, 0, s26
	s_mul_hi_u32 s23, s15, s21
	s_add_u32 s22, s24, s22
	s_mul_i32 s21, s15, s21
	s_addc_u32 s22, s26, s25
	s_addc_u32 s23, s23, 0
	s_add_u32 s21, s22, s21
	s_addc_u32 s22, 0, s23
	s_add_u32 s24, s20, s21
	s_cselect_b32 s20, -1, 0
	s_cmp_lg_u32 s20, 0
	s_addc_u32 s15, s15, s22
	s_ashr_i32 s20, s17, 31
	s_add_u32 s22, s11, s20
	s_mov_b32 s21, s20
	s_addc_u32 s23, s17, s20
	s_xor_b64 s[22:23], s[22:23], s[20:21]
	s_mul_i32 s25, s22, s15
	s_mul_hi_u32 s26, s22, s24
	s_mul_hi_u32 s17, s22, s15
	;; [unrolled: 1-line block ×3, first 2 shown]
	s_mul_i32 s24, s23, s24
	s_add_u32 s25, s26, s25
	s_addc_u32 s17, 0, s17
	s_mul_hi_u32 s27, s23, s15
	s_add_u32 s24, s25, s24
	s_mul_i32 s15, s23, s15
	s_addc_u32 s17, s17, s28
	s_addc_u32 s24, s27, 0
	s_add_u32 s15, s17, s15
	s_addc_u32 s17, 0, s24
	s_mul_hi_u32 s24, s18, s15
	s_mul_i32 s25, s18, s17
	s_mul_i32 s26, s19, s15
	s_add_i32 s24, s24, s25
	s_mul_i32 s25, s18, s15
	s_add_i32 s24, s24, s26
	s_sub_i32 s26, s23, s24
	s_sub_u32 s22, s22, s25
	s_cselect_b32 s25, -1, 0
	s_cmp_lg_u32 s25, 0
	s_subb_u32 s26, s26, s19
	s_sub_u32 s27, s22, s18
	s_cselect_b32 s28, -1, 0
	s_cmp_lg_u32 s28, 0
	s_subb_u32 s26, s26, 0
	s_cmp_ge_u32 s26, s19
	s_cselect_b32 s28, -1, 0
	s_cmp_ge_u32 s27, s18
	s_cselect_b32 s27, -1, 0
	s_cmp_eq_u32 s26, s19
	s_cselect_b32 s26, s27, s28
	s_add_u32 s27, s15, 1
	s_addc_u32 s28, s17, 0
	s_add_u32 s29, s15, 2
	s_addc_u32 s30, s17, 0
	s_cmp_lg_u32 s26, 0
	s_cselect_b32 s26, s29, s27
	s_cselect_b32 s27, s30, s28
	s_cmp_lg_u32 s25, 0
	s_subb_u32 s23, s23, s24
	s_cmp_ge_u32 s23, s19
	s_cselect_b32 s24, -1, 0
	s_cmp_ge_u32 s22, s18
	s_cselect_b32 s18, -1, 0
	s_cmp_eq_u32 s23, s19
	s_cselect_b32 s18, s18, s24
	s_cmp_lg_u32 s18, 0
	s_cselect_b32 s19, s27, s17
	s_cselect_b32 s18, s26, s15
	s_xor_b64 s[20:21], s[20:21], 0
	s_xor_b64 s[18:19], s[18:19], s[20:21]
	s_sub_u32 s18, s18, s20
	s_andn2_b32 vcc_lo, exec_lo, s16
	s_cbranch_vccnz .LBB16_6
.LBB16_5:
	v_cvt_f32_u32_e32 v1, s9
	s_sub_i32 s16, 0, s9
	v_rcp_iflag_f32_e32 v1, v1
	v_mul_f32_e32 v1, 0x4f7ffffe, v1
	v_cvt_u32_f32_e32 v1, v1
	s_waitcnt lgkmcnt(0)
	v_readfirstlane_b32 s15, v1
	s_mul_i32 s16, s16, s15
	s_mul_hi_u32 s16, s15, s16
	s_add_i32 s15, s15, s16
	s_mul_hi_u32 s15, s11, s15
	s_mul_i32 s16, s15, s9
	s_sub_i32 s11, s11, s16
	s_add_i32 s16, s15, 1
	s_sub_i32 s17, s11, s9
	s_cmp_ge_u32 s11, s9
	s_cselect_b32 s15, s16, s15
	s_cselect_b32 s11, s17, s11
	s_add_i32 s16, s15, 1
	s_cmp_ge_u32 s11, s9
	s_cselect_b32 s18, s16, s15
.LBB16_6:
	s_cmp_eq_u32 s10, s18
	s_waitcnt lgkmcnt(0)
	s_mul_hi_u32 s11, s10, s12
	s_cselect_b32 s15, -1, 0
	s_add_i32 s11, s11, s10
	s_lshr_b32 s11, s11, s13
	s_mul_i32 s16, s11, s14
	s_cmp_eq_u32 s16, s10
	s_mul_hi_u32 s16, s18, s12
	s_cselect_b32 s17, -1, 0
	s_add_i32 s16, s16, s18
	s_lshr_b32 s16, s16, s13
	s_cmp_eq_u32 s11, s16
	s_mul_i32 s16, s16, s14
	s_cselect_b32 s19, -1, 0
	s_cmp_lg_u32 s16, s18
	s_cselect_b32 s16, -1, 0
	s_or_b32 s15, s15, s17
	s_and_b32 s16, s19, s16
	s_or_b32 s15, s15, s16
	s_and_b32 vcc_lo, exec_lo, s15
	s_cbranch_vccnz .LBB16_24
; %bb.7:
	s_load_dwordx8 s[16:23], s[4:5], 0x20
	s_waitcnt lgkmcnt(0)
	s_mul_hi_u32 s15, s10, s16
	s_load_dword s16, s[4:5], 0x40
	s_add_i32 s15, s15, s10
	s_lshr_b32 s15, s15, s17
	s_mul_i32 s17, s15, s18
	s_sub_i32 s17, s10, s17
	s_mul_hi_u32 s18, s17, s19
	s_add_i32 s18, s17, s18
	s_lshr_b32 s20, s18, s20
	s_mul_i32 s18, s20, s21
	s_sub_i32 s17, s17, s18
	s_mul_hi_u32 s18, s17, s22
	s_add_i32 s18, s17, s18
	s_lshr_b32 s18, s18, s23
	s_waitcnt lgkmcnt(0)
	s_mul_i32 s16, s18, s16
	s_lshl_b32 s22, s18, 3
	s_sub_i32 s16, s17, s16
	s_mul_hi_u32 s17, s16, s12
	s_add_i32 s16, s16, s17
	s_lshr_b32 s21, s16, s13
	s_add_i32 s21, s21, s7
	s_cmp_lt_i32 s21, s0
	s_cselect_b32 s16, -1, 0
	s_add_i32 s22, s22, s8
	s_cmp_lt_i32 s22, s2
	s_cselect_b32 s17, -1, 0
	s_and_b32 s16, s16, s17
	s_andn2_b32 vcc_lo, exec_lo, s16
	s_cbranch_vccnz .LBB16_24
; %bb.8:
	s_load_dwordx4 s[16:19], s[4:5], 0x0
	s_mov_b32 s4, 0
	s_lshl_b32 s24, s9, 5
	s_mov_b32 s25, s4
	s_mul_i32 s0, s15, s0
	s_lshl_b64 s[24:25], s[24:25], 2
	s_mul_i32 s20, s20, s2
	v_cvt_f32_u32_e32 v4, s9
	v_rcp_iflag_f32_e32 v4, v4
	s_waitcnt lgkmcnt(0)
	s_add_u32 s2, s18, s24
	s_addc_u32 s15, s19, s25
	s_add_i32 s0, s21, s0
	s_add_i32 s5, s22, s20
	s_mul_i32 s0, s0, s1
	v_mul_f32_e32 v4, 0x4f7ffffe, v4
	s_add_i32 s5, s5, s0
	s_add_i32 s0, s7, s6
	v_lshl_or_b32 v1, s5, 7, v0
	s_lshl_b32 s0, s0, 3
	v_lshl_or_b32 v0, s8, 7, v0
	s_add_i32 s0, s0, s8
	v_cvt_u32_f32_e32 v4, v4
	v_ashrrev_i32_e32 v2, 31, v1
	s_ashr_i32 s1, s0, 31
	s_lshl_b64 s[0:1], s[0:1], 3
	v_lshlrev_b64 v[1:2], 2, v[1:2]
	s_add_u32 s0, s18, s0
	s_addc_u32 s1, s19, s1
	s_add_i32 s20, s6, -1
	s_load_dwordx2 s[0:1], s[0:1], 0x0
	s_sub_i32 s6, 0, s9
	v_add_co_u32 v1, vcc_lo, s16, v1
	v_add_co_ci_u32_e64 v2, null, s17, v2, vcc_lo
	global_load_dword v3, v[1:2], off
	s_waitcnt lgkmcnt(0)
	v_mov_b32_e32 v5, s1
	v_mov_b32_e32 v6, s0
.LBB16_9:                               ; =>This Inner Loop Header: Depth=1
	s_mul_hi_i32 s5, s20, s3
	s_mul_i32 s16, s20, s3
	s_cmp_lg_u64 s[4:5], 0
	s_mov_b32 s17, -1
                                        ; implicit-def: $sgpr0_sgpr1
	s_cbranch_scc0 .LBB16_11
; %bb.10:                               ;   in Loop: Header=BB16_9 Depth=1
	s_add_u32 s0, s9, 0
	s_addc_u32 s1, 0, 0
	s_xor_b64 s[0:1], s[0:1], 0
	v_cvt_f32_u32_e32 v7, s0
	v_cvt_f32_u32_e32 v8, s1
	s_sub_u32 s22, 0, s0
	s_subb_u32 s23, 0, s1
	v_fmac_f32_e32 v7, 0x4f800000, v8
	v_rcp_f32_e32 v7, v7
	v_mul_f32_e32 v7, 0x5f7ffffc, v7
	v_mul_f32_e32 v8, 0x2f800000, v7
	v_trunc_f32_e32 v8, v8
	v_fmac_f32_e32 v7, 0xcf800000, v8
	v_cvt_u32_f32_e32 v8, v8
	v_cvt_u32_f32_e32 v7, v7
	v_readfirstlane_b32 s17, v8
	v_readfirstlane_b32 s21, v7
	s_mul_i32 s24, s22, s17
	s_mul_hi_u32 s26, s22, s21
	s_mul_i32 s25, s23, s21
	s_add_i32 s24, s26, s24
	s_mul_i32 s27, s22, s21
	s_add_i32 s24, s24, s25
	s_mul_hi_u32 s26, s21, s27
	s_mul_i32 s29, s21, s24
	s_mul_hi_u32 s28, s17, s27
	s_mul_i32 s25, s17, s27
	s_mul_hi_u32 s27, s21, s24
	s_add_u32 s26, s26, s29
	s_addc_u32 s27, 0, s27
	s_mul_hi_u32 s30, s17, s24
	s_add_u32 s25, s26, s25
	s_mul_i32 s24, s17, s24
	s_addc_u32 s25, s27, s28
	s_addc_u32 s26, s30, 0
	s_add_u32 s24, s25, s24
	s_addc_u32 s25, 0, s26
	s_add_u32 s21, s21, s24
	s_cselect_b32 s24, -1, 0
	s_mul_hi_u32 s26, s22, s21
	s_cmp_lg_u32 s24, 0
	s_mul_i32 s24, s22, s21
	s_addc_u32 s17, s17, s25
	s_mul_i32 s23, s23, s21
	s_mul_i32 s22, s22, s17
	s_mul_hi_u32 s25, s21, s24
	s_add_i32 s22, s26, s22
	s_mul_hi_u32 s26, s17, s24
	s_add_i32 s22, s22, s23
	s_mul_i32 s23, s17, s24
	s_mul_i32 s28, s21, s22
	s_mul_hi_u32 s27, s21, s22
	s_add_u32 s25, s25, s28
	s_addc_u32 s27, 0, s27
	s_mul_hi_u32 s24, s17, s22
	s_add_u32 s23, s25, s23
	s_mul_i32 s22, s17, s22
	s_addc_u32 s23, s27, s26
	s_addc_u32 s24, s24, 0
	s_add_u32 s22, s23, s22
	s_addc_u32 s23, 0, s24
	s_add_u32 s21, s21, s22
	s_cselect_b32 s22, -1, 0
	s_cmp_lg_u32 s22, 0
	s_addc_u32 s17, s17, s23
	s_ashr_i32 s22, s5, 31
	s_add_u32 s24, s16, s22
	s_mov_b32 s23, s22
	s_addc_u32 s25, s5, s22
	s_xor_b64 s[24:25], s[24:25], s[22:23]
	s_mul_i32 s26, s24, s17
	s_mul_hi_u32 s27, s24, s21
	s_mul_hi_u32 s5, s24, s17
	;; [unrolled: 1-line block ×3, first 2 shown]
	s_mul_i32 s21, s25, s21
	s_add_u32 s26, s27, s26
	s_addc_u32 s5, 0, s5
	s_mul_hi_u32 s28, s25, s17
	s_add_u32 s21, s26, s21
	s_mul_i32 s17, s25, s17
	s_addc_u32 s5, s5, s29
	s_addc_u32 s21, s28, 0
	s_add_u32 s5, s5, s17
	s_addc_u32 s17, 0, s21
	s_mul_hi_u32 s21, s0, s5
	s_mul_i32 s26, s0, s17
	s_mul_i32 s27, s1, s5
	s_add_i32 s21, s21, s26
	s_mul_i32 s26, s0, s5
	s_add_i32 s21, s21, s27
	s_sub_i32 s27, s25, s21
	s_sub_u32 s24, s24, s26
	s_cselect_b32 s26, -1, 0
	s_cmp_lg_u32 s26, 0
	s_subb_u32 s27, s27, s1
	s_sub_u32 s28, s24, s0
	s_cselect_b32 s29, -1, 0
	s_cmp_lg_u32 s29, 0
	s_subb_u32 s27, s27, 0
	s_cmp_ge_u32 s27, s1
	s_cselect_b32 s29, -1, 0
	s_cmp_ge_u32 s28, s0
	s_cselect_b32 s28, -1, 0
	s_cmp_eq_u32 s27, s1
	s_cselect_b32 s27, s28, s29
	s_add_u32 s28, s5, 1
	s_addc_u32 s29, s17, 0
	s_add_u32 s30, s5, 2
	s_addc_u32 s31, s17, 0
	s_cmp_lg_u32 s27, 0
	s_cselect_b32 s27, s30, s28
	s_cselect_b32 s28, s31, s29
	s_cmp_lg_u32 s26, 0
	s_subb_u32 s21, s25, s21
	s_cmp_ge_u32 s21, s1
	s_cselect_b32 s25, -1, 0
	s_cmp_ge_u32 s24, s0
	s_cselect_b32 s0, -1, 0
	s_cmp_eq_u32 s21, s1
	s_cselect_b32 s0, s0, s25
	s_cmp_lg_u32 s0, 0
	s_cselect_b32 s1, s28, s17
	s_cselect_b32 s0, s27, s5
	s_xor_b64 s[22:23], s[22:23], 0
	s_mov_b32 s17, 0
	s_xor_b64 s[0:1], s[0:1], s[22:23]
	s_sub_u32 s0, s0, s22
.LBB16_11:                              ;   in Loop: Header=BB16_9 Depth=1
	s_andn2_b32 vcc_lo, exec_lo, s17
	s_cbranch_vccnz .LBB16_13
; %bb.12:                               ;   in Loop: Header=BB16_9 Depth=1
	v_readfirstlane_b32 s0, v4
	s_mul_i32 s1, s6, s0
	s_mul_hi_u32 s1, s0, s1
	s_add_i32 s0, s0, s1
	s_mul_hi_u32 s0, s16, s0
	s_mul_i32 s1, s0, s9
	s_add_i32 s5, s0, 1
	s_sub_i32 s1, s16, s1
	s_sub_i32 s16, s1, s9
	s_cmp_ge_u32 s1, s9
	s_cselect_b32 s0, s5, s0
	s_cselect_b32 s1, s16, s1
	s_add_i32 s5, s0, 1
	s_cmp_ge_u32 s1, s9
	s_cselect_b32 s0, s5, s0
.LBB16_13:                              ;   in Loop: Header=BB16_9 Depth=1
	s_cmp_lg_u32 s10, s0
	s_mov_b32 s16, -1
                                        ; implicit-def: $sgpr5
                                        ; implicit-def: $vgpr8
                                        ; implicit-def: $vgpr7
                                        ; implicit-def: $vgpr9
                                        ; implicit-def: $sgpr1
                                        ; implicit-def: $sgpr21
	s_cbranch_scc0 .LBB16_18
; %bb.14:                               ;   in Loop: Header=BB16_9 Depth=1
	s_add_i32 s22, s20, s7
	s_mov_b32 s17, s4
	s_add_i32 s1, s22, s9
	s_mov_b32 s21, s10
	s_lshl_b32 s1, s1, 3
	s_add_i32 s16, s1, s8
	s_mul_hi_u32 s1, s0, s12
	s_lshl_b64 s[16:17], s[16:17], 3
	s_add_u32 s16, s18, s16
	s_addc_u32 s17, s19, s17
	s_add_i32 s1, s1, s0
	s_lshr_b32 s1, s1, s13
	s_mul_i32 s5, s1, s14
	s_cmp_eq_u32 s5, s0
	s_cselect_b32 s5, -1, 0
	s_cmp_lt_u32 s1, s11
	s_cselect_b32 s1, -1, 0
	s_or_b32 s1, s1, s5
	s_mov_b32 s5, -1
	s_and_b32 vcc_lo, exec_lo, s1
	s_mov_b32 s1, s20
	s_cbranch_vccnz .LBB16_16
; %bb.15:                               ;   in Loop: Header=BB16_9 Depth=1
	s_add_i32 s1, s20, -1
	s_mov_b32 s5, 0
	s_mov_b32 s21, s0
.LBB16_16:                              ;   in Loop: Header=BB16_9 Depth=1
	v_lshl_add_u32 v7, s22, 10, v0
	s_load_dwordx2 s[16:17], s[16:17], 0x0
	v_ashrrev_i32_e32 v8, 31, v7
	v_lshlrev_b64 v[7:8], 2, v[7:8]
	v_add_co_u32 v7, vcc_lo, s2, v7
	v_add_co_ci_u32_e64 v8, null, s15, v8, vcc_lo
	s_waitcnt lgkmcnt(0)
	v_max_f32_e64 v9, s16, s16
	global_load_dword v8, v[7:8], off
	v_max_f32_e32 v7, v6, v6
	v_max_f32_e32 v7, v7, v9
	v_sub_f32_e32 v9, s16, v7
	v_sub_f32_e32 v10, v6, v7
	v_mul_f32_e32 v11, 0x3fb8aa3b, v9
	v_mul_f32_e32 v12, 0x3fb8aa3b, v10
	v_cmp_ngt_f32_e32 vcc_lo, 0xc2ce8ed0, v9
	v_fma_f32 v13, 0x3fb8aa3b, v9, -v11
	v_rndne_f32_e32 v14, v11
	v_fma_f32 v15, 0x3fb8aa3b, v10, -v12
	v_rndne_f32_e32 v16, v12
	v_fmac_f32_e32 v13, 0x32a5705f, v9
	v_sub_f32_e32 v11, v11, v14
	v_fmac_f32_e32 v15, 0x32a5705f, v10
	v_sub_f32_e32 v12, v12, v16
	v_add_f32_e32 v11, v11, v13
	v_cvt_i32_f32_e32 v13, v14
	v_add_f32_e32 v12, v12, v15
	v_cvt_i32_f32_e32 v14, v16
	v_exp_f32_e32 v11, v11
	v_exp_f32_e32 v12, v12
	v_ldexp_f32 v11, v11, v13
	v_ldexp_f32 v12, v12, v14
	v_cndmask_b32_e32 v11, 0, v11, vcc_lo
	v_cmp_ngt_f32_e32 vcc_lo, 0xc2ce8ed0, v10
	v_cndmask_b32_e32 v12, 0, v12, vcc_lo
	v_cmp_nlt_f32_e32 vcc_lo, 0x42b17218, v9
	v_cndmask_b32_e32 v11, 0x7f800000, v11, vcc_lo
	v_cmp_nlt_f32_e32 vcc_lo, 0x42b17218, v10
	v_cndmask_b32_e32 v12, 0x7f800000, v12, vcc_lo
	v_cmp_le_f32_e32 vcc_lo, 0xc1a00000, v9
	v_cndmask_b32_e32 v9, 0, v11, vcc_lo
	v_cmp_le_f32_e32 vcc_lo, 0xc1a00000, v10
	v_cndmask_b32_e32 v10, 0, v12, vcc_lo
	s_waitcnt vmcnt(0)
	v_mul_f32_e32 v8, v8, v9
	v_mul_f32_e32 v9, s17, v9
	v_fmac_f32_e32 v8, v3, v10
	v_fmac_f32_e32 v9, v5, v10
	s_cbranch_execz .LBB16_19
.LBB16_17:                              ;   in Loop: Header=BB16_9 Depth=1
	s_andn2_b32 vcc_lo, exec_lo, s5
	s_cbranch_vccnz .LBB16_20
	s_branch .LBB16_23
.LBB16_18:                              ;   in Loop: Header=BB16_9 Depth=1
	s_andn2_b32 vcc_lo, exec_lo, s16
	s_cbranch_vccnz .LBB16_17
.LBB16_19:                              ;   in Loop: Header=BB16_9 Depth=1
	v_mov_b32_e32 v9, v5
	v_mov_b32_e32 v7, v6
	s_waitcnt vmcnt(0)
	v_mov_b32_e32 v8, v3
	s_add_i32 s1, s20, -1
	s_mov_b32 s21, s10
	s_cbranch_execz .LBB16_23
.LBB16_20:                              ;   in Loop: Header=BB16_9 Depth=1
	v_mov_b32_e32 v5, v9
	v_mov_b32_e32 v6, v7
	s_waitcnt vmcnt(0)
	v_mov_b32_e32 v3, v8
	s_mov_b32 s10, s21
	s_mov_b32 s20, s1
	s_branch .LBB16_9
.LBB16_21:
                                        ; implicit-def: $sgpr10_sgpr11
	s_load_dwordx4 s[12:15], s[4:5], 0x44
	s_branch .LBB16_2
.LBB16_22:
                                        ; implicit-def: $sgpr18_sgpr19
	s_branch .LBB16_5
.LBB16_23:
	v_div_scale_f32 v0, null, v9, v9, v8
	s_waitcnt vmcnt(0)
	v_rcp_f32_e32 v3, v0
	v_fma_f32 v4, -v0, v3, 1.0
	v_fmac_f32_e32 v3, v4, v3
	v_div_scale_f32 v4, vcc_lo, v8, v9, v8
	v_mul_f32_e32 v5, v4, v3
	v_fma_f32 v6, -v0, v5, v4
	v_fmac_f32_e32 v5, v6, v3
	v_fma_f32 v0, -v0, v5, v4
	v_div_fmas_f32 v0, v0, v3, v5
	v_div_fixup_f32 v0, v0, v9, v8
	global_store_dword v[1:2], v0, off
.LBB16_24:
	s_endpgm
	.section	.rodata,"a",@progbits
	.p2align	6, 0x0
	.amdhsa_kernel _ZL33flash_attn_stream_k_fixup_generalILi128ELi1ELi8EEvPfPK15HIP_vector_typeIfLj2EEiiiiS1_IjLj3EES5_S5_S5_
		.amdhsa_group_segment_fixed_size 0
		.amdhsa_private_segment_fixed_size 0
		.amdhsa_kernarg_size 336
		.amdhsa_user_sgpr_count 6
		.amdhsa_user_sgpr_private_segment_buffer 1
		.amdhsa_user_sgpr_dispatch_ptr 0
		.amdhsa_user_sgpr_queue_ptr 0
		.amdhsa_user_sgpr_kernarg_segment_ptr 1
		.amdhsa_user_sgpr_dispatch_id 0
		.amdhsa_user_sgpr_flat_scratch_init 0
		.amdhsa_user_sgpr_private_segment_size 0
		.amdhsa_wavefront_size32 1
		.amdhsa_uses_dynamic_stack 0
		.amdhsa_system_sgpr_private_segment_wavefront_offset 0
		.amdhsa_system_sgpr_workgroup_id_x 1
		.amdhsa_system_sgpr_workgroup_id_y 1
		.amdhsa_system_sgpr_workgroup_id_z 1
		.amdhsa_system_sgpr_workgroup_info 0
		.amdhsa_system_vgpr_workitem_id 0
		.amdhsa_next_free_vgpr 17
		.amdhsa_next_free_sgpr 32
		.amdhsa_reserve_vcc 1
		.amdhsa_reserve_flat_scratch 0
		.amdhsa_float_round_mode_32 0
		.amdhsa_float_round_mode_16_64 0
		.amdhsa_float_denorm_mode_32 3
		.amdhsa_float_denorm_mode_16_64 3
		.amdhsa_dx10_clamp 1
		.amdhsa_ieee_mode 1
		.amdhsa_fp16_overflow 0
		.amdhsa_workgroup_processor_mode 1
		.amdhsa_memory_ordered 1
		.amdhsa_forward_progress 1
		.amdhsa_shared_vgpr_count 0
		.amdhsa_exception_fp_ieee_invalid_op 0
		.amdhsa_exception_fp_denorm_src 0
		.amdhsa_exception_fp_ieee_div_zero 0
		.amdhsa_exception_fp_ieee_overflow 0
		.amdhsa_exception_fp_ieee_underflow 0
		.amdhsa_exception_fp_ieee_inexact 0
		.amdhsa_exception_int_div_zero 0
	.end_amdhsa_kernel
	.section	.text._ZL33flash_attn_stream_k_fixup_generalILi128ELi1ELi8EEvPfPK15HIP_vector_typeIfLj2EEiiiiS1_IjLj3EES5_S5_S5_,"axG",@progbits,_ZL33flash_attn_stream_k_fixup_generalILi128ELi1ELi8EEvPfPK15HIP_vector_typeIfLj2EEiiiiS1_IjLj3EES5_S5_S5_,comdat
.Lfunc_end16:
	.size	_ZL33flash_attn_stream_k_fixup_generalILi128ELi1ELi8EEvPfPK15HIP_vector_typeIfLj2EEiiiiS1_IjLj3EES5_S5_S5_, .Lfunc_end16-_ZL33flash_attn_stream_k_fixup_generalILi128ELi1ELi8EEvPfPK15HIP_vector_typeIfLj2EEiiiiS1_IjLj3EES5_S5_S5_
                                        ; -- End function
	.set _ZL33flash_attn_stream_k_fixup_generalILi128ELi1ELi8EEvPfPK15HIP_vector_typeIfLj2EEiiiiS1_IjLj3EES5_S5_S5_.num_vgpr, 17
	.set _ZL33flash_attn_stream_k_fixup_generalILi128ELi1ELi8EEvPfPK15HIP_vector_typeIfLj2EEiiiiS1_IjLj3EES5_S5_S5_.num_agpr, 0
	.set _ZL33flash_attn_stream_k_fixup_generalILi128ELi1ELi8EEvPfPK15HIP_vector_typeIfLj2EEiiiiS1_IjLj3EES5_S5_S5_.numbered_sgpr, 32
	.set _ZL33flash_attn_stream_k_fixup_generalILi128ELi1ELi8EEvPfPK15HIP_vector_typeIfLj2EEiiiiS1_IjLj3EES5_S5_S5_.num_named_barrier, 0
	.set _ZL33flash_attn_stream_k_fixup_generalILi128ELi1ELi8EEvPfPK15HIP_vector_typeIfLj2EEiiiiS1_IjLj3EES5_S5_S5_.private_seg_size, 0
	.set _ZL33flash_attn_stream_k_fixup_generalILi128ELi1ELi8EEvPfPK15HIP_vector_typeIfLj2EEiiiiS1_IjLj3EES5_S5_S5_.uses_vcc, 1
	.set _ZL33flash_attn_stream_k_fixup_generalILi128ELi1ELi8EEvPfPK15HIP_vector_typeIfLj2EEiiiiS1_IjLj3EES5_S5_S5_.uses_flat_scratch, 0
	.set _ZL33flash_attn_stream_k_fixup_generalILi128ELi1ELi8EEvPfPK15HIP_vector_typeIfLj2EEiiiiS1_IjLj3EES5_S5_S5_.has_dyn_sized_stack, 0
	.set _ZL33flash_attn_stream_k_fixup_generalILi128ELi1ELi8EEvPfPK15HIP_vector_typeIfLj2EEiiiiS1_IjLj3EES5_S5_S5_.has_recursion, 0
	.set _ZL33flash_attn_stream_k_fixup_generalILi128ELi1ELi8EEvPfPK15HIP_vector_typeIfLj2EEiiiiS1_IjLj3EES5_S5_S5_.has_indirect_call, 0
	.section	.AMDGPU.csdata,"",@progbits
; Kernel info:
; codeLenInByte = 2924
; TotalNumSgprs: 34
; NumVgprs: 17
; ScratchSize: 0
; MemoryBound: 0
; FloatMode: 240
; IeeeMode: 1
; LDSByteSize: 0 bytes/workgroup (compile time only)
; SGPRBlocks: 0
; VGPRBlocks: 2
; NumSGPRsForWavesPerEU: 34
; NumVGPRsForWavesPerEU: 17
; Occupancy: 16
; WaveLimiterHint : 0
; COMPUTE_PGM_RSRC2:SCRATCH_EN: 0
; COMPUTE_PGM_RSRC2:USER_SGPR: 6
; COMPUTE_PGM_RSRC2:TRAP_HANDLER: 0
; COMPUTE_PGM_RSRC2:TGID_X_EN: 1
; COMPUTE_PGM_RSRC2:TGID_Y_EN: 1
; COMPUTE_PGM_RSRC2:TGID_Z_EN: 1
; COMPUTE_PGM_RSRC2:TIDIG_COMP_CNT: 0
	.section	.text._ZL15flash_attn_tileILi128ELi128ELi16ELi4ELb0EEvPKcS1_S1_S1_S1_PKiPfP15HIP_vector_typeIfLj2EEffffjfiS5_IjLj3EEiiiiiiiiiiiliiliiiiil,"axG",@progbits,_ZL15flash_attn_tileILi128ELi128ELi16ELi4ELb0EEvPKcS1_S1_S1_S1_PKiPfP15HIP_vector_typeIfLj2EEffffjfiS5_IjLj3EEiiiiiiiiiiiliiliiiiil,comdat
	.globl	_ZL15flash_attn_tileILi128ELi128ELi16ELi4ELb0EEvPKcS1_S1_S1_S1_PKiPfP15HIP_vector_typeIfLj2EEffffjfiS5_IjLj3EEiiiiiiiiiiiliiliiiiil ; -- Begin function _ZL15flash_attn_tileILi128ELi128ELi16ELi4ELb0EEvPKcS1_S1_S1_S1_PKiPfP15HIP_vector_typeIfLj2EEffffjfiS5_IjLj3EEiiiiiiiiiiiliiliiiiil
	.p2align	8
	.type	_ZL15flash_attn_tileILi128ELi128ELi16ELi4ELb0EEvPKcS1_S1_S1_S1_PKiPfP15HIP_vector_typeIfLj2EEffffjfiS5_IjLj3EEiiiiiiiiiiiliiliiiiil,@function
_ZL15flash_attn_tileILi128ELi128ELi16ELi4ELb0EEvPKcS1_S1_S1_S1_PKiPfP15HIP_vector_typeIfLj2EEffffjfiS5_IjLj3EEiiiiiiiiiiiliiliiiiil: ; @_ZL15flash_attn_tileILi128ELi128ELi16ELi4ELb0EEvPKcS1_S1_S1_S1_PKiPfP15HIP_vector_typeIfLj2EEffffjfiS5_IjLj3EEiiiiiiiiiiiliiliiiiil
; %bb.0:
	s_clause 0x1
	s_load_dwordx4 s[52:55], s[4:5], 0x5c
	s_load_dwordx2 s[58:59], s[4:5], 0x80
	s_mov_b32 s34, s7
	s_mov_b64 s[60:61], 0
	s_waitcnt lgkmcnt(0)
	s_ashr_i32 s0, s55, 31
	s_lshr_b32 s0, s0, 30
	s_add_i32 s0, s55, s0
	s_ashr_i32 s0, s0, 2
	v_cvt_f32_u32_e32 v2, s0
	s_sub_i32 s2, 0, s0
	v_rcp_iflag_f32_e32 v2, v2
	v_mul_f32_e32 v2, 0x4f7ffffe, v2
	v_cvt_u32_f32_e32 v2, v2
	v_readfirstlane_b32 s1, v2
	s_mul_i32 s2, s2, s1
	s_mul_hi_u32 s2, s1, s2
	s_add_i32 s1, s1, s2
	s_mul_hi_u32 s1, s8, s1
	s_mul_i32 s2, s1, s0
	s_add_i32 s3, s1, 1
	s_sub_i32 s2, s8, s2
	s_sub_i32 s7, s2, s0
	s_cmp_ge_u32 s2, s0
	s_cselect_b32 s1, s3, s1
	s_cselect_b32 s2, s7, s2
	s_add_i32 s3, s1, 1
	s_cmp_ge_u32 s2, s0
	s_cselect_b32 s35, s3, s1
	s_abs_i32 s0, s59
	s_lshl_b32 s3, s8, 2
	v_cvt_f32_u32_e32 v2, s0
	s_sub_i32 s2, 0, s0
	s_abs_i32 s8, s55
	s_mul_i32 s7, s35, s55
	v_rcp_iflag_f32_e32 v2, v2
	s_sub_i32 s56, s3, s7
	v_mul_f32_e32 v2, 0x4f7ffffe, v2
	v_cvt_u32_f32_e32 v2, v2
	v_readfirstlane_b32 s1, v2
	s_mul_i32 s2, s2, s1
	s_mul_hi_u32 s2, s1, s2
	s_add_i32 s1, s1, s2
	s_xor_b32 s2, s55, s59
	s_mul_hi_u32 s1, s8, s1
	s_ashr_i32 s2, s2, 31
	s_mul_i32 s3, s1, s0
	s_add_i32 s7, s1, 1
	s_sub_i32 s3, s8, s3
	s_sub_i32 s8, s3, s0
	s_cmp_ge_u32 s3, s0
	s_cselect_b32 s1, s7, s1
	s_cselect_b32 s3, s8, s3
	s_add_i32 s7, s1, 1
	s_cmp_ge_u32 s3, s0
	s_clause 0x1
	s_load_dwordx16 s[36:51], s[4:5], 0x0
	s_load_dwordx2 s[8:9], s[4:5], 0xb8
	s_cselect_b32 s0, s7, s1
	s_xor_b32 s0, s0, s2
	s_sub_i32 s10, s0, s2
	s_abs_i32 s7, s10
	v_cvt_f32_u32_e32 v2, s7
	v_rcp_iflag_f32_e32 v2, v2
	s_waitcnt lgkmcnt(0)
	s_cmp_eq_u64 s[42:43], 0
	v_mul_f32_e32 v2, 0x4f7ffffe, v2
	v_cvt_u32_f32_e32 v2, v2
	v_readfirstlane_b32 s11, v2
	s_cbranch_scc1 .LBB17_2
; %bb.1:
	s_abs_i32 s2, s8
	s_abs_i32 s3, s35
	v_cvt_f32_u32_e32 v2, s2
	s_sub_i32 s1, 0, s2
	v_rcp_iflag_f32_e32 v2, v2
	v_mul_f32_e32 v2, 0x4f7ffffe, v2
	v_cvt_u32_f32_e32 v2, v2
	v_readfirstlane_b32 s0, v2
	s_mul_i32 s1, s1, s0
	s_mul_hi_u32 s1, s0, s1
	s_add_i32 s0, s0, s1
	s_mul_hi_u32 s8, s3, s0
	s_load_dwordx2 s[0:1], s[4:5], 0xc8
	s_mul_i32 s8, s8, s2
	s_sub_i32 s3, s3, s8
	s_ashr_i32 s8, s35, 31
	s_sub_i32 s12, s3, s2
	s_cmp_ge_u32 s3, s2
	s_cselect_b32 s3, s12, s3
	s_sub_i32 s12, s3, s2
	s_cmp_ge_u32 s3, s2
	s_cselect_b32 s2, s12, s3
	s_xor_b32 s2, s2, s8
	s_sub_i32 s2, s2, s8
	s_ashr_i32 s3, s2, 31
	s_waitcnt lgkmcnt(0)
	s_mul_hi_u32 s8, s0, s2
	s_mul_i32 s3, s0, s3
	s_mul_i32 s1, s1, s2
	s_add_i32 s3, s8, s3
	s_mul_i32 s0, s0, s2
	s_add_i32 s3, s3, s1
	s_add_u32 s60, s42, s0
	s_addc_u32 s61, s43, s3
.LBB17_2:
	v_lshlrev_b32_e32 v42, 1, v1
	s_lshl_b32 s42, s6, 4
	s_load_dwordx4 s[0:3], s[4:5], 0x70
	v_lshlrev_b32_e32 v8, 3, v1
	v_lshlrev_b32_e32 v3, 4, v0
	v_add_nc_u32_e32 v43, s42, v42
	v_or_b32_e32 v41, 4, v8
	v_or_b32_e32 v49, 5, v8
	v_mul_hi_u32 v2, v43, s52
	v_or_b32_e32 v50, 6, v8
	v_or_b32_e32 v51, 7, v8
	v_lshrrev_b32_e32 v38, 2, v41
	v_lshrrev_b32_e32 v36, 2, v49
	;; [unrolled: 1-line block ×4, first 2 shown]
	v_add_nc_u32_e32 v2, v43, v2
	v_add_nc_u32_e32 v40, s42, v38
	;; [unrolled: 1-line block ×4, first 2 shown]
	s_waitcnt lgkmcnt(0)
	s_mul_i32 s2, s35, s2
	v_lshrrev_b32_e32 v2, s53, v2
	s_mul_i32 s3, s56, s1
	s_ashr_i32 s8, s2, 31
	s_add_u32 s2, s36, s2
	s_addc_u32 s8, s37, s8
	v_mul_lo_u32 v2, v2, s54
	s_ashr_i32 s13, s3, 31
	s_add_u32 s14, s2, s3
	s_mov_b32 s12, s0
	s_addc_u32 s8, s8, s13
	s_ashr_i32 s13, s0, 31
	v_mul_hi_u32 v7, v40, s52
	s_lshr_b64 s[2:3], s[12:13], 2
	v_sub_nc_u32_e32 v2, v43, v2
	s_lshr_b32 s3, s13, 2
	v_mul_hi_u32 v9, v39, s52
	s_mov_b32 s12, s1
	s_ashr_i32 s13, s1, 31
	v_mad_u64_u32 v[4:5], null, s2, v2, 0
	s_and_b32 s15, s1, -4
	s_lshr_b64 s[0:1], s[12:13], 2
	s_add_u32 s15, s14, s15
	v_add_nc_u32_e32 v11, v39, v9
	s_mul_i32 s16, s13, 12
	s_addc_u32 s17, s8, s13
	v_mad_u64_u32 v[5:6], null, s3, v2, v[5:6]
	v_add_nc_u32_e32 v6, v40, v7
	v_lshrrev_b32_e32 v8, s53, v11
	s_lshl_b64 s[12:13], s[0:1], 3
	v_mul_hi_u32 v11, v37, s52
	s_add_u32 s12, s14, s12
	v_lshrrev_b32_e32 v6, s53, v6
	v_lshlrev_b64 v[4:5], 2, v[4:5]
	v_mul_lo_u32 v8, v8, s54
	v_add_nc_u32_e32 v35, s42, v33
	s_addc_u32 s13, s8, s13
	v_mul_lo_u32 v12, v6, s54
	s_mul_hi_u32 s1, s0, 12
	v_add_co_u32 v6, vcc_lo, s14, v4
	v_add_co_ci_u32_e64 v7, null, s8, v5, vcc_lo
	v_add_co_u32 v9, vcc_lo, s15, v4
	v_sub_nc_u32_e32 v12, v40, v12
	v_add_co_ci_u32_e64 v10, null, s17, v5, vcc_lo
	v_add_co_u32 v13, vcc_lo, s12, v4
	v_mad_u64_u32 v[21:22], null, s2, v12, 0
	v_add_co_ci_u32_e64 v14, null, s13, v5, vcc_lo
	v_add_co_u32 v6, vcc_lo, v6, v3
	v_sub_nc_u32_e32 v8, v39, v8
	v_add_co_ci_u32_e64 v7, null, 0, v7, vcc_lo
	v_add_co_u32 v9, vcc_lo, v9, v3
	s_mul_i32 s0, s0, 12
	v_add_nc_u32_e32 v11, v37, v11
	v_mul_hi_u32 v15, v35, s52
	s_add_i32 s1, s1, s16
	v_add_co_ci_u32_e64 v10, null, 0, v10, vcc_lo
	v_add_co_u32 v13, vcc_lo, v13, v3
	s_add_u32 s0, s14, s0
	v_add_co_ci_u32_e64 v14, null, 0, v14, vcc_lo
	v_add_co_u32 v16, vcc_lo, s0, v4
	v_mov_b32_e32 v4, v22
	v_mad_u64_u32 v[23:24], null, s2, v8, 0
	v_lshrrev_b32_e32 v11, s53, v11
	s_addc_u32 s1, s8, s1
	v_add_nc_u32_e32 v15, v35, v15
	v_add_co_ci_u32_e64 v18, null, s1, v5, vcc_lo
	v_mad_u64_u32 v[4:5], null, s3, v12, v[4:5]
	v_mul_lo_u32 v11, v11, s54
	v_mov_b32_e32 v5, v24
	v_lshrrev_b32_e32 v12, s53, v15
	v_add_co_u32 v17, vcc_lo, v16, v3
	v_add_co_ci_u32_e64 v18, null, 0, v18, vcc_lo
	v_mov_b32_e32 v22, v4
	v_mad_u64_u32 v[4:5], null, s3, v8, v[5:6]
	v_sub_nc_u32_e32 v27, v37, v11
	v_mul_lo_u32 v24, v12, s54
	s_clause 0x3
	global_load_dwordx4 v[5:8], v[6:7], off
	global_load_dwordx4 v[9:12], v[9:10], off
	;; [unrolled: 1-line block ×4, first 2 shown]
	v_lshlrev_b64 v[21:22], 2, v[21:22]
	s_cmp_eq_u64 s[46:47], 0
	v_mad_u64_u32 v[25:26], null, s2, v27, 0
	v_sub_nc_u32_e32 v31, v35, v24
	v_mov_b32_e32 v24, v4
	v_mov_b32_e32 v4, v26
	v_mad_u64_u32 v[29:30], null, s2, v31, 0
	v_add_co_u32 v26, vcc_lo, s14, v21
	v_add_co_ci_u32_e64 v28, null, s8, v22, vcc_lo
	v_lshlrev_b64 v[21:22], 2, v[23:24]
	s_waitcnt vmcnt(3)
	v_mad_u64_u32 v[23:24], null, s3, v27, v[4:5]
	v_mov_b32_e32 v4, v30
	v_add_co_u32 v27, vcc_lo, v26, v3
	v_add_co_ci_u32_e64 v28, null, 0, v28, vcc_lo
	v_mad_u64_u32 v[30:31], null, s3, v31, v[4:5]
	v_mov_b32_e32 v26, v23
	v_add_co_u32 v4, vcc_lo, s15, v21
	v_add_co_ci_u32_e64 v21, null, s17, v22, vcc_lo
	v_lshlrev_b64 v[44:45], 2, v[25:26]
	v_add_co_u32 v31, vcc_lo, v4, v3
	v_lshlrev_b64 v[29:30], 2, v[29:30]
	v_add_co_ci_u32_e64 v32, null, 0, v21, vcc_lo
	v_add_co_u32 v4, vcc_lo, s12, v44
	s_clause 0x1
	global_load_dwordx4 v[21:24], v[27:28], off
	global_load_dwordx4 v[25:28], v[31:32], off
	v_add_co_ci_u32_e64 v31, null, s13, v45, vcc_lo
	v_add_co_u32 v32, vcc_lo, s0, v29
	v_add_co_ci_u32_e64 v45, null, s1, v30, vcc_lo
	v_add_co_u32 v29, vcc_lo, v4, v3
	;; [unrolled: 2-line block ×3, first 2 shown]
	v_add_co_ci_u32_e64 v45, null, 0, v45, vcc_lo
	s_clause 0x1
	global_load_dwordx4 v[29:32], v[29:30], off
	global_load_dwordx4 v[45:48], v[44:45], off
	s_load_dword s0, s[4:5], 0x40
	v_lshlrev_b32_e32 v4, 3, v0
	v_lshlrev_b32_e32 v44, 11, v1
	v_lshl_add_u32 v41, v41, 8, v4
	v_or_b32_e32 v52, v4, v44
	v_lshl_add_u32 v49, v49, 8, v4
	v_lshl_add_u32 v50, v50, 8, v4
	;; [unrolled: 1-line block ×3, first 2 shown]
	s_waitcnt lgkmcnt(0)
	v_fma_mixlo_f16 v5, s0, v5, 0
	v_fma_mixlo_f16 v6, s0, v6, 0
	;; [unrolled: 1-line block ×4, first 2 shown]
	s_waitcnt vmcnt(6)
	v_fma_mixlo_f16 v9, s0, v9, 0
	v_fma_mixlo_f16 v10, s0, v10, 0
	s_waitcnt vmcnt(5)
	v_fma_mixlo_f16 v13, s0, v13, 0
	v_fma_mixlo_f16 v14, s0, v14, 0
	;; [unrolled: 1-line block ×4, first 2 shown]
	s_waitcnt vmcnt(4)
	v_fma_mixlo_f16 v17, s0, v17, 0
	v_fma_mixlo_f16 v18, s0, v18, 0
	;; [unrolled: 1-line block ×4, first 2 shown]
	v_lshlrev_b32_e32 v6, 16, v6
	v_and_b32_e32 v5, 0xffff, v5
	v_lshlrev_b32_e32 v8, 16, v8
	v_and_b32_e32 v7, 0xffff, v7
	;; [unrolled: 2-line block ×4, first 2 shown]
	v_fma_mixlo_f16 v19, s0, v19, 0
	v_fma_mixlo_f16 v20, s0, v20, 0
	v_lshlrev_b32_e32 v12, 16, v12
	v_and_b32_e32 v11, 0xffff, v11
	v_lshlrev_b32_e32 v18, 16, v18
	v_and_b32_e32 v17, 0xffff, v17
	;; [unrolled: 2-line block ×3, first 2 shown]
	v_or_b32_e32 v5, v6, v5
	v_or3_b32 v6, v8, v7, 0
	v_or_b32_e32 v7, v10, v9
	v_or_b32_e32 v9, v14, v13
	v_lshlrev_b32_e32 v20, 16, v20
	v_and_b32_e32 v19, 0xffff, v19
	v_or3_b32 v8, v12, v11, 0
	v_or_b32_e32 v11, v18, v17
	v_or3_b32 v10, v16, v15, 0
	v_or3_b32 v5, 0, 0, v5
	;; [unrolled: 1-line block ×6, first 2 shown]
	ds_write2_b64 v52, v[5:6], v[7:8] offset1:32
	s_waitcnt vmcnt(3)
	v_fma_mixlo_f16 v13, s0, v21, 0
	v_fma_mixlo_f16 v14, s0, v22, 0
	s_waitcnt vmcnt(2)
	v_fma_mixlo_f16 v17, s0, v25, 0
	v_fma_mixlo_f16 v18, s0, v26, 0
	;; [unrolled: 1-line block ×4, first 2 shown]
	v_lshlrev_b32_e32 v14, 16, v14
	v_and_b32_e32 v13, 0xffff, v13
	v_fma_mixlo_f16 v19, s0, v27, 0
	v_fma_mixlo_f16 v20, s0, v28, 0
	v_lshlrev_b32_e32 v18, 16, v18
	v_and_b32_e32 v17, 0xffff, v17
	v_lshlrev_b32_e32 v16, 16, v16
	v_and_b32_e32 v15, 0xffff, v15
	v_or_b32_e32 v5, v14, v13
	v_lshlrev_b32_e32 v20, 16, v20
	v_and_b32_e32 v19, 0xffff, v19
	s_waitcnt vmcnt(1)
	v_fma_mixlo_f16 v21, s0, v29, 0
	v_fma_mixlo_f16 v22, s0, v30, 0
	s_waitcnt vmcnt(0)
	v_fma_mixlo_f16 v25, s0, v45, 0
	v_fma_mixlo_f16 v26, s0, v46, 0
	;; [unrolled: 1-line block ×4, first 2 shown]
	v_lshlrev_b32_e32 v22, 16, v22
	v_and_b32_e32 v21, 0xffff, v21
	v_fma_mixlo_f16 v27, s0, v47, 0
	v_fma_mixlo_f16 v28, s0, v48, 0
	v_lshlrev_b32_e32 v26, 16, v26
	v_and_b32_e32 v25, 0xffff, v25
	v_or_b32_e32 v7, v18, v17
	v_lshlrev_b32_e32 v24, 16, v24
	v_and_b32_e32 v23, 0xffff, v23
	v_or_b32_e32 v13, v22, v21
	v_lshlrev_b32_e32 v28, 16, v28
	v_and_b32_e32 v27, 0xffff, v27
	v_or3_b32 v6, v16, v15, 0
	v_or_b32_e32 v15, v26, v25
	v_or3_b32 v5, 0, 0, v5
	v_or3_b32 v8, v20, v19, 0
	;; [unrolled: 1-line block ×7, first 2 shown]
	ds_write2_b64 v52, v[9:10], v[11:12] offset0:64 offset1:96
	ds_write_b64 v41, v[5:6]
	ds_write_b64 v49, v[7:8]
	;; [unrolled: 1-line block ×4, first 2 shown]
	s_waitcnt lgkmcnt(0)
	s_barrier
	buffer_gl0_inv
	s_cbranch_scc1 .LBB17_4
; %bb.3:
	s_load_dword s0, s[4:5], 0xd0
	s_mov_b32 s1, 0
	s_waitcnt lgkmcnt(0)
	s_mul_i32 s0, s0, s35
	s_add_i32 s0, s0, s6
	s_lshl_b64 s[0:1], s[0:1], 2
	s_add_u32 s0, s46, s0
	s_addc_u32 s1, s47, s1
	s_load_dword s58, s[0:1], 0x0
.LBB17_4:
	v_mbcnt_lo_u32_b32 v48, -1, 0
	s_lshl_b32 s43, s34, 6
	s_waitcnt lgkmcnt(0)
	s_cmp_lt_i32 s43, s58
	s_cbranch_scc1 .LBB17_7
; %bb.5:
	v_mbcnt_lo_u32_b32 v10, -1, 0
	v_mov_b32_e32 v9, 32
	v_xor_b32_e32 v52, 16, v10
	v_xor_b32_e32 v49, 8, v10
	;; [unrolled: 1-line block ×5, first 2 shown]
	v_lshlrev_b32_e32 v41, 2, v0
	s_cbranch_execz .LBB17_8
; %bb.6:
	v_mov_b32_e32 v89, 0
	v_mov_b32_e32 v50, 0
	;; [unrolled: 1-line block ×32, first 2 shown]
	s_branch .LBB17_11
.LBB17_7:
                                        ; implicit-def: $vgpr10
                                        ; implicit-def: $vgpr9
                                        ; implicit-def: $vgpr52
                                        ; implicit-def: $vgpr49
                                        ; implicit-def: $vgpr47
                                        ; implicit-def: $vgpr46
                                        ; implicit-def: $vgpr45
	v_lshlrev_b32_e32 v41, 2, v0
.LBB17_8:
	s_clause 0x1
	s_load_dwordx4 s[0:3], s[4:5], 0x98
	s_load_dwordx2 s[12:13], s[4:5], 0x8c
	v_add3_u32 v8, s42, v42, 1
	s_sub_i32 s6, 0, s7
	s_abs_i32 s8, s56
	s_mul_i32 s6, s6, s11
	v_lshrrev_b32_e32 v5, 3, v0
	v_mul_hi_u32 v6, s52, v8
	s_mul_hi_u32 s6, s11, s6
	v_and_b32_e32 v13, 28, v41
	s_add_i32 s11, s11, s6
	s_ashr_i32 s6, s9, 1
	s_mul_hi_u32 s9, s8, s11
	s_ashr_i32 s11, s35, 31
	s_ashr_i32 s16, s56, 31
	v_add_nc_u32_e32 v6, v8, v6
	s_ashr_i32 s10, s10, 31
	s_load_dwordx2 s[14:15], s[4:5], 0xa8
	s_mul_i32 s17, s9, s7
	v_lshrrev_b32_e32 v10, 4, v0
	s_waitcnt lgkmcnt(0)
	s_ashr_i32 s46, s2, 2
	s_ashr_i32 s47, s12, 2
	s_mul_hi_u32 s2, s0, s35
	s_mul_i32 s12, s0, s11
	s_mul_i32 s1, s1, s35
	s_add_i32 s2, s2, s12
	s_mul_i32 s0, s0, s35
	s_add_i32 s2, s2, s1
	v_lshrrev_b32_e32 v6, s53, v6
	s_add_u32 s0, s38, s0
	s_addc_u32 s1, s39, s2
	s_sub_i32 s8, s8, s17
	v_lshl_add_u32 v7, v1, 2, v5
	v_lshlrev_b32_e32 v9, 2, v13
	s_xor_b32 s2, s16, s10
	s_add_i32 s10, s9, 1
	s_sub_i32 s12, s8, s7
	s_cmp_ge_u32 s8, s7
	v_mul_lo_u32 v12, v6, s54
	v_add_nc_u32_e32 v10, v10, v42
	s_cselect_b32 s9, s10, s9
	s_cselect_b32 s8, s12, s8
	v_mad_u32_u24 v11, 0x90, v7, v9
	v_and_b32_e32 v14, 60, v41
	s_add_i32 s10, s9, 1
	s_cmp_ge_u32 s8, s7
	v_mul_lo_u32 v5, s47, v7
	v_mul_lo_u32 v9, s46, v10
	s_cselect_b32 s7, s10, s9
	v_add_nc_u32_e32 v59, 0x4000, v11
	v_lshlrev_b32_e32 v15, 2, v14
	v_add_nc_u32_e32 v60, 0x5200, v11
	v_sub_nc_u32_e32 v11, v8, v12
	s_xor_b32 s7, s7, s2
	v_lshl_add_u32 v7, s47, 5, v5
	s_sub_i32 s2, s7, s2
	v_lshl_or_b32 v12, v10, 8, v15
	s_mul_i32 s9, s2, s13
	v_mul_lo_u32 v63, v11, s6
	v_lshl_add_u32 v11, s46, 4, v9
	s_mul_hi_u32 s8, s14, s35
	s_mul_i32 s7, s14, s11
	s_ashr_i32 s11, s9, 31
	s_add_u32 s38, s0, s9
	s_mul_i32 s10, s15, s35
	s_addc_u32 s39, s1, s11
	s_add_i32 s0, s8, s7
	s_mul_i32 s1, s14, s35
	v_ashrrev_i32_e32 v6, 31, v5
	v_ashrrev_i32_e32 v8, 31, v7
	v_add_nc_u32_e32 v65, 0x4000, v12
	v_ashrrev_i32_e32 v10, 31, v9
	v_add_nc_u32_e32 v66, 0x5000, v12
	v_ashrrev_i32_e32 v12, 31, v11
	s_add_i32 s0, s0, s10
	s_mul_i32 s2, s2, s3
	v_lshl_add_u32 v64, v1, 10, 0x6400
	v_or_b32_e32 v67, 0x4000, v4
	s_add_u32 s1, s40, s1
	s_addc_u32 s0, s41, s0
	s_ashr_i32 s3, s2, 31
	v_mul_lo_u32 v62, v2, s6
	s_add_u32 s40, s1, s2
	s_movk_i32 s1, 0x4000
	v_lshlrev_b64 v[25:26], 2, v[5:6]
	v_lshlrev_b64 v[27:28], 2, v[7:8]
	;; [unrolled: 1-line block ×4, first 2 shown]
	v_mov_b32_e32 v75, 0
	v_mad_u32_u24 v61, 0x90, v0, s1
	v_mov_b32_e32 v1, 0xfeffffff
	v_lshlrev_b32_e32 v68, 2, v13
	v_xor_b32_e32 v52, 16, v48
	v_xor_b32_e32 v49, 8, v48
	;; [unrolled: 1-line block ×5, first 2 shown]
	v_add_nc_u32_e32 v69, v64, v3
	v_lshlrev_b32_e32 v70, 2, v14
	v_mov_b32_e32 v71, 0x10001
	v_add_nc_u32_e32 v72, 0x800, v67
	v_add_nc_u32_e32 v73, 0x1000, v67
	;; [unrolled: 1-line block ×3, first 2 shown]
	v_mov_b32_e32 v76, 0
	v_mov_b32_e32 v78, 0
	;; [unrolled: 1-line block ×30, first 2 shown]
	s_addc_u32 s41, s0, s3
	s_add_u32 s36, s4, 0xd0
	s_addc_u32 s37, s5, 0
.LBB17_9:                               ; =>This Inner Loop Header: Depth=1
	s_mul_hi_i32 s7, s43, s47
	s_mul_i32 s6, s43, s47
	v_cmp_gt_i32_e64 s3, 32, v52
	v_cmp_gt_i32_e64 s2, 32, v49
	;; [unrolled: 1-line block ×4, first 2 shown]
	v_cmp_gt_i32_e32 vcc_lo, 32, v45
	v_mov_b32_e32 v98, v1
	v_add_nc_u32_e32 v1, s43, v0
	s_lshl_b64 s[6:7], s[6:7], 2
	s_mul_hi_i32 s9, s43, s46
	s_mul_i32 s8, s43, s46
	s_add_u32 s6, s38, s6
	v_mov_b32_e32 v94, v5
	v_mov_b32_e32 v96, v3
	;; [unrolled: 1-line block ×3, first 2 shown]
	v_cndmask_b32_e64 v2, v48, v52, s3
	v_cndmask_b32_e64 v3, v48, v49, s2
	;; [unrolled: 1-line block ×3, first 2 shown]
	s_addc_u32 s1, s39, s7
	s_lshl_b64 s[2:3], s[8:9], 2
	v_mov_b32_e32 v91, v8
	v_mov_b32_e32 v92, v7
	v_cndmask_b32_e64 v7, v48, v46, s0
	v_cndmask_b32_e32 v8, v48, v45, vcc_lo
	v_add_co_u32 v10, s0, s6, v25
	v_mov_b32_e32 v93, v6
	v_mov_b32_e32 v95, v4
	v_add_nc_u32_e32 v4, v1, v62
	v_add_nc_u32_e32 v6, v1, v63
	v_add_co_u32 v1, vcc_lo, s6, v27
	s_add_u32 s2, s40, s2
	v_add_co_ci_u32_e64 v12, null, s1, v26, s0
	v_add_co_ci_u32_e64 v13, null, s1, v28, vcc_lo
	s_addc_u32 s1, s41, s3
	v_add_co_u32 v15, s0, s2, v31
	v_add_co_u32 v14, vcc_lo, s2, v29
	v_lshlrev_b32_e32 v107, 2, v8
	v_add_co_ci_u32_e64 v8, null, s1, v32, s0
	v_add_co_u32 v11, s0, v10, v68
	v_lshlrev_b32_e32 v111, 2, v2
	v_add_co_ci_u32_e64 v2, null, s1, v30, vcc_lo
	v_add_co_u32 v9, vcc_lo, v1, v68
	v_add_co_ci_u32_e64 v12, null, 0, v12, s0
	v_add_co_ci_u32_e64 v10, null, 0, v13, vcc_lo
	v_lshlrev_b32_e32 v110, 2, v3
	v_add_co_u32 v3, vcc_lo, v14, v70
	v_add_co_u32 v1, s0, v15, v70
	s_clause 0x1
	global_load_dwordx4 v[13:16], v[11:12], off
	global_load_dwordx4 v[112:115], v[9:10], off
	v_lshlrev_b32_e32 v109, 2, v5
	v_ashrrev_i32_e32 v5, 31, v4
	v_lshlrev_b32_e32 v108, 2, v7
	v_ashrrev_i32_e32 v7, 31, v6
	v_mov_b32_e32 v17, 0
	v_mov_b32_e32 v18, 0
	v_lshlrev_b64 v[116:117], 1, v[4:5]
	v_add_co_ci_u32_e64 v4, null, 0, v2, vcc_lo
	v_lshlrev_b64 v[5:6], 1, v[6:7]
	v_add_co_ci_u32_e64 v2, null, 0, v8, s0
	v_add_co_u32 v7, vcc_lo, s60, v116
	v_add_co_ci_u32_e64 v8, null, s61, v117, vcc_lo
	v_mov_b32_e32 v19, 0
	v_mov_b32_e32 v20, 0
	;; [unrolled: 1-line block ×14, first 2 shown]
	v_add_co_u32 v5, s0, s60, v5
	v_add_co_ci_u32_e64 v6, null, s61, v6, s0
	v_mov_b32_e32 v227, v58
	s_waitcnt vmcnt(1)
	ds_write_b128 v59, v[13:16]
	s_waitcnt vmcnt(0)
	ds_write_b128 v60, v[112:115]
	s_waitcnt lgkmcnt(0)
	s_barrier
	buffer_gl0_inv
	ds_read_b128 v[13:16], v61
	ds_read_b128 v[112:115], v44
	ds_read_b128 v[116:119], v44 offset:256
	ds_read_b128 v[120:123], v44 offset:512
	;; [unrolled: 1-line block ×8, first 2 shown]
	s_waitcnt lgkmcnt(8)
	;;#ASMSTART
	v_dot2_f32_f16 v17, v13, v112, v17
	;;#ASMEND
	;;#ASMSTART
	v_dot2_f32_f16 v17, v14, v113, v17
	;;#ASMEND
	;;#ASMSTART
	v_dot2_f32_f16 v17, v15, v114, v17
	;;#ASMEND
	;;#ASMSTART
	v_dot2_f32_f16 v17, v16, v115, v17
	;;#ASMEND
	s_waitcnt lgkmcnt(7)
	;;#ASMSTART
	v_dot2_f32_f16 v18, v13, v116, v18
	;;#ASMEND
	;;#ASMSTART
	v_dot2_f32_f16 v18, v14, v117, v18
	;;#ASMEND
	;;#ASMSTART
	v_dot2_f32_f16 v18, v15, v118, v18
	;;#ASMEND
	;;#ASMSTART
	v_dot2_f32_f16 v18, v16, v119, v18
	;;#ASMEND
	;; [unrolled: 13-line block ×8, first 2 shown]
	;;#ASMSTART
	v_dot2_f32_f16 v99, v128, v112, v99
	;;#ASMEND
	;;#ASMSTART
	v_dot2_f32_f16 v99, v129, v113, v99
	;;#ASMEND
	;; [unrolled: 3-line block ×32, first 2 shown]
	ds_read_b128 v[13:16], v61 offset:16
	ds_read_b128 v[112:115], v44 offset:16
	;; [unrolled: 1-line block ×10, first 2 shown]
	s_waitcnt lgkmcnt(8)
	;;#ASMSTART
	v_dot2_f32_f16 v17, v13, v112, v17
	;;#ASMEND
	;;#ASMSTART
	v_dot2_f32_f16 v17, v14, v113, v17
	;;#ASMEND
	;;#ASMSTART
	v_dot2_f32_f16 v17, v15, v114, v17
	;;#ASMEND
	;;#ASMSTART
	v_dot2_f32_f16 v17, v16, v115, v17
	;;#ASMEND
	s_waitcnt lgkmcnt(7)
	;;#ASMSTART
	v_dot2_f32_f16 v18, v13, v116, v18
	;;#ASMEND
	;;#ASMSTART
	v_dot2_f32_f16 v18, v14, v117, v18
	;;#ASMEND
	;;#ASMSTART
	v_dot2_f32_f16 v18, v15, v118, v18
	;;#ASMEND
	;;#ASMSTART
	v_dot2_f32_f16 v18, v16, v119, v18
	;;#ASMEND
	;; [unrolled: 13-line block ×8, first 2 shown]
	;;#ASMSTART
	v_dot2_f32_f16 v99, v128, v112, v99
	;;#ASMEND
	;;#ASMSTART
	v_dot2_f32_f16 v99, v129, v113, v99
	;;#ASMEND
	;; [unrolled: 3-line block ×32, first 2 shown]
	ds_read_b128 v[13:16], v61 offset:32
	ds_read_b128 v[112:115], v44 offset:32
	;; [unrolled: 1-line block ×10, first 2 shown]
	s_waitcnt lgkmcnt(8)
	;;#ASMSTART
	v_dot2_f32_f16 v17, v13, v112, v17
	;;#ASMEND
	;;#ASMSTART
	v_dot2_f32_f16 v17, v14, v113, v17
	;;#ASMEND
	;;#ASMSTART
	v_dot2_f32_f16 v17, v15, v114, v17
	;;#ASMEND
	;;#ASMSTART
	v_dot2_f32_f16 v17, v16, v115, v17
	;;#ASMEND
	s_waitcnt lgkmcnt(7)
	;;#ASMSTART
	v_dot2_f32_f16 v18, v13, v116, v18
	;;#ASMEND
	;;#ASMSTART
	v_dot2_f32_f16 v18, v14, v117, v18
	;;#ASMEND
	;;#ASMSTART
	v_dot2_f32_f16 v18, v15, v118, v18
	;;#ASMEND
	;;#ASMSTART
	v_dot2_f32_f16 v18, v16, v119, v18
	;;#ASMEND
	;; [unrolled: 13-line block ×8, first 2 shown]
	;;#ASMSTART
	v_dot2_f32_f16 v99, v128, v112, v99
	;;#ASMEND
	;;#ASMSTART
	v_dot2_f32_f16 v99, v129, v113, v99
	;;#ASMEND
	;;#ASMSTART
	v_dot2_f32_f16 v99, v130, v114, v99
	;;#ASMEND
	;;#ASMSTART
	v_dot2_f32_f16 v99, v131, v115, v99
	;;#ASMEND
	;;#ASMSTART
	v_dot2_f32_f16 v100, v128, v116, v100
	;;#ASMEND
	;;#ASMSTART
	v_dot2_f32_f16 v100, v129, v117, v100
	;;#ASMEND
	;;#ASMSTART
	v_dot2_f32_f16 v100, v130, v118, v100
	;;#ASMEND
	;;#ASMSTART
	v_dot2_f32_f16 v100, v131, v119, v100
	;;#ASMEND
	;;#ASMSTART
	v_dot2_f32_f16 v101, v128, v120, v101
	;;#ASMEND
	;;#ASMSTART
	v_dot2_f32_f16 v101, v129, v121, v101
	;;#ASMEND
	;;#ASMSTART
	v_dot2_f32_f16 v101, v130, v122, v101
	;;#ASMEND
	;;#ASMSTART
	v_dot2_f32_f16 v101, v131, v123, v101
	;;#ASMEND
	;;#ASMSTART
	v_dot2_f32_f16 v102, v128, v124, v102
	;;#ASMEND
	;;#ASMSTART
	v_dot2_f32_f16 v102, v129, v125, v102
	;;#ASMEND
	;;#ASMSTART
	v_dot2_f32_f16 v102, v130, v126, v102
	;;#ASMEND
	;;#ASMSTART
	v_dot2_f32_f16 v102, v131, v127, v102
	;;#ASMEND
	;;#ASMSTART
	v_dot2_f32_f16 v103, v128, v132, v103
	;;#ASMEND
	;;#ASMSTART
	v_dot2_f32_f16 v103, v129, v133, v103
	;;#ASMEND
	;;#ASMSTART
	v_dot2_f32_f16 v103, v130, v134, v103
	;;#ASMEND
	;;#ASMSTART
	v_dot2_f32_f16 v103, v131, v135, v103
	;;#ASMEND
	;;#ASMSTART
	v_dot2_f32_f16 v104, v128, v136, v104
	;;#ASMEND
	;;#ASMSTART
	v_dot2_f32_f16 v104, v129, v137, v104
	;;#ASMEND
	;;#ASMSTART
	v_dot2_f32_f16 v104, v130, v138, v104
	;;#ASMEND
	;;#ASMSTART
	v_dot2_f32_f16 v104, v131, v139, v104
	;;#ASMEND
	;;#ASMSTART
	v_dot2_f32_f16 v105, v128, v140, v105
	;;#ASMEND
	;;#ASMSTART
	v_dot2_f32_f16 v105, v129, v141, v105
	;;#ASMEND
	;;#ASMSTART
	v_dot2_f32_f16 v105, v130, v142, v105
	;;#ASMEND
	;;#ASMSTART
	v_dot2_f32_f16 v105, v131, v143, v105
	;;#ASMEND
	;;#ASMSTART
	v_dot2_f32_f16 v106, v128, v144, v106
	;;#ASMEND
	;;#ASMSTART
	v_dot2_f32_f16 v106, v129, v145, v106
	;;#ASMEND
	;;#ASMSTART
	v_dot2_f32_f16 v106, v130, v146, v106
	;;#ASMEND
	;;#ASMSTART
	v_dot2_f32_f16 v106, v131, v147, v106
	;;#ASMEND
	ds_read_b128 v[13:16], v61 offset:48
	ds_read_b128 v[112:115], v44 offset:48
	;; [unrolled: 1-line block ×10, first 2 shown]
	s_waitcnt lgkmcnt(8)
	;;#ASMSTART
	v_dot2_f32_f16 v17, v13, v112, v17
	;;#ASMEND
	;;#ASMSTART
	v_dot2_f32_f16 v17, v14, v113, v17
	;;#ASMEND
	;;#ASMSTART
	v_dot2_f32_f16 v17, v15, v114, v17
	;;#ASMEND
	;;#ASMSTART
	v_dot2_f32_f16 v17, v16, v115, v17
	;;#ASMEND
	s_waitcnt lgkmcnt(7)
	;;#ASMSTART
	v_dot2_f32_f16 v18, v13, v116, v18
	;;#ASMEND
	;;#ASMSTART
	v_dot2_f32_f16 v18, v14, v117, v18
	;;#ASMEND
	;;#ASMSTART
	v_dot2_f32_f16 v18, v15, v118, v18
	;;#ASMEND
	;;#ASMSTART
	v_dot2_f32_f16 v18, v16, v119, v18
	;;#ASMEND
	;; [unrolled: 13-line block ×8, first 2 shown]
	;;#ASMSTART
	v_dot2_f32_f16 v99, v128, v112, v99
	;;#ASMEND
	;;#ASMSTART
	v_dot2_f32_f16 v99, v129, v113, v99
	;;#ASMEND
	;; [unrolled: 3-line block ×32, first 2 shown]
	ds_read_b128 v[13:16], v61 offset:64
	ds_read_b128 v[112:115], v44 offset:64
	;; [unrolled: 1-line block ×10, first 2 shown]
	s_waitcnt lgkmcnt(8)
	;;#ASMSTART
	v_dot2_f32_f16 v17, v13, v112, v17
	;;#ASMEND
	;;#ASMSTART
	v_dot2_f32_f16 v17, v14, v113, v17
	;;#ASMEND
	;;#ASMSTART
	v_dot2_f32_f16 v17, v15, v114, v17
	;;#ASMEND
	;;#ASMSTART
	v_dot2_f32_f16 v17, v16, v115, v17
	;;#ASMEND
	s_waitcnt lgkmcnt(7)
	;;#ASMSTART
	v_dot2_f32_f16 v18, v13, v116, v18
	;;#ASMEND
	;;#ASMSTART
	v_dot2_f32_f16 v18, v14, v117, v18
	;;#ASMEND
	;;#ASMSTART
	v_dot2_f32_f16 v18, v15, v118, v18
	;;#ASMEND
	;;#ASMSTART
	v_dot2_f32_f16 v18, v16, v119, v18
	;;#ASMEND
	;; [unrolled: 13-line block ×8, first 2 shown]
	;;#ASMSTART
	v_dot2_f32_f16 v99, v128, v112, v99
	;;#ASMEND
	;;#ASMSTART
	v_dot2_f32_f16 v99, v129, v113, v99
	;;#ASMEND
	;; [unrolled: 3-line block ×32, first 2 shown]
	ds_read_b128 v[13:16], v61 offset:80
	ds_read_b128 v[112:115], v44 offset:80
	ds_read_b128 v[116:119], v44 offset:336
	ds_read_b128 v[120:123], v44 offset:592
	ds_read_b128 v[124:127], v44 offset:848
	ds_read_b128 v[128:131], v61 offset:4688
	ds_read_b128 v[132:135], v44 offset:1104
	ds_read_b128 v[136:139], v44 offset:1360
	ds_read_b128 v[140:143], v44 offset:1616
	ds_read_b128 v[144:147], v44 offset:1872
	s_waitcnt lgkmcnt(8)
	;;#ASMSTART
	v_dot2_f32_f16 v17, v13, v112, v17
	;;#ASMEND
	;;#ASMSTART
	v_dot2_f32_f16 v17, v14, v113, v17
	;;#ASMEND
	;;#ASMSTART
	v_dot2_f32_f16 v17, v15, v114, v17
	;;#ASMEND
	;;#ASMSTART
	v_dot2_f32_f16 v17, v16, v115, v17
	;;#ASMEND
	s_waitcnt lgkmcnt(7)
	;;#ASMSTART
	v_dot2_f32_f16 v18, v13, v116, v18
	;;#ASMEND
	;;#ASMSTART
	v_dot2_f32_f16 v18, v14, v117, v18
	;;#ASMEND
	;;#ASMSTART
	v_dot2_f32_f16 v18, v15, v118, v18
	;;#ASMEND
	;;#ASMSTART
	v_dot2_f32_f16 v18, v16, v119, v18
	;;#ASMEND
	;; [unrolled: 13-line block ×8, first 2 shown]
	;;#ASMSTART
	v_dot2_f32_f16 v99, v128, v112, v99
	;;#ASMEND
	;;#ASMSTART
	v_dot2_f32_f16 v99, v129, v113, v99
	;;#ASMEND
	;; [unrolled: 3-line block ×32, first 2 shown]
	ds_read_b128 v[13:16], v61 offset:96
	ds_read_b128 v[112:115], v44 offset:96
	;; [unrolled: 1-line block ×10, first 2 shown]
	s_waitcnt lgkmcnt(8)
	;;#ASMSTART
	v_dot2_f32_f16 v17, v13, v112, v17
	;;#ASMEND
	;;#ASMSTART
	v_dot2_f32_f16 v17, v14, v113, v17
	;;#ASMEND
	;;#ASMSTART
	v_dot2_f32_f16 v17, v15, v114, v17
	;;#ASMEND
	;;#ASMSTART
	v_dot2_f32_f16 v17, v16, v115, v17
	;;#ASMEND
	s_waitcnt lgkmcnt(7)
	;;#ASMSTART
	v_dot2_f32_f16 v18, v13, v116, v18
	;;#ASMEND
	;;#ASMSTART
	v_dot2_f32_f16 v18, v14, v117, v18
	;;#ASMEND
	;;#ASMSTART
	v_dot2_f32_f16 v18, v15, v118, v18
	;;#ASMEND
	;;#ASMSTART
	v_dot2_f32_f16 v18, v16, v119, v18
	;;#ASMEND
	;; [unrolled: 13-line block ×8, first 2 shown]
	;;#ASMSTART
	v_dot2_f32_f16 v99, v128, v112, v99
	;;#ASMEND
	;;#ASMSTART
	v_dot2_f32_f16 v99, v129, v113, v99
	;;#ASMEND
	;; [unrolled: 3-line block ×32, first 2 shown]
	ds_read_b128 v[13:16], v61 offset:112
	ds_read_b128 v[112:115], v44 offset:112
	;; [unrolled: 1-line block ×10, first 2 shown]
	s_waitcnt lgkmcnt(8)
	;;#ASMSTART
	v_dot2_f32_f16 v17, v13, v112, v17
	;;#ASMEND
	;;#ASMSTART
	v_dot2_f32_f16 v17, v14, v113, v17
	;;#ASMEND
	;;#ASMSTART
	v_dot2_f32_f16 v17, v15, v114, v17
	;;#ASMEND
	;;#ASMSTART
	v_dot2_f32_f16 v17, v16, v115, v17
	;;#ASMEND
	s_waitcnt lgkmcnt(7)
	;;#ASMSTART
	v_dot2_f32_f16 v18, v13, v116, v18
	;;#ASMEND
	;;#ASMSTART
	v_dot2_f32_f16 v18, v14, v117, v18
	;;#ASMEND
	;;#ASMSTART
	v_dot2_f32_f16 v18, v15, v118, v18
	;;#ASMEND
	;;#ASMSTART
	v_dot2_f32_f16 v18, v16, v119, v18
	;;#ASMEND
	;; [unrolled: 13-line block ×8, first 2 shown]
	;;#ASMSTART
	v_dot2_f32_f16 v99, v128, v112, v99
	;;#ASMEND
	;;#ASMSTART
	v_dot2_f32_f16 v99, v129, v113, v99
	;;#ASMEND
	;; [unrolled: 3-line block ×32, first 2 shown]
	s_barrier
	buffer_gl0_inv
	s_clause 0x1
	global_load_dwordx4 v[11:14], v[11:12], off offset:128
	global_load_dwordx4 v[112:115], v[9:10], off offset:128
	s_waitcnt vmcnt(1)
	ds_write_b128 v59, v[11:14]
	s_waitcnt vmcnt(0)
	ds_write_b128 v60, v[112:115]
	s_waitcnt lgkmcnt(0)
	s_barrier
	buffer_gl0_inv
	ds_read_b128 v[9:12], v61
	ds_read_b128 v[13:16], v44 offset:128
	ds_read_b128 v[112:115], v44 offset:384
	;; [unrolled: 1-line block ×9, first 2 shown]
	s_waitcnt lgkmcnt(8)
	;;#ASMSTART
	v_dot2_f32_f16 v17, v9, v13, v17
	;;#ASMEND
	;;#ASMSTART
	v_dot2_f32_f16 v17, v10, v14, v17
	;;#ASMEND
	;;#ASMSTART
	v_dot2_f32_f16 v17, v11, v15, v17
	;;#ASMEND
	;;#ASMSTART
	v_dot2_f32_f16 v17, v12, v16, v17
	;;#ASMEND
	s_waitcnt lgkmcnt(7)
	;;#ASMSTART
	v_dot2_f32_f16 v18, v9, v112, v18
	;;#ASMEND
	;;#ASMSTART
	v_dot2_f32_f16 v18, v10, v113, v18
	;;#ASMEND
	;;#ASMSTART
	v_dot2_f32_f16 v18, v11, v114, v18
	;;#ASMEND
	;;#ASMSTART
	v_dot2_f32_f16 v18, v12, v115, v18
	;;#ASMEND
	;; [unrolled: 13-line block ×8, first 2 shown]
	;;#ASMSTART
	v_dot2_f32_f16 v99, v124, v13, v99
	;;#ASMEND
	;;#ASMSTART
	v_dot2_f32_f16 v99, v125, v14, v99
	;;#ASMEND
	;; [unrolled: 3-line block ×32, first 2 shown]
	ds_read_b128 v[9:12], v61 offset:16
	ds_read_b128 v[13:16], v44 offset:144
	;; [unrolled: 1-line block ×10, first 2 shown]
	s_waitcnt lgkmcnt(8)
	;;#ASMSTART
	v_dot2_f32_f16 v17, v9, v13, v17
	;;#ASMEND
	;;#ASMSTART
	v_dot2_f32_f16 v17, v10, v14, v17
	;;#ASMEND
	;;#ASMSTART
	v_dot2_f32_f16 v17, v11, v15, v17
	;;#ASMEND
	;;#ASMSTART
	v_dot2_f32_f16 v17, v12, v16, v17
	;;#ASMEND
	s_waitcnt lgkmcnt(7)
	;;#ASMSTART
	v_dot2_f32_f16 v18, v9, v112, v18
	;;#ASMEND
	;;#ASMSTART
	v_dot2_f32_f16 v18, v10, v113, v18
	;;#ASMEND
	;;#ASMSTART
	v_dot2_f32_f16 v18, v11, v114, v18
	;;#ASMEND
	;;#ASMSTART
	v_dot2_f32_f16 v18, v12, v115, v18
	;;#ASMEND
	;; [unrolled: 13-line block ×8, first 2 shown]
	;;#ASMSTART
	v_dot2_f32_f16 v99, v124, v13, v99
	;;#ASMEND
	;;#ASMSTART
	v_dot2_f32_f16 v99, v125, v14, v99
	;;#ASMEND
	;; [unrolled: 3-line block ×32, first 2 shown]
	ds_read_b128 v[9:12], v61 offset:32
	ds_read_b128 v[13:16], v44 offset:160
	;; [unrolled: 1-line block ×10, first 2 shown]
	s_waitcnt lgkmcnt(8)
	;;#ASMSTART
	v_dot2_f32_f16 v17, v9, v13, v17
	;;#ASMEND
	;;#ASMSTART
	v_dot2_f32_f16 v17, v10, v14, v17
	;;#ASMEND
	;;#ASMSTART
	v_dot2_f32_f16 v17, v11, v15, v17
	;;#ASMEND
	;;#ASMSTART
	v_dot2_f32_f16 v17, v12, v16, v17
	;;#ASMEND
	s_waitcnt lgkmcnt(7)
	;;#ASMSTART
	v_dot2_f32_f16 v18, v9, v112, v18
	;;#ASMEND
	;;#ASMSTART
	v_dot2_f32_f16 v18, v10, v113, v18
	;;#ASMEND
	;;#ASMSTART
	v_dot2_f32_f16 v18, v11, v114, v18
	;;#ASMEND
	;;#ASMSTART
	v_dot2_f32_f16 v18, v12, v115, v18
	;;#ASMEND
	;; [unrolled: 13-line block ×8, first 2 shown]
	;;#ASMSTART
	v_dot2_f32_f16 v99, v124, v13, v99
	;;#ASMEND
	;;#ASMSTART
	v_dot2_f32_f16 v99, v125, v14, v99
	;;#ASMEND
	;; [unrolled: 3-line block ×32, first 2 shown]
	ds_read_b128 v[9:12], v61 offset:48
	ds_read_b128 v[13:16], v44 offset:176
	;; [unrolled: 1-line block ×10, first 2 shown]
	s_waitcnt lgkmcnt(8)
	;;#ASMSTART
	v_dot2_f32_f16 v17, v9, v13, v17
	;;#ASMEND
	;;#ASMSTART
	v_dot2_f32_f16 v17, v10, v14, v17
	;;#ASMEND
	;;#ASMSTART
	v_dot2_f32_f16 v17, v11, v15, v17
	;;#ASMEND
	;;#ASMSTART
	v_dot2_f32_f16 v17, v12, v16, v17
	;;#ASMEND
	s_waitcnt lgkmcnt(7)
	;;#ASMSTART
	v_dot2_f32_f16 v18, v9, v112, v18
	;;#ASMEND
	;;#ASMSTART
	v_dot2_f32_f16 v18, v10, v113, v18
	;;#ASMEND
	;;#ASMSTART
	v_dot2_f32_f16 v18, v11, v114, v18
	;;#ASMEND
	;;#ASMSTART
	v_dot2_f32_f16 v18, v12, v115, v18
	;;#ASMEND
	;; [unrolled: 13-line block ×8, first 2 shown]
	;;#ASMSTART
	v_dot2_f32_f16 v99, v124, v13, v99
	;;#ASMEND
	;;#ASMSTART
	v_dot2_f32_f16 v99, v125, v14, v99
	;;#ASMEND
	;; [unrolled: 3-line block ×32, first 2 shown]
	ds_read_b128 v[9:12], v61 offset:64
	ds_read_b128 v[13:16], v44 offset:192
	;; [unrolled: 1-line block ×10, first 2 shown]
	s_waitcnt lgkmcnt(8)
	;;#ASMSTART
	v_dot2_f32_f16 v17, v9, v13, v17
	;;#ASMEND
	;;#ASMSTART
	v_dot2_f32_f16 v17, v10, v14, v17
	;;#ASMEND
	;;#ASMSTART
	v_dot2_f32_f16 v17, v11, v15, v17
	;;#ASMEND
	;;#ASMSTART
	v_dot2_f32_f16 v17, v12, v16, v17
	;;#ASMEND
	s_waitcnt lgkmcnt(7)
	;;#ASMSTART
	v_dot2_f32_f16 v18, v9, v112, v18
	;;#ASMEND
	;;#ASMSTART
	v_dot2_f32_f16 v18, v10, v113, v18
	;;#ASMEND
	;;#ASMSTART
	v_dot2_f32_f16 v18, v11, v114, v18
	;;#ASMEND
	;;#ASMSTART
	v_dot2_f32_f16 v18, v12, v115, v18
	;;#ASMEND
	;; [unrolled: 13-line block ×8, first 2 shown]
	;;#ASMSTART
	v_dot2_f32_f16 v99, v124, v13, v99
	;;#ASMEND
	;;#ASMSTART
	v_dot2_f32_f16 v99, v125, v14, v99
	;;#ASMEND
	;; [unrolled: 3-line block ×32, first 2 shown]
	ds_read_b128 v[9:12], v61 offset:80
	ds_read_b128 v[13:16], v44 offset:208
	;; [unrolled: 1-line block ×10, first 2 shown]
	s_waitcnt lgkmcnt(8)
	;;#ASMSTART
	v_dot2_f32_f16 v17, v9, v13, v17
	;;#ASMEND
	;;#ASMSTART
	v_dot2_f32_f16 v17, v10, v14, v17
	;;#ASMEND
	;;#ASMSTART
	v_dot2_f32_f16 v17, v11, v15, v17
	;;#ASMEND
	;;#ASMSTART
	v_dot2_f32_f16 v17, v12, v16, v17
	;;#ASMEND
	s_waitcnt lgkmcnt(7)
	;;#ASMSTART
	v_dot2_f32_f16 v18, v9, v112, v18
	;;#ASMEND
	;;#ASMSTART
	v_dot2_f32_f16 v18, v10, v113, v18
	;;#ASMEND
	;;#ASMSTART
	v_dot2_f32_f16 v18, v11, v114, v18
	;;#ASMEND
	;;#ASMSTART
	v_dot2_f32_f16 v18, v12, v115, v18
	;;#ASMEND
	;; [unrolled: 13-line block ×8, first 2 shown]
	;;#ASMSTART
	v_dot2_f32_f16 v99, v124, v13, v99
	;;#ASMEND
	;;#ASMSTART
	v_dot2_f32_f16 v99, v125, v14, v99
	;;#ASMEND
	;; [unrolled: 3-line block ×32, first 2 shown]
	ds_read_b128 v[9:12], v61 offset:96
	ds_read_b128 v[13:16], v44 offset:224
	;; [unrolled: 1-line block ×10, first 2 shown]
	s_waitcnt lgkmcnt(8)
	;;#ASMSTART
	v_dot2_f32_f16 v17, v9, v13, v17
	;;#ASMEND
	;;#ASMSTART
	v_dot2_f32_f16 v17, v10, v14, v17
	;;#ASMEND
	;;#ASMSTART
	v_dot2_f32_f16 v17, v11, v15, v17
	;;#ASMEND
	;;#ASMSTART
	v_dot2_f32_f16 v17, v12, v16, v17
	;;#ASMEND
	s_waitcnt lgkmcnt(7)
	;;#ASMSTART
	v_dot2_f32_f16 v18, v9, v112, v18
	;;#ASMEND
	;;#ASMSTART
	v_dot2_f32_f16 v18, v10, v113, v18
	;;#ASMEND
	;;#ASMSTART
	v_dot2_f32_f16 v18, v11, v114, v18
	;;#ASMEND
	;;#ASMSTART
	v_dot2_f32_f16 v18, v12, v115, v18
	;;#ASMEND
	;; [unrolled: 13-line block ×8, first 2 shown]
	;;#ASMSTART
	v_dot2_f32_f16 v99, v124, v13, v99
	;;#ASMEND
	;;#ASMSTART
	v_dot2_f32_f16 v99, v125, v14, v99
	;;#ASMEND
	;; [unrolled: 3-line block ×32, first 2 shown]
	ds_read_b128 v[9:12], v61 offset:112
	ds_read_b128 v[13:16], v44 offset:240
	;; [unrolled: 1-line block ×10, first 2 shown]
	s_waitcnt lgkmcnt(8)
	;;#ASMSTART
	v_dot2_f32_f16 v17, v9, v13, v17
	;;#ASMEND
	;;#ASMSTART
	v_dot2_f32_f16 v17, v10, v14, v17
	;;#ASMEND
	;;#ASMSTART
	v_dot2_f32_f16 v17, v11, v15, v17
	;;#ASMEND
	;;#ASMSTART
	v_dot2_f32_f16 v17, v12, v16, v17
	;;#ASMEND
	s_waitcnt lgkmcnt(7)
	;;#ASMSTART
	v_dot2_f32_f16 v18, v9, v112, v18
	;;#ASMEND
	;;#ASMSTART
	v_dot2_f32_f16 v18, v10, v113, v18
	;;#ASMEND
	;;#ASMSTART
	v_dot2_f32_f16 v18, v11, v114, v18
	;;#ASMEND
	;;#ASMSTART
	v_dot2_f32_f16 v18, v12, v115, v18
	;;#ASMEND
	;; [unrolled: 13-line block ×8, first 2 shown]
	;;#ASMSTART
	v_dot2_f32_f16 v99, v124, v13, v99
	;;#ASMEND
	;;#ASMSTART
	v_dot2_f32_f16 v99, v125, v14, v99
	;;#ASMEND
	;; [unrolled: 3-line block ×32, first 2 shown]
	s_clause 0x3
	global_load_ushort v112, v[7:8], off
	global_load_ushort v7, v[7:8], off offset:64
	global_load_ushort v8, v[5:6], off
	global_load_ushort v5, v[5:6], off offset:64
	s_waitcnt vmcnt(0)
	s_barrier
	buffer_gl0_inv
	s_clause 0x1
	global_load_dwordx4 v[9:12], v[3:4], off
	global_load_dwordx4 v[13:16], v[1:2], off
	v_cvt_f32_f16_e32 v1, v112
	v_cvt_f32_f16_e32 v2, v7
	;; [unrolled: 1-line block ×4, first 2 shown]
	v_add_f32_e32 v17, v17, v1
	v_add_f32_e32 v99, v99, v2
	;; [unrolled: 1-line block ×32, first 2 shown]
	v_max3_f32 v1, v98, v1, v2
	v_max3_f32 v2, v97, v3, v4
	;; [unrolled: 1-line block ×8, first 2 shown]
	ds_bpermute_b32 v112, v111, v1
	ds_bpermute_b32 v113, v111, v2
	ds_bpermute_b32 v114, v111, v3
	ds_bpermute_b32 v115, v111, v4
	ds_bpermute_b32 v116, v111, v5
	ds_bpermute_b32 v117, v111, v6
	ds_bpermute_b32 v118, v111, v7
	ds_bpermute_b32 v111, v111, v8
	s_waitcnt lgkmcnt(7)
	v_max_f32_e32 v112, v112, v112
	s_waitcnt lgkmcnt(6)
	v_max_f32_e32 v113, v113, v113
	s_waitcnt lgkmcnt(5)
	v_max_f32_e32 v114, v114, v114
	s_waitcnt lgkmcnt(4)
	v_max_f32_e32 v115, v115, v115
	s_waitcnt lgkmcnt(3)
	v_max_f32_e32 v116, v116, v116
	s_waitcnt lgkmcnt(2)
	v_max_f32_e32 v117, v117, v117
	s_waitcnt lgkmcnt(1)
	v_max_f32_e32 v118, v118, v118
	s_waitcnt lgkmcnt(0)
	v_max_f32_e32 v111, v111, v111
	v_max_f32_e32 v1, v1, v112
	v_max_f32_e32 v2, v2, v113
	v_max_f32_e32 v3, v3, v114
	v_max_f32_e32 v4, v4, v115
	v_max_f32_e32 v5, v5, v116
	v_max_f32_e32 v6, v6, v117
	v_max_f32_e32 v7, v7, v118
	v_max_f32_e32 v8, v8, v111
	ds_bpermute_b32 v111, v110, v1
	ds_bpermute_b32 v112, v110, v2
	ds_bpermute_b32 v113, v110, v3
	ds_bpermute_b32 v114, v110, v4
	ds_bpermute_b32 v115, v110, v5
	ds_bpermute_b32 v116, v110, v6
	ds_bpermute_b32 v117, v110, v7
	ds_bpermute_b32 v110, v110, v8
	s_waitcnt lgkmcnt(7)
	v_max_f32_e32 v111, v111, v111
	s_waitcnt lgkmcnt(6)
	v_max_f32_e32 v112, v112, v112
	s_waitcnt lgkmcnt(5)
	v_max_f32_e32 v113, v113, v113
	s_waitcnt lgkmcnt(4)
	v_max_f32_e32 v114, v114, v114
	s_waitcnt lgkmcnt(3)
	v_max_f32_e32 v115, v115, v115
	s_waitcnt lgkmcnt(2)
	v_max_f32_e32 v116, v116, v116
	s_waitcnt lgkmcnt(1)
	v_max_f32_e32 v117, v117, v117
	s_waitcnt lgkmcnt(0)
	v_max_f32_e32 v110, v110, v110
	v_max_f32_e32 v1, v1, v111
	v_max_f32_e32 v2, v2, v112
	v_max_f32_e32 v3, v3, v113
	v_max_f32_e32 v4, v4, v114
	v_max_f32_e32 v5, v5, v115
	v_max_f32_e32 v6, v6, v116
	v_max_f32_e32 v7, v7, v117
	v_max_f32_e32 v8, v8, v110
	ds_bpermute_b32 v110, v109, v1
	ds_bpermute_b32 v111, v109, v2
	ds_bpermute_b32 v112, v109, v3
	ds_bpermute_b32 v113, v109, v4
	ds_bpermute_b32 v114, v109, v5
	ds_bpermute_b32 v115, v109, v6
	ds_bpermute_b32 v116, v109, v7
	ds_bpermute_b32 v109, v109, v8
	s_waitcnt lgkmcnt(7)
	v_max_f32_e32 v110, v110, v110
	s_waitcnt lgkmcnt(6)
	v_max_f32_e32 v111, v111, v111
	s_waitcnt lgkmcnt(5)
	v_max_f32_e32 v112, v112, v112
	s_waitcnt lgkmcnt(4)
	v_max_f32_e32 v113, v113, v113
	s_waitcnt lgkmcnt(3)
	v_max_f32_e32 v114, v114, v114
	s_waitcnt lgkmcnt(2)
	v_max_f32_e32 v115, v115, v115
	s_waitcnt lgkmcnt(1)
	v_max_f32_e32 v116, v116, v116
	s_waitcnt lgkmcnt(0)
	v_max_f32_e32 v109, v109, v109
	v_max_f32_e32 v1, v1, v110
	v_max_f32_e32 v2, v2, v111
	v_max_f32_e32 v3, v3, v112
	v_max_f32_e32 v4, v4, v113
	v_max_f32_e32 v5, v5, v114
	v_max_f32_e32 v6, v6, v115
	v_max_f32_e32 v7, v7, v116
	v_max_f32_e32 v8, v8, v109
	ds_bpermute_b32 v109, v108, v1
	ds_bpermute_b32 v110, v108, v2
	ds_bpermute_b32 v111, v108, v3
	ds_bpermute_b32 v112, v108, v4
	ds_bpermute_b32 v113, v108, v5
	ds_bpermute_b32 v114, v108, v6
	ds_bpermute_b32 v115, v108, v7
	ds_bpermute_b32 v108, v108, v8
	s_waitcnt lgkmcnt(7)
	v_max_f32_e32 v109, v109, v109
	s_waitcnt lgkmcnt(6)
	v_max_f32_e32 v110, v110, v110
	s_waitcnt lgkmcnt(5)
	v_max_f32_e32 v111, v111, v111
	s_waitcnt lgkmcnt(4)
	v_max_f32_e32 v112, v112, v112
	s_waitcnt lgkmcnt(3)
	v_max_f32_e32 v113, v113, v113
	s_waitcnt lgkmcnt(2)
	v_max_f32_e32 v114, v114, v114
	s_waitcnt lgkmcnt(1)
	v_max_f32_e32 v115, v115, v115
	s_waitcnt lgkmcnt(0)
	v_max_f32_e32 v108, v108, v108
	v_max_f32_e32 v1, v1, v109
	v_max_f32_e32 v2, v2, v110
	v_max_f32_e32 v3, v3, v111
	v_max_f32_e32 v4, v4, v112
	v_max_f32_e32 v5, v5, v113
	v_max_f32_e32 v6, v6, v114
	v_max_f32_e32 v7, v7, v115
	v_max_f32_e32 v8, v8, v108
	ds_bpermute_b32 v108, v107, v1
	ds_bpermute_b32 v109, v107, v2
	ds_bpermute_b32 v110, v107, v3
	ds_bpermute_b32 v111, v107, v4
	ds_bpermute_b32 v112, v107, v5
	ds_bpermute_b32 v113, v107, v6
	ds_bpermute_b32 v114, v107, v7
	ds_bpermute_b32 v107, v107, v8
	s_waitcnt lgkmcnt(7)
	v_max_f32_e32 v108, v108, v108
	s_waitcnt lgkmcnt(6)
	v_max_f32_e32 v109, v109, v109
	s_waitcnt lgkmcnt(5)
	v_max_f32_e32 v110, v110, v110
	s_waitcnt lgkmcnt(4)
	v_max_f32_e32 v111, v111, v111
	s_waitcnt lgkmcnt(3)
	v_max_f32_e32 v112, v112, v112
	s_waitcnt lgkmcnt(2)
	v_max_f32_e32 v113, v113, v113
	s_waitcnt lgkmcnt(1)
	v_max_f32_e32 v114, v114, v114
	s_waitcnt lgkmcnt(0)
	v_max_f32_e32 v107, v107, v107
	v_max_f32_e32 v1, v1, v108
	v_max_f32_e32 v2, v2, v109
	v_max_f32_e32 v3, v3, v110
	v_max_f32_e32 v4, v4, v111
	v_max_f32_e32 v5, v5, v112
	v_max_f32_e32 v6, v6, v113
	v_max_f32_e32 v7, v7, v114
	v_max_f32_e32 v8, v8, v107
	v_sub_f32_e32 v17, v17, v1
	v_sub_f32_e32 v99, v99, v1
	;; [unrolled: 1-line block ×16, first 2 shown]
	v_mul_f32_e32 v107, 0x3fb8aa3b, v17
	v_mul_f32_e32 v108, 0x3fb8aa3b, v99
	;; [unrolled: 1-line block ×16, first 2 shown]
	v_fma_f32 v123, 0x3fb8aa3b, v17, -v107
	v_rndne_f32_e32 v124, v107
	v_fma_f32 v125, 0x3fb8aa3b, v99, -v108
	v_rndne_f32_e32 v126, v108
	;; [unrolled: 2-line block ×16, first 2 shown]
	v_cmp_ngt_f32_e64 s31, 0xc2ce8ed0, v99
	v_cmp_ngt_f32_e64 s30, 0xc2ce8ed0, v18
	;; [unrolled: 1-line block ×11, first 2 shown]
	v_cmp_nlt_f32_e32 vcc_lo, 0x42b17218, v99
	v_cmp_nlt_f32_e64 s0, 0x42b17218, v18
	v_cmp_nlt_f32_e64 s1, 0x42b17218, v100
	;; [unrolled: 1-line block ×10, first 2 shown]
	v_fmac_f32_e32 v123, 0x32a5705f, v17
	v_sub_f32_e32 v17, v107, v124
	v_fmac_f32_e32 v125, 0x32a5705f, v99
	v_sub_f32_e32 v99, v108, v126
	;; [unrolled: 2-line block ×11, first 2 shown]
	v_cmp_ngt_f32_e64 s24, 0xc2ce8ed0, v102
	v_cmp_ngt_f32_e64 s22, 0xc2ce8ed0, v103
	;; [unrolled: 1-line block ×5, first 2 shown]
	v_cmp_nlt_f32_e64 s7, 0x42b17218, v102
	v_cmp_nlt_f32_e64 s9, 0x42b17218, v103
	;; [unrolled: 1-line block ×5, first 2 shown]
	v_fmac_f32_e32 v137, 0x32a5705f, v102
	v_sub_f32_e32 v102, v114, v138
	v_fmac_f32_e32 v141, 0x32a5705f, v103
	v_sub_f32_e32 v103, v116, v142
	;; [unrolled: 2-line block ×5, first 2 shown]
	v_add_f32_e32 v17, v17, v123
	v_add_f32_e32 v99, v99, v125
	;; [unrolled: 1-line block ×16, first 2 shown]
	v_exp_f32_e32 v17, v17
	v_exp_f32_e32 v99, v99
	;; [unrolled: 1-line block ×16, first 2 shown]
	v_cvt_i32_f32_e32 v107, v124
	v_cvt_i32_f32_e32 v108, v126
	;; [unrolled: 1-line block ×16, first 2 shown]
	v_ldexp_f32 v17, v17, v107
	v_ldexp_f32 v99, v99, v108
	;; [unrolled: 1-line block ×16, first 2 shown]
	v_cndmask_b32_e64 v17, 0, v17, s33
	v_cndmask_b32_e64 v99, 0, v99, s31
	;; [unrolled: 1-line block ×17, first 2 shown]
	v_cndmask_b32_e32 v114, 0x7f800000, v99, vcc_lo
	v_cndmask_b32_e64 v110, 0x7f800000, v18, s0
	v_cndmask_b32_e64 v113, 0x7f800000, v100, s1
	;; [unrolled: 1-line block ×14, first 2 shown]
	v_cvt_f16_f32_e32 v17, v112
	v_cvt_f16_f32_e32 v22, v110
	;; [unrolled: 1-line block ×16, first 2 shown]
	v_pack_b32_f16 v20, v20, v24
	v_pack_b32_f16 v19, v19, v119
	;; [unrolled: 1-line block ×8, first 2 shown]
	ds_write_b128 v69, v[17:20]
	ds_write_b128 v69, v[21:24] offset:512
	s_waitcnt vmcnt(1)
	ds_write_b128 v65, v[9:12]
	s_waitcnt vmcnt(0)
	ds_write_b128 v66, v[13:16]
	s_waitcnt lgkmcnt(0)
	s_barrier
	buffer_gl0_inv
	ds_read_b128 v[21:24], v64
	ds_read_b128 v[17:20], v64 offset:16
	ds_read_b128 v[13:16], v64 offset:32
	;; [unrolled: 1-line block ×10, first 2 shown]
	v_add_f32_e32 v58, v112, v114
	s_waitcnt lgkmcnt(10)
	v_mul_u32_u24_sdwa v211, v23, v71 dst_sel:DWORD dst_unused:UNUSED_PAD src0_sel:WORD_0 src1_sel:DWORD
	v_mul_u32_u24_sdwa v212, v23, v71 dst_sel:DWORD dst_unused:UNUSED_PAD src0_sel:WORD_1 src1_sel:DWORD
	v_mul_u32_u24_sdwa v213, v24, v71 dst_sel:DWORD dst_unused:UNUSED_PAD src0_sel:WORD_0 src1_sel:DWORD
	s_waitcnt lgkmcnt(7)
	v_mul_u32_u24_sdwa v144, v9, v71 dst_sel:DWORD dst_unused:UNUSED_PAD src0_sel:WORD_0 src1_sel:DWORD
	v_mul_u32_u24_sdwa v142, v9, v71 dst_sel:DWORD dst_unused:UNUSED_PAD src0_sel:WORD_1 src1_sel:DWORD
	v_mul_u32_u24_sdwa v140, v10, v71 dst_sel:DWORD dst_unused:UNUSED_PAD src0_sel:WORD_0 src1_sel:DWORD
	v_mul_u32_u24_sdwa v138, v10, v71 dst_sel:DWORD dst_unused:UNUSED_PAD src0_sel:WORD_1 src1_sel:DWORD
	;; [unrolled: 2-line block ×4, first 2 shown]
	ds_read_b128 v[9:12], v64 offset:176
	s_waitcnt lgkmcnt(5)
	v_mul_u32_u24_sdwa v194, v123, v71 dst_sel:DWORD dst_unused:UNUSED_PAD src0_sel:WORD_0 src1_sel:DWORD
	v_mul_u32_u24_sdwa v193, v123, v71 dst_sel:DWORD dst_unused:UNUSED_PAD src0_sel:WORD_1 src1_sel:DWORD
	v_mul_u32_u24_sdwa v192, v124, v71 dst_sel:DWORD dst_unused:UNUSED_PAD src0_sel:WORD_0 src1_sel:DWORD
	v_mul_u32_u24_sdwa v191, v124, v71 dst_sel:DWORD dst_unused:UNUSED_PAD src0_sel:WORD_1 src1_sel:DWORD
	;; [unrolled: 2-line block ×4, first 2 shown]
	s_waitcnt lgkmcnt(4)
	v_mul_u32_u24_sdwa v186, v127, v71 dst_sel:DWORD dst_unused:UNUSED_PAD src0_sel:WORD_0 src1_sel:DWORD
	v_mul_u32_u24_sdwa v185, v127, v71 dst_sel:DWORD dst_unused:UNUSED_PAD src0_sel:WORD_1 src1_sel:DWORD
	v_mul_u32_u24_sdwa v184, v128, v71 dst_sel:DWORD dst_unused:UNUSED_PAD src0_sel:WORD_0 src1_sel:DWORD
	v_mul_u32_u24_sdwa v183, v128, v71 dst_sel:DWORD dst_unused:UNUSED_PAD src0_sel:WORD_1 src1_sel:DWORD
	;; [unrolled: 2-line block ×4, first 2 shown]
	v_mul_u32_u24_sdwa v214, v24, v71 dst_sel:DWORD dst_unused:UNUSED_PAD src0_sel:WORD_1 src1_sel:DWORD
	v_mul_u32_u24_sdwa v207, v21, v71 dst_sel:DWORD dst_unused:UNUSED_PAD src0_sel:WORD_0 src1_sel:DWORD
	v_mul_u32_u24_sdwa v208, v21, v71 dst_sel:DWORD dst_unused:UNUSED_PAD src0_sel:WORD_1 src1_sel:DWORD
	s_waitcnt lgkmcnt(0)
	v_mul_u32_u24_sdwa v130, v9, v71 dst_sel:DWORD dst_unused:UNUSED_PAD src0_sel:WORD_0 src1_sel:DWORD
	v_mul_u32_u24_sdwa v129, v9, v71 dst_sel:DWORD dst_unused:UNUSED_PAD src0_sel:WORD_1 src1_sel:DWORD
	v_mul_u32_u24_sdwa v128, v10, v71 dst_sel:DWORD dst_unused:UNUSED_PAD src0_sel:WORD_0 src1_sel:DWORD
	v_mul_u32_u24_sdwa v127, v10, v71 dst_sel:DWORD dst_unused:UNUSED_PAD src0_sel:WORD_1 src1_sel:DWORD
	;; [unrolled: 2-line block ×4, first 2 shown]
	ds_read_b128 v[9:12], v64 offset:192
	v_mul_u32_u24_sdwa v209, v22, v71 dst_sel:DWORD dst_unused:UNUSED_PAD src0_sel:WORD_0 src1_sel:DWORD
	v_mul_u32_u24_sdwa v210, v22, v71 dst_sel:DWORD dst_unused:UNUSED_PAD src0_sel:WORD_1 src1_sel:DWORD
	v_mul_u32_u24_sdwa v219, v19, v71 dst_sel:DWORD dst_unused:UNUSED_PAD src0_sel:WORD_0 src1_sel:DWORD
	v_mul_u32_u24_sdwa v220, v19, v71 dst_sel:DWORD dst_unused:UNUSED_PAD src0_sel:WORD_1 src1_sel:DWORD
	;; [unrolled: 2-line block ×9, first 2 shown]
	v_mul_u32_u24_sdwa v154, v155, v71 dst_sel:DWORD dst_unused:UNUSED_PAD src0_sel:WORD_0 src1_sel:DWORD
	s_waitcnt lgkmcnt(0)
	v_mul_u32_u24_sdwa v24, v9, v71 dst_sel:DWORD dst_unused:UNUSED_PAD src0_sel:WORD_0 src1_sel:DWORD
	v_mul_u32_u24_sdwa v23, v9, v71 dst_sel:DWORD dst_unused:UNUSED_PAD src0_sel:WORD_1 src1_sel:DWORD
	v_sub_f32_e32 v9, v98, v1
	v_mul_u32_u24_sdwa v22, v10, v71 dst_sel:DWORD dst_unused:UNUSED_PAD src0_sel:WORD_0 src1_sel:DWORD
	v_mul_u32_u24_sdwa v21, v10, v71 dst_sel:DWORD dst_unused:UNUSED_PAD src0_sel:WORD_1 src1_sel:DWORD
	v_mul_u32_u24_sdwa v20, v11, v71 dst_sel:DWORD dst_unused:UNUSED_PAD src0_sel:WORD_0 src1_sel:DWORD
	v_mul_u32_u24_sdwa v19, v11, v71 dst_sel:DWORD dst_unused:UNUSED_PAD src0_sel:WORD_1 src1_sel:DWORD
	v_mul_f32_e32 v10, 0x3fb8aa3b, v9
	v_cmp_ngt_f32_e32 vcc_lo, 0xc2ce8ed0, v9
	v_cmp_nlt_f32_e64 s0, 0x42b17218, v9
	v_mul_u32_u24_sdwa v18, v12, v71 dst_sel:DWORD dst_unused:UNUSED_PAD src0_sel:WORD_0 src1_sel:DWORD
	v_mul_u32_u24_sdwa v17, v12, v71 dst_sel:DWORD dst_unused:UNUSED_PAD src0_sel:WORD_1 src1_sel:DWORD
	v_fma_f32 v11, 0x3fb8aa3b, v9, -v10
	v_mul_u32_u24_sdwa v153, v155, v71 dst_sel:DWORD dst_unused:UNUSED_PAD src0_sel:WORD_1 src1_sel:DWORD
	v_mul_u32_u24_sdwa v178, v115, v71 dst_sel:DWORD dst_unused:UNUSED_PAD src0_sel:WORD_0 src1_sel:DWORD
	v_mul_u32_u24_sdwa v177, v115, v71 dst_sel:DWORD dst_unused:UNUSED_PAD src0_sel:WORD_1 src1_sel:DWORD
	v_mul_u32_u24_sdwa v176, v116, v71 dst_sel:DWORD dst_unused:UNUSED_PAD src0_sel:WORD_0 src1_sel:DWORD
	v_fmac_f32_e32 v11, 0x32a5705f, v9
	v_sub_f32_e32 v9, v97, v2
	v_mul_u32_u24_sdwa v175, v116, v71 dst_sel:DWORD dst_unused:UNUSED_PAD src0_sel:WORD_1 src1_sel:DWORD
	v_mul_u32_u24_sdwa v174, v117, v71 dst_sel:DWORD dst_unused:UNUSED_PAD src0_sel:WORD_0 src1_sel:DWORD
	v_mul_u32_u24_sdwa v173, v117, v71 dst_sel:DWORD dst_unused:UNUSED_PAD src0_sel:WORD_1 src1_sel:DWORD
	v_mul_u32_u24_sdwa v172, v118, v71 dst_sel:DWORD dst_unused:UNUSED_PAD src0_sel:WORD_0 src1_sel:DWORD
	v_mul_f32_e32 v12, 0x3fb8aa3b, v9
	v_cmp_ngt_f32_e64 s1, 0xc2ce8ed0, v9
	v_cmp_nlt_f32_e64 s2, 0x42b17218, v9
	v_mul_u32_u24_sdwa v171, v118, v71 dst_sel:DWORD dst_unused:UNUSED_PAD src0_sel:WORD_1 src1_sel:DWORD
	v_mul_u32_u24_sdwa v170, v119, v71 dst_sel:DWORD dst_unused:UNUSED_PAD src0_sel:WORD_0 src1_sel:DWORD
	v_fma_f32 v13, 0x3fb8aa3b, v9, -v12
	v_mul_u32_u24_sdwa v169, v119, v71 dst_sel:DWORD dst_unused:UNUSED_PAD src0_sel:WORD_1 src1_sel:DWORD
	v_mul_u32_u24_sdwa v168, v120, v71 dst_sel:DWORD dst_unused:UNUSED_PAD src0_sel:WORD_0 src1_sel:DWORD
	v_mul_u32_u24_sdwa v167, v120, v71 dst_sel:DWORD dst_unused:UNUSED_PAD src0_sel:WORD_1 src1_sel:DWORD
	v_mul_u32_u24_sdwa v166, v121, v71 dst_sel:DWORD dst_unused:UNUSED_PAD src0_sel:WORD_0 src1_sel:DWORD
	v_fmac_f32_e32 v13, 0x32a5705f, v9
	v_sub_f32_e32 v9, v96, v3
	v_mul_u32_u24_sdwa v165, v121, v71 dst_sel:DWORD dst_unused:UNUSED_PAD src0_sel:WORD_1 src1_sel:DWORD
	v_mul_u32_u24_sdwa v164, v122, v71 dst_sel:DWORD dst_unused:UNUSED_PAD src0_sel:WORD_0 src1_sel:DWORD
	v_mul_u32_u24_sdwa v163, v122, v71 dst_sel:DWORD dst_unused:UNUSED_PAD src0_sel:WORD_1 src1_sel:DWORD
	v_mul_u32_u24_sdwa v122, v203, v71 dst_sel:DWORD dst_unused:UNUSED_PAD src0_sel:WORD_0 src1_sel:DWORD
	v_mul_f32_e32 v14, 0x3fb8aa3b, v9
	v_cmp_ngt_f32_e64 s3, 0xc2ce8ed0, v9
	v_cmp_nlt_f32_e64 s6, 0x42b17218, v9
	v_mul_u32_u24_sdwa v121, v203, v71 dst_sel:DWORD dst_unused:UNUSED_PAD src0_sel:WORD_1 src1_sel:DWORD
	v_mul_u32_u24_sdwa v120, v204, v71 dst_sel:DWORD dst_unused:UNUSED_PAD src0_sel:WORD_0 src1_sel:DWORD
	;; [unrolled: 16-line block ×3, first 2 shown]
	v_fma_f32 v95, 0x3fb8aa3b, v9, -v16
	v_mul_u32_u24_sdwa v147, v158, v71 dst_sel:DWORD dst_unused:UNUSED_PAD src0_sel:WORD_1 src1_sel:DWORD
	v_mul_u32_u24_sdwa v146, v159, v71 dst_sel:DWORD dst_unused:UNUSED_PAD src0_sel:WORD_0 src1_sel:DWORD
	v_mul_u32_u24_sdwa v145, v159, v71 dst_sel:DWORD dst_unused:UNUSED_PAD src0_sel:WORD_1 src1_sel:DWORD
	v_mul_u32_u24_sdwa v143, v160, v71 dst_sel:DWORD dst_unused:UNUSED_PAD src0_sel:WORD_0 src1_sel:DWORD
	v_fmac_f32_e32 v95, 0x32a5705f, v9
	v_sub_f32_e32 v9, v94, v5
	v_mul_u32_u24_sdwa v141, v160, v71 dst_sel:DWORD dst_unused:UNUSED_PAD src0_sel:WORD_1 src1_sel:DWORD
	v_mul_u32_u24_sdwa v139, v161, v71 dst_sel:DWORD dst_unused:UNUSED_PAD src0_sel:WORD_0 src1_sel:DWORD
	v_mul_u32_u24_sdwa v137, v161, v71 dst_sel:DWORD dst_unused:UNUSED_PAD src0_sel:WORD_1 src1_sel:DWORD
	v_mul_u32_u24_sdwa v135, v162, v71 dst_sel:DWORD dst_unused:UNUSED_PAD src0_sel:WORD_0 src1_sel:DWORD
	v_mul_f32_e32 v94, 0x3fb8aa3b, v9
	v_cmp_ngt_f32_e64 s9, 0xc2ce8ed0, v9
	v_cmp_nlt_f32_e64 s10, 0x42b17218, v9
	v_mul_u32_u24_sdwa v133, v162, v71 dst_sel:DWORD dst_unused:UNUSED_PAD src0_sel:WORD_1 src1_sel:DWORD
	v_fma_f32 v96, 0x3fb8aa3b, v9, -v94
	v_fmac_f32_e32 v96, 0x32a5705f, v9
	v_sub_f32_e32 v9, v93, v6
	v_mul_f32_e32 v93, 0x3fb8aa3b, v9
	v_cmp_ngt_f32_e64 s11, 0xc2ce8ed0, v9
	v_cmp_nlt_f32_e64 s12, 0x42b17218, v9
	v_fma_f32 v97, 0x3fb8aa3b, v9, -v93
	v_fmac_f32_e32 v97, 0x32a5705f, v9
	v_sub_f32_e32 v9, v92, v7
	v_mul_f32_e32 v92, 0x3fb8aa3b, v9
	v_cmp_ngt_f32_e64 s13, 0xc2ce8ed0, v9
	v_cmp_nlt_f32_e64 s14, 0x42b17218, v9
	;; [unrolled: 6-line block ×3, first 2 shown]
	v_fma_f32 v155, 0x3fb8aa3b, v9, -v91
	v_fmac_f32_e32 v155, 0x32a5705f, v9
	v_rndne_f32_e32 v9, v10
	v_sub_f32_e32 v10, v10, v9
	v_cvt_i32_f32_e32 v9, v9
	v_add_f32_e32 v10, v10, v11
	v_rndne_f32_e32 v11, v12
	v_exp_f32_e32 v10, v10
	v_sub_f32_e32 v12, v12, v11
	v_add_f32_e32 v12, v12, v13
	v_rndne_f32_e32 v13, v14
	v_ldexp_f32 v9, v10, v9
	v_cvt_i32_f32_e32 v10, v11
	v_sub_f32_e32 v14, v14, v13
	v_exp_f32_e32 v11, v12
	v_cndmask_b32_e32 v9, 0, v9, vcc_lo
	v_add_f32_e32 v14, v14, v15
	v_rndne_f32_e32 v15, v16
	v_cndmask_b32_e64 v9, 0x7f800000, v9, s0
	s_or_b32 s0, s43, 32
	v_exp_f32_e32 v12, v14
	v_sub_f32_e32 v16, v16, v15
	v_ldexp_f32 v10, v11, v10
	v_cvt_i32_f32_e32 v11, v13
	v_fmac_f32_e32 v58, v227, v9
	v_add_f32_e32 v16, v16, v95
	v_rndne_f32_e32 v95, v94
	v_cndmask_b32_e64 v10, 0, v10, s1
	s_mul_hi_i32 s1, s0, s46
	v_ldexp_f32 v11, v12, v11
	v_exp_f32_e32 v13, v16
	v_sub_f32_e32 v94, v94, v95
	v_cvt_i32_f32_e32 v12, v15
	v_cndmask_b32_e64 v10, 0x7f800000, v10, s2
	v_cndmask_b32_e64 v11, 0, v11, s3
	s_mul_i32 s0, s0, s46
	v_add_f32_e32 v94, v94, v96
	v_rndne_f32_e32 v96, v93
	s_lshl_b64 s[0:1], s[0:1], 2
	v_cndmask_b32_e64 v11, 0x7f800000, v11, s6
	v_ldexp_f32 v12, v13, v12
	v_exp_f32_e32 v14, v94
	v_sub_f32_e32 v93, v93, v96
	v_cvt_i32_f32_e32 v13, v95
	s_add_u32 s0, s40, s0
	v_cndmask_b32_e64 v12, 0, v12, s7
	s_addc_u32 s1, s41, s1
	v_add_f32_e32 v93, v93, v97
	v_rndne_f32_e32 v97, v92
	v_cndmask_b32_e64 v12, 0x7f800000, v12, s8
	v_ldexp_f32 v13, v14, v13
	v_exp_f32_e32 v15, v93
	v_sub_f32_e32 v92, v92, v97
	v_cvt_i32_f32_e32 v14, v96
	v_cndmask_b32_e64 v13, 0, v13, s9
	v_add_f32_e32 v92, v92, v98
	v_rndne_f32_e32 v98, v91
	v_cndmask_b32_e64 v13, 0x7f800000, v13, s10
	v_ldexp_f32 v14, v15, v14
	v_exp_f32_e32 v16, v92
	v_sub_f32_e32 v91, v91, v98
	v_cvt_i32_f32_e32 v15, v97
	v_cndmask_b32_e64 v14, 0, v14, s11
	v_add_f32_e32 v91, v91, v155
	v_cndmask_b32_e64 v14, 0x7f800000, v14, s12
	v_ldexp_f32 v15, v16, v15
	v_exp_f32_e32 v91, v91
	v_cvt_i32_f32_e32 v16, v98
	v_cndmask_b32_e64 v15, 0, v15, s13
	v_cndmask_b32_e64 v15, 0x7f800000, v15, s14
	v_ldexp_f32 v16, v91, v16
	v_cvt_f16_f32_e32 v91, v9
	v_mov_b32_e32 v9, v57
	v_add_f32_e32 v57, v110, v113
	v_cndmask_b32_e64 v16, 0, v16, s15
	v_mul_u32_u24_sdwa v91, v91, v71 dst_sel:DWORD dst_unused:UNUSED_PAD src0_sel:WORD_0 src1_sel:DWORD
	v_fmac_f32_e32 v57, v9, v10
	v_mov_b32_e32 v9, v56
	v_cndmask_b32_e64 v16, 0x7f800000, v16, s16
	v_pk_mul_f16 v89, v89, v91
	v_pk_mul_f16 v90, v90, v91
	v_cvt_f16_f32_e32 v91, v10
	v_add_f32_e32 v56, v108, v111
	v_mov_b32_e32 v10, v50
	v_mul_u32_u24_sdwa v91, v91, v71 dst_sel:DWORD dst_unused:UNUSED_PAD src0_sel:WORD_0 src1_sel:DWORD
	v_fmac_f32_e32 v56, v9, v11
	v_mov_b32_e32 v9, v55
	v_add_f32_e32 v55, v106, v109
	v_pk_mul_f16 v87, v87, v91
	v_pk_mul_f16 v88, v88, v91
	v_cvt_f16_f32_e32 v91, v11
	v_fmac_f32_e32 v55, v9, v12
	v_mov_b32_e32 v9, v54
	v_add_f32_e32 v54, v104, v107
	v_mul_u32_u24_sdwa v91, v91, v71 dst_sel:DWORD dst_unused:UNUSED_PAD src0_sel:WORD_0 src1_sel:DWORD
	v_fmac_f32_e32 v54, v9, v13
	v_mov_b32_e32 v9, v53
	v_pk_mul_f16 v85, v85, v91
	v_pk_mul_f16 v86, v86, v91
	v_cvt_f16_f32_e32 v91, v12
	v_add_f32_e32 v53, v101, v105
	v_mul_u32_u24_sdwa v91, v91, v71 dst_sel:DWORD dst_unused:UNUSED_PAD src0_sel:WORD_0 src1_sel:DWORD
	v_fmac_f32_e32 v53, v9, v14
	v_mov_b32_e32 v9, v51
	v_add_f32_e32 v51, v99, v102
	v_pk_mul_f16 v83, v83, v91
	v_pk_mul_f16 v84, v84, v91
	v_cvt_f16_f32_e32 v91, v13
	v_fmac_f32_e32 v51, v9, v15
	v_add_f32_e32 v9, v100, v103
	v_mul_u32_u24_sdwa v91, v91, v71 dst_sel:DWORD dst_unused:UNUSED_PAD src0_sel:WORD_0 src1_sel:DWORD
	v_mov_b32_e32 v50, v9
	v_pk_mul_f16 v81, v81, v91
	v_pk_mul_f16 v82, v82, v91
	v_cvt_f16_f32_e32 v91, v14
	v_fmac_f32_e32 v50, v10, v16
	v_mul_u32_u24_sdwa v91, v91, v71 dst_sel:DWORD dst_unused:UNUSED_PAD src0_sel:WORD_0 src1_sel:DWORD
	v_pk_mul_f16 v79, v79, v91
	v_pk_mul_f16 v80, v80, v91
	v_cvt_f16_f32_e32 v91, v15
	v_mul_u32_u24_sdwa v91, v91, v71 dst_sel:DWORD dst_unused:UNUSED_PAD src0_sel:WORD_0 src1_sel:DWORD
	v_pk_mul_f16 v92, v77, v91
	v_cvt_f16_f32_e32 v77, v16
	v_pk_mul_f16 v91, v78, v91
	v_mul_u32_u24_sdwa v77, v77, v71 dst_sel:DWORD dst_unused:UNUSED_PAD src0_sel:WORD_0 src1_sel:DWORD
	v_pk_mul_f16 v93, v76, v77
	v_pk_mul_f16 v94, v75, v77
	ds_read2_b64 v[75:78], v67 offset1:32
	s_waitcnt lgkmcnt(0)
	v_pk_fma_f16 v89, v75, v207, v89
	v_pk_fma_f16 v90, v76, v207, v90
	v_pk_fma_f16 v87, v75, v208, v87
	v_pk_fma_f16 v88, v76, v208, v88
	v_pk_fma_f16 v85, v75, v209, v85
	v_pk_fma_f16 v86, v76, v209, v86
	v_pk_fma_f16 v83, v75, v210, v83
	v_pk_fma_f16 v84, v76, v210, v84
	v_pk_fma_f16 v81, v75, v211, v81
	v_pk_fma_f16 v82, v76, v211, v82
	v_pk_fma_f16 v79, v75, v212, v79
	v_pk_fma_f16 v80, v76, v212, v80
	v_pk_fma_f16 v92, v75, v213, v92
	v_pk_fma_f16 v91, v76, v213, v91
	v_pk_fma_f16 v75, v75, v214, v93
	v_pk_fma_f16 v76, v76, v214, v94
	v_pk_fma_f16 v93, v77, v215, v89
	v_pk_fma_f16 v94, v78, v215, v90
	v_pk_fma_f16 v95, v77, v216, v87
	v_pk_fma_f16 v96, v78, v216, v88
	v_pk_fma_f16 v97, v77, v217, v85
	v_pk_fma_f16 v98, v78, v217, v86
	v_pk_fma_f16 v203, v77, v218, v83
	v_pk_fma_f16 v204, v78, v218, v84
	v_pk_fma_f16 v81, v77, v219, v81
	v_pk_fma_f16 v82, v78, v219, v82
	v_pk_fma_f16 v79, v77, v220, v79
	v_pk_fma_f16 v80, v78, v220, v80
	v_pk_fma_f16 v92, v77, v221, v92
	v_pk_fma_f16 v91, v78, v221, v91
	v_pk_fma_f16 v205, v77, v222, v75
	v_pk_fma_f16 v206, v78, v222, v76
	ds_read_b128 v[75:78], v64 offset:208
	s_waitcnt lgkmcnt(0)
	v_mul_u32_u24_sdwa v162, v75, v71 dst_sel:DWORD dst_unused:UNUSED_PAD src0_sel:WORD_0 src1_sel:DWORD
	v_mul_u32_u24_sdwa v161, v75, v71 dst_sel:DWORD dst_unused:UNUSED_PAD src0_sel:WORD_1 src1_sel:DWORD
	v_mul_u32_u24_sdwa v160, v76, v71 dst_sel:DWORD dst_unused:UNUSED_PAD src0_sel:WORD_0 src1_sel:DWORD
	v_mul_u32_u24_sdwa v159, v76, v71 dst_sel:DWORD dst_unused:UNUSED_PAD src0_sel:WORD_1 src1_sel:DWORD
	v_mul_u32_u24_sdwa v158, v77, v71 dst_sel:DWORD dst_unused:UNUSED_PAD src0_sel:WORD_0 src1_sel:DWORD
	v_mul_u32_u24_sdwa v157, v77, v71 dst_sel:DWORD dst_unused:UNUSED_PAD src0_sel:WORD_1 src1_sel:DWORD
	v_mul_u32_u24_sdwa v156, v78, v71 dst_sel:DWORD dst_unused:UNUSED_PAD src0_sel:WORD_0 src1_sel:DWORD
	v_mul_u32_u24_sdwa v155, v78, v71 dst_sel:DWORD dst_unused:UNUSED_PAD src0_sel:WORD_1 src1_sel:DWORD
	ds_read_b128 v[75:78], v64 offset:224
	s_waitcnt lgkmcnt(0)
	v_mul_u32_u24_sdwa v90, v75, v71 dst_sel:DWORD dst_unused:UNUSED_PAD src0_sel:WORD_0 src1_sel:DWORD
	v_mul_u32_u24_sdwa v89, v75, v71 dst_sel:DWORD dst_unused:UNUSED_PAD src0_sel:WORD_1 src1_sel:DWORD
	v_mul_u32_u24_sdwa v88, v76, v71 dst_sel:DWORD dst_unused:UNUSED_PAD src0_sel:WORD_0 src1_sel:DWORD
	v_mul_u32_u24_sdwa v87, v76, v71 dst_sel:DWORD dst_unused:UNUSED_PAD src0_sel:WORD_1 src1_sel:DWORD
	v_mul_u32_u24_sdwa v86, v77, v71 dst_sel:DWORD dst_unused:UNUSED_PAD src0_sel:WORD_0 src1_sel:DWORD
	v_mul_u32_u24_sdwa v85, v77, v71 dst_sel:DWORD dst_unused:UNUSED_PAD src0_sel:WORD_1 src1_sel:DWORD
	v_mul_u32_u24_sdwa v84, v78, v71 dst_sel:DWORD dst_unused:UNUSED_PAD src0_sel:WORD_0 src1_sel:DWORD
	v_mul_u32_u24_sdwa v83, v78, v71 dst_sel:DWORD dst_unused:UNUSED_PAD src0_sel:WORD_1 src1_sel:DWORD
	ds_read2_b64 v[75:78], v67 offset0:64 offset1:96
	s_waitcnt lgkmcnt(0)
	v_pk_fma_f16 v93, v75, v202, v93
	v_pk_fma_f16 v94, v76, v202, v94
	v_pk_fma_f16 v95, v75, v201, v95
	v_pk_fma_f16 v96, v76, v201, v96
	v_pk_fma_f16 v97, v75, v200, v97
	v_pk_fma_f16 v98, v76, v200, v98
	v_pk_fma_f16 v200, v75, v199, v203
	v_pk_fma_f16 v199, v76, v199, v204
	v_pk_fma_f16 v81, v75, v198, v81
	v_pk_fma_f16 v82, v76, v198, v82
	v_pk_fma_f16 v79, v75, v197, v79
	v_pk_fma_f16 v80, v76, v197, v80
	v_pk_fma_f16 v92, v75, v196, v92
	v_pk_fma_f16 v91, v76, v196, v91
	v_pk_fma_f16 v75, v75, v195, v205
	v_pk_fma_f16 v76, v76, v195, v206
	v_pk_fma_f16 v195, v77, v144, v93
	v_pk_fma_f16 v196, v78, v144, v94
	v_pk_fma_f16 v197, v77, v142, v95
	v_pk_fma_f16 v198, v78, v142, v96
	v_pk_fma_f16 v201, v77, v140, v97
	v_pk_fma_f16 v202, v78, v140, v98
	v_pk_fma_f16 v200, v77, v138, v200
	v_pk_fma_f16 v199, v78, v138, v199
	v_pk_fma_f16 v81, v77, v136, v81
	v_pk_fma_f16 v82, v78, v136, v82
	v_pk_fma_f16 v79, v77, v134, v79
	v_pk_fma_f16 v80, v78, v134, v80
	v_pk_fma_f16 v203, v77, v132, v92
	v_pk_fma_f16 v204, v78, v132, v91
	v_pk_fma_f16 v205, v77, v131, v75
	v_pk_fma_f16 v206, v78, v131, v76
	ds_read_b128 v[75:78], v64 offset:240
	s_waitcnt lgkmcnt(0)
	v_mul_u32_u24_sdwa v144, v75, v71 dst_sel:DWORD dst_unused:UNUSED_PAD src0_sel:WORD_0 src1_sel:DWORD
	v_mul_u32_u24_sdwa v142, v75, v71 dst_sel:DWORD dst_unused:UNUSED_PAD src0_sel:WORD_1 src1_sel:DWORD
	v_mul_u32_u24_sdwa v140, v76, v71 dst_sel:DWORD dst_unused:UNUSED_PAD src0_sel:WORD_0 src1_sel:DWORD
	v_mul_u32_u24_sdwa v138, v76, v71 dst_sel:DWORD dst_unused:UNUSED_PAD src0_sel:WORD_1 src1_sel:DWORD
	v_mul_u32_u24_sdwa v136, v77, v71 dst_sel:DWORD dst_unused:UNUSED_PAD src0_sel:WORD_0 src1_sel:DWORD
	v_mul_u32_u24_sdwa v134, v77, v71 dst_sel:DWORD dst_unused:UNUSED_PAD src0_sel:WORD_1 src1_sel:DWORD
	v_mul_u32_u24_sdwa v132, v78, v71 dst_sel:DWORD dst_unused:UNUSED_PAD src0_sel:WORD_0 src1_sel:DWORD
	v_mul_u32_u24_sdwa v131, v78, v71 dst_sel:DWORD dst_unused:UNUSED_PAD src0_sel:WORD_1 src1_sel:DWORD
	ds_read_b128 v[75:78], v64 offset:256
	s_waitcnt lgkmcnt(0)
	v_mul_u32_u24_sdwa v98, v75, v71 dst_sel:DWORD dst_unused:UNUSED_PAD src0_sel:WORD_0 src1_sel:DWORD
	v_mul_u32_u24_sdwa v97, v75, v71 dst_sel:DWORD dst_unused:UNUSED_PAD src0_sel:WORD_1 src1_sel:DWORD
	v_mul_u32_u24_sdwa v96, v76, v71 dst_sel:DWORD dst_unused:UNUSED_PAD src0_sel:WORD_0 src1_sel:DWORD
	v_mul_u32_u24_sdwa v95, v76, v71 dst_sel:DWORD dst_unused:UNUSED_PAD src0_sel:WORD_1 src1_sel:DWORD
	v_mul_u32_u24_sdwa v94, v77, v71 dst_sel:DWORD dst_unused:UNUSED_PAD src0_sel:WORD_0 src1_sel:DWORD
	v_mul_u32_u24_sdwa v93, v77, v71 dst_sel:DWORD dst_unused:UNUSED_PAD src0_sel:WORD_1 src1_sel:DWORD
	v_mul_u32_u24_sdwa v92, v78, v71 dst_sel:DWORD dst_unused:UNUSED_PAD src0_sel:WORD_0 src1_sel:DWORD
	v_mul_u32_u24_sdwa v91, v78, v71 dst_sel:DWORD dst_unused:UNUSED_PAD src0_sel:WORD_1 src1_sel:DWORD
	ds_read2_b64 v[75:78], v67 offset0:128 offset1:160
	;; [unrolled: 54-line block ×3, first 2 shown]
	s_waitcnt lgkmcnt(0)
	v_pk_fma_f16 v195, v75, v194, v195
	v_pk_fma_f16 v194, v76, v194, v199
	;; [unrolled: 1-line block ×32, first 2 shown]
	ds_read_b128 v[75:78], v64 offset:304
	ds_read_b128 v[187:190], v64 offset:320
	s_waitcnt lgkmcnt(1)
	v_mul_u32_u24_sdwa v180, v75, v71 dst_sel:DWORD dst_unused:UNUSED_PAD src0_sel:WORD_0 src1_sel:DWORD
	v_mul_u32_u24_sdwa v182, v75, v71 dst_sel:DWORD dst_unused:UNUSED_PAD src0_sel:WORD_1 src1_sel:DWORD
	v_mul_u32_u24_sdwa v184, v76, v71 dst_sel:DWORD dst_unused:UNUSED_PAD src0_sel:WORD_0 src1_sel:DWORD
	v_mul_u32_u24_sdwa v186, v76, v71 dst_sel:DWORD dst_unused:UNUSED_PAD src0_sel:WORD_1 src1_sel:DWORD
	;; [unrolled: 2-line block ×4, first 2 shown]
	s_waitcnt lgkmcnt(0)
	v_mul_u32_u24_sdwa v82, v187, v71 dst_sel:DWORD dst_unused:UNUSED_PAD src0_sel:WORD_0 src1_sel:DWORD
	v_mul_u32_u24_sdwa v81, v187, v71 dst_sel:DWORD dst_unused:UNUSED_PAD src0_sel:WORD_1 src1_sel:DWORD
	v_mul_u32_u24_sdwa v80, v188, v71 dst_sel:DWORD dst_unused:UNUSED_PAD src0_sel:WORD_0 src1_sel:DWORD
	v_mul_u32_u24_sdwa v79, v188, v71 dst_sel:DWORD dst_unused:UNUSED_PAD src0_sel:WORD_1 src1_sel:DWORD
	;; [unrolled: 2-line block ×4, first 2 shown]
	ds_read2_b64 v[187:190], v72 offset1:32
	s_waitcnt lgkmcnt(0)
	v_pk_fma_f16 v195, v187, v154, v195
	v_pk_fma_f16 v154, v188, v154, v194
	;; [unrolled: 1-line block ×32, first 2 shown]
	ds_read_b128 v[187:190], v64 offset:336
	s_waitcnt lgkmcnt(0)
	v_mul_u32_u24_sdwa v148, v187, v71 dst_sel:DWORD dst_unused:UNUSED_PAD src0_sel:WORD_0 src1_sel:DWORD
	v_mul_u32_u24_sdwa v149, v187, v71 dst_sel:DWORD dst_unused:UNUSED_PAD src0_sel:WORD_1 src1_sel:DWORD
	v_mul_u32_u24_sdwa v150, v188, v71 dst_sel:DWORD dst_unused:UNUSED_PAD src0_sel:WORD_0 src1_sel:DWORD
	v_mul_u32_u24_sdwa v154, v188, v71 dst_sel:DWORD dst_unused:UNUSED_PAD src0_sel:WORD_1 src1_sel:DWORD
	;; [unrolled: 2-line block ×4, first 2 shown]
	ds_read_b128 v[187:190], v64 offset:352
	s_waitcnt lgkmcnt(0)
	v_mul_u32_u24_sdwa v147, v187, v71 dst_sel:DWORD dst_unused:UNUSED_PAD src0_sel:WORD_0 src1_sel:DWORD
	v_mul_u32_u24_sdwa v146, v187, v71 dst_sel:DWORD dst_unused:UNUSED_PAD src0_sel:WORD_1 src1_sel:DWORD
	v_mul_u32_u24_sdwa v145, v188, v71 dst_sel:DWORD dst_unused:UNUSED_PAD src0_sel:WORD_0 src1_sel:DWORD
	v_mul_u32_u24_sdwa v141, v188, v71 dst_sel:DWORD dst_unused:UNUSED_PAD src0_sel:WORD_1 src1_sel:DWORD
	;; [unrolled: 2-line block ×4, first 2 shown]
	ds_read2_b64 v[187:190], v72 offset0:64 offset1:96
	s_waitcnt lgkmcnt(0)
	v_pk_fma_f16 v195, v187, v122, v195
	v_pk_fma_f16 v122, v188, v122, v198
	;; [unrolled: 1-line block ×32, first 2 shown]
	ds_read2_b64 v[187:190], v72 offset0:128 offset1:160
	ds_read_b128 v[115:118], v64 offset:368
	s_waitcnt lgkmcnt(1)
	v_pk_fma_f16 v195, v187, v24, v195
	v_pk_fma_f16 v24, v188, v24, v198
	;; [unrolled: 1-line block ×32, first 2 shown]
	ds_read2_b64 v[187:190], v72 offset0:192 offset1:224
	ds_read_b128 v[155:158], v64 offset:400
	s_waitcnt lgkmcnt(2)
	v_mul_u32_u24_sdwa v128, v115, v71 dst_sel:DWORD dst_unused:UNUSED_PAD src0_sel:WORD_0 src1_sel:DWORD
	v_mul_u32_u24_sdwa v129, v115, v71 dst_sel:DWORD dst_unused:UNUSED_PAD src0_sel:WORD_1 src1_sel:DWORD
	v_mul_u32_u24_sdwa v130, v116, v71 dst_sel:DWORD dst_unused:UNUSED_PAD src0_sel:WORD_0 src1_sel:DWORD
	v_mul_u32_u24_sdwa v127, v116, v71 dst_sel:DWORD dst_unused:UNUSED_PAD src0_sel:WORD_1 src1_sel:DWORD
	;; [unrolled: 2-line block ×4, first 2 shown]
	ds_read_b128 v[116:119], v64 offset:384
	ds_read_b128 v[159:162], v64 offset:416
	s_waitcnt lgkmcnt(3)
	v_pk_fma_f16 v195, v187, v90, v195
	v_pk_fma_f16 v90, v188, v90, v198
	;; [unrolled: 1-line block ×32, first 2 shown]
	ds_read2_b64 v[187:190], v73 offset1:32
	ds_read_b128 v[83:86], v64 offset:432
	ds_read_b128 v[87:90], v64 offset:448
	s_waitcnt lgkmcnt(4)
	v_mul_u32_u24_sdwa v120, v116, v71 dst_sel:DWORD dst_unused:UNUSED_PAD src0_sel:WORD_0 src1_sel:DWORD
	v_mul_u32_u24_sdwa v121, v116, v71 dst_sel:DWORD dst_unused:UNUSED_PAD src0_sel:WORD_1 src1_sel:DWORD
	v_mul_u32_u24_sdwa v122, v117, v71 dst_sel:DWORD dst_unused:UNUSED_PAD src0_sel:WORD_0 src1_sel:DWORD
	v_mul_u32_u24_sdwa v123, v117, v71 dst_sel:DWORD dst_unused:UNUSED_PAD src0_sel:WORD_1 src1_sel:DWORD
	;; [unrolled: 2-line block ×8, first 2 shown]
	s_waitcnt lgkmcnt(3)
	v_mul_u32_u24_sdwa v155, v159, v71 dst_sel:DWORD dst_unused:UNUSED_PAD src0_sel:WORD_0 src1_sel:DWORD
	s_waitcnt lgkmcnt(2)
	v_pk_fma_f16 v195, v187, v98, v195
	v_pk_fma_f16 v194, v187, v97, v194
	;; [unrolled: 1-line block ×20, first 2 shown]
	ds_read2_b64 v[193:196], v73 offset0:64 offset1:96
	v_pk_fma_f16 v198, v190, v170, v98
	v_pk_fma_f16 v200, v190, v169, v97
	;; [unrolled: 1-line block ×12, first 2 shown]
	ds_read_b128 v[91:94], v64 offset:464
	ds_read_b128 v[95:98], v64 offset:480
	v_mul_u32_u24_sdwa v156, v159, v71 dst_sel:DWORD dst_unused:UNUSED_PAD src0_sel:WORD_1 src1_sel:DWORD
	v_mul_u32_u24_sdwa v157, v160, v71 dst_sel:DWORD dst_unused:UNUSED_PAD src0_sel:WORD_0 src1_sel:DWORD
	v_mul_u32_u24_sdwa v158, v160, v71 dst_sel:DWORD dst_unused:UNUSED_PAD src0_sel:WORD_1 src1_sel:DWORD
	v_mul_u32_u24_sdwa v159, v161, v71 dst_sel:DWORD dst_unused:UNUSED_PAD src0_sel:WORD_0 src1_sel:DWORD
	v_mul_u32_u24_sdwa v160, v161, v71 dst_sel:DWORD dst_unused:UNUSED_PAD src0_sel:WORD_1 src1_sel:DWORD
	s_waitcnt lgkmcnt(2)
	v_pk_fma_f16 v188, v193, v178, v188
	v_pk_fma_f16 v178, v194, v178, v198
	;; [unrolled: 1-line block ×31, first 2 shown]
	v_add_co_u32 v195, vcc_lo, s0, v29
	v_pk_fma_f16 v179, v196, v179, v171
	v_add_co_ci_u32_e64 v196, null, s1, v30, vcc_lo
	v_add_co_u32 v199, vcc_lo, v195, v70
	ds_read_b128 v[175:178], v64 offset:496
	v_add_co_ci_u32_e64 v200, null, 0, v196, vcc_lo
	v_add_co_u32 v195, vcc_lo, s0, v31
	v_add_co_ci_u32_e64 v196, null, s1, v32, vcc_lo
	v_mul_u32_u24_sdwa v161, v162, v71 dst_sel:DWORD dst_unused:UNUSED_PAD src0_sel:WORD_0 src1_sel:DWORD
	v_add_co_u32 v201, vcc_lo, v195, v70
	v_add_co_ci_u32_e64 v202, null, 0, v196, vcc_lo
	ds_read2_b64 v[195:198], v73 offset0:128 offset1:160
	v_mul_u32_u24_sdwa v162, v162, v71 dst_sel:DWORD dst_unused:UNUSED_PAD src0_sel:WORD_1 src1_sel:DWORD
	v_mul_u32_u24_sdwa v131, v83, v71 dst_sel:DWORD dst_unused:UNUSED_PAD src0_sel:WORD_0 src1_sel:DWORD
	v_mul_u32_u24_sdwa v132, v83, v71 dst_sel:DWORD dst_unused:UNUSED_PAD src0_sel:WORD_1 src1_sel:DWORD
	v_mul_u32_u24_sdwa v134, v84, v71 dst_sel:DWORD dst_unused:UNUSED_PAD src0_sel:WORD_0 src1_sel:DWORD
	v_mul_u32_u24_sdwa v136, v84, v71 dst_sel:DWORD dst_unused:UNUSED_PAD src0_sel:WORD_1 src1_sel:DWORD
	v_mul_u32_u24_sdwa v138, v85, v71 dst_sel:DWORD dst_unused:UNUSED_PAD src0_sel:WORD_0 src1_sel:DWORD
	v_mul_u32_u24_sdwa v140, v85, v71 dst_sel:DWORD dst_unused:UNUSED_PAD src0_sel:WORD_1 src1_sel:DWORD
	v_mul_u32_u24_sdwa v142, v86, v71 dst_sel:DWORD dst_unused:UNUSED_PAD src0_sel:WORD_0 src1_sel:DWORD
	v_mul_u32_u24_sdwa v144, v86, v71 dst_sel:DWORD dst_unused:UNUSED_PAD src0_sel:WORD_1 src1_sel:DWORD
	v_mul_u32_u24_sdwa v83, v87, v71 dst_sel:DWORD dst_unused:UNUSED_PAD src0_sel:WORD_0 src1_sel:DWORD
	v_mul_u32_u24_sdwa v84, v87, v71 dst_sel:DWORD dst_unused:UNUSED_PAD src0_sel:WORD_1 src1_sel:DWORD
	v_mul_u32_u24_sdwa v85, v88, v71 dst_sel:DWORD dst_unused:UNUSED_PAD src0_sel:WORD_0 src1_sel:DWORD
	v_mul_u32_u24_sdwa v86, v88, v71 dst_sel:DWORD dst_unused:UNUSED_PAD src0_sel:WORD_1 src1_sel:DWORD
	v_mul_u32_u24_sdwa v87, v89, v71 dst_sel:DWORD dst_unused:UNUSED_PAD src0_sel:WORD_0 src1_sel:DWORD
	v_mul_u32_u24_sdwa v88, v89, v71 dst_sel:DWORD dst_unused:UNUSED_PAD src0_sel:WORD_1 src1_sel:DWORD
	v_mul_u32_u24_sdwa v89, v90, v71 dst_sel:DWORD dst_unused:UNUSED_PAD src0_sel:WORD_0 src1_sel:DWORD
	v_mul_u32_u24_sdwa v90, v90, v71 dst_sel:DWORD dst_unused:UNUSED_PAD src0_sel:WORD_1 src1_sel:DWORD
	s_waitcnt lgkmcnt(3)
	v_mul_u32_u24_sdwa v163, v91, v71 dst_sel:DWORD dst_unused:UNUSED_PAD src0_sel:WORD_0 src1_sel:DWORD
	v_mul_u32_u24_sdwa v164, v91, v71 dst_sel:DWORD dst_unused:UNUSED_PAD src0_sel:WORD_1 src1_sel:DWORD
	s_waitcnt lgkmcnt(0)
	v_pk_fma_f16 v186, v195, v78, v186
	v_pk_fma_f16 v78, v196, v78, v192
	;; [unrolled: 1-line block ×14, first 2 shown]
	ds_read2_b64 v[75:78], v73 offset0:192 offset1:224
	v_pk_fma_f16 v187, v195, v82, v187
	v_pk_fma_f16 v82, v196, v82, v188
	;; [unrolled: 1-line block ×18, first 2 shown]
	ds_read2_b64 v[79:82], v74 offset1:32
	s_waitcnt lgkmcnt(1)
	v_pk_fma_f16 v179, v75, v147, v187
	v_pk_fma_f16 v187, v76, v147, v148
	;; [unrolled: 1-line block ×13, first 2 shown]
	ds_read2_b64 v[145:148], v74 offset0:64 offset1:96
	v_pk_fma_f16 v139, v76, v139, v151
	ds_read2_b64 v[149:152], v74 offset0:128 offset1:160
	v_pk_fma_f16 v75, v75, v133, v181
	v_pk_fma_f16 v76, v76, v133, v143
	;; [unrolled: 1-line block ×8, first 2 shown]
	ds_read2_b64 v[179:182], v74 offset0:192 offset1:224
	s_waitcnt lgkmcnt(0)
	s_barrier
	buffer_gl0_inv
	v_pk_fma_f16 v189, v77, v127, v184
	v_pk_fma_f16 v141, v78, v127, v141
	;; [unrolled: 1-line block ×4, first 2 shown]
	global_load_dwordx4 v[126:129], v[199:200], off
	v_pk_fma_f16 v190, v77, v125, v185
	v_pk_fma_f16 v125, v78, v125, v137
	;; [unrolled: 1-line block ×3, first 2 shown]
	global_load_dwordx4 v[183:186], v[201:202], off
	v_pk_fma_f16 v124, v78, v124, v139
	v_pk_fma_f16 v75, v77, v115, v75
	v_pk_fma_f16 v76, v78, v115, v76
	v_pk_fma_f16 v77, v79, v120, v133
	v_pk_fma_f16 v78, v79, v121, v143
	v_pk_fma_f16 v115, v79, v122, v153
	v_pk_fma_f16 v133, v79, v123, v189
	v_pk_fma_f16 v120, v80, v120, v187
	v_pk_fma_f16 v121, v80, v121, v188
	v_pk_fma_f16 v122, v80, v122, v130
	v_pk_fma_f16 v123, v80, v123, v141
	v_pk_fma_f16 v130, v79, v116, v154
	v_pk_fma_f16 v139, v79, v117, v190
	v_pk_fma_f16 v137, v79, v118, v137
	v_pk_fma_f16 v75, v79, v119, v75
	v_pk_fma_f16 v79, v80, v116, v135
	v_pk_fma_f16 v116, v80, v117, v125
	v_pk_fma_f16 v117, v80, v118, v124
	v_pk_fma_f16 v76, v80, v119, v76
	v_pk_fma_f16 v77, v81, v17, v77
	v_pk_fma_f16 v78, v81, v18, v78
	v_pk_fma_f16 v80, v81, v19, v115
	v_pk_fma_f16 v115, v81, v24, v133
	v_pk_fma_f16 v17, v82, v17, v120
	v_pk_fma_f16 v18, v82, v18, v121
	v_pk_fma_f16 v19, v82, v19, v122
	v_pk_fma_f16 v24, v82, v24, v123
	v_pk_fma_f16 v118, v81, v23, v130
	v_pk_fma_f16 v23, v82, v23, v79
	v_pk_fma_f16 v79, v81, v22, v139
	v_pk_fma_f16 v22, v82, v22, v116
	v_pk_fma_f16 v116, v81, v21, v137
	v_pk_fma_f16 v21, v82, v21, v117
	v_pk_fma_f16 v75, v81, v20, v75
	v_pk_fma_f16 v20, v82, v20, v76
	v_pk_fma_f16 v76, v145, v155, v77
	v_pk_fma_f16 v77, v145, v156, v78
	v_pk_fma_f16 v78, v145, v157, v80
	v_pk_fma_f16 v80, v145, v158, v115
	v_pk_fma_f16 v81, v145, v159, v118
	v_pk_fma_f16 v79, v145, v160, v79
	v_pk_fma_f16 v82, v145, v161, v116
	v_pk_fma_f16 v75, v145, v162, v75
	v_pk_fma_f16 v17, v146, v155, v17
	v_pk_fma_f16 v18, v146, v156, v18
	v_pk_fma_f16 v19, v146, v157, v19
	v_pk_fma_f16 v24, v146, v158, v24
	v_pk_fma_f16 v23, v146, v159, v23
	v_pk_fma_f16 v22, v146, v160, v22
	v_pk_fma_f16 v21, v146, v161, v21
	v_pk_fma_f16 v20, v146, v162, v20
	v_pk_fma_f16 v76, v147, v131, v76
	v_pk_fma_f16 v77, v147, v132, v77
	v_pk_fma_f16 v78, v147, v134, v78
	v_pk_fma_f16 v80, v147, v136, v80
	v_pk_fma_f16 v81, v147, v138, v81
	v_pk_fma_f16 v79, v147, v140, v79
	v_pk_fma_f16 v82, v147, v142, v82
	v_pk_fma_f16 v75, v147, v144, v75
	v_pk_fma_f16 v17, v148, v131, v17
	v_pk_fma_f16 v18, v148, v132, v18
	v_pk_fma_f16 v19, v148, v134, v19
	v_pk_fma_f16 v24, v148, v136, v24
	v_pk_fma_f16 v23, v148, v138, v23
	v_pk_fma_f16 v22, v148, v140, v22
	v_pk_fma_f16 v21, v148, v142, v21
	v_pk_fma_f16 v20, v148, v144, v20
	v_mul_u32_u24_sdwa v165, v92, v71 dst_sel:DWORD dst_unused:UNUSED_PAD src0_sel:WORD_0 src1_sel:DWORD
	v_mul_u32_u24_sdwa v166, v92, v71 dst_sel:DWORD dst_unused:UNUSED_PAD src0_sel:WORD_1 src1_sel:DWORD
	v_mul_u32_u24_sdwa v167, v93, v71 dst_sel:DWORD dst_unused:UNUSED_PAD src0_sel:WORD_0 src1_sel:DWORD
	v_mul_u32_u24_sdwa v168, v93, v71 dst_sel:DWORD dst_unused:UNUSED_PAD src0_sel:WORD_1 src1_sel:DWORD
	;; [unrolled: 2-line block ×3, first 2 shown]
	v_pk_fma_f16 v76, v149, v83, v76
	v_pk_fma_f16 v77, v149, v84, v77
	;; [unrolled: 1-line block ×16, first 2 shown]
	v_mul_u32_u24_sdwa v91, v95, v71 dst_sel:DWORD dst_unused:UNUSED_PAD src0_sel:WORD_0 src1_sel:DWORD
	v_mul_u32_u24_sdwa v92, v95, v71 dst_sel:DWORD dst_unused:UNUSED_PAD src0_sel:WORD_1 src1_sel:DWORD
	v_mul_u32_u24_sdwa v93, v96, v71 dst_sel:DWORD dst_unused:UNUSED_PAD src0_sel:WORD_0 src1_sel:DWORD
	v_mul_u32_u24_sdwa v94, v96, v71 dst_sel:DWORD dst_unused:UNUSED_PAD src0_sel:WORD_1 src1_sel:DWORD
	;; [unrolled: 2-line block ×4, first 2 shown]
	v_pk_fma_f16 v76, v151, v163, v76
	v_pk_fma_f16 v77, v151, v164, v77
	;; [unrolled: 1-line block ×16, first 2 shown]
	v_mul_u32_u24_sdwa v171, v175, v71 dst_sel:DWORD dst_unused:UNUSED_PAD src0_sel:WORD_0 src1_sel:DWORD
	v_mul_u32_u24_sdwa v172, v175, v71 dst_sel:DWORD dst_unused:UNUSED_PAD src0_sel:WORD_1 src1_sel:DWORD
	v_mul_u32_u24_sdwa v173, v176, v71 dst_sel:DWORD dst_unused:UNUSED_PAD src0_sel:WORD_0 src1_sel:DWORD
	v_mul_u32_u24_sdwa v174, v176, v71 dst_sel:DWORD dst_unused:UNUSED_PAD src0_sel:WORD_1 src1_sel:DWORD
	;; [unrolled: 2-line block ×4, first 2 shown]
	v_pk_fma_f16 v76, v179, v91, v76
	v_pk_fma_f16 v77, v179, v92, v77
	v_pk_fma_f16 v78, v179, v93, v78
	v_pk_fma_f16 v80, v179, v94, v80
	v_pk_fma_f16 v81, v179, v95, v81
	v_pk_fma_f16 v79, v179, v96, v79
	v_pk_fma_f16 v82, v179, v97, v82
	v_pk_fma_f16 v75, v179, v98, v75
	v_pk_fma_f16 v83, v180, v91, v17
	v_pk_fma_f16 v84, v180, v92, v18
	v_pk_fma_f16 v85, v180, v93, v19
	v_pk_fma_f16 v86, v180, v94, v24
	v_pk_fma_f16 v87, v180, v95, v23
	v_pk_fma_f16 v88, v180, v96, v22
	v_pk_fma_f16 v89, v180, v97, v21
	v_pk_fma_f16 v90, v180, v98, v20
	v_pk_fma_f16 v24, v181, v171, v76
	v_pk_fma_f16 v23, v181, v172, v77
	v_pk_fma_f16 v22, v181, v173, v78
	v_pk_fma_f16 v21, v181, v174, v80
	v_pk_fma_f16 v20, v181, v175, v81
	v_pk_fma_f16 v19, v181, v176, v79
	v_pk_fma_f16 v18, v181, v177, v82
	v_pk_fma_f16 v17, v181, v178, v75
	v_pk_fma_f16 v82, v182, v171, v83
	v_pk_fma_f16 v81, v182, v172, v84
	v_pk_fma_f16 v80, v182, v173, v85
	v_pk_fma_f16 v79, v182, v174, v86
	v_pk_fma_f16 v78, v182, v175, v87
	v_pk_fma_f16 v77, v182, v176, v88
	v_pk_fma_f16 v76, v182, v177, v89
	v_pk_fma_f16 v75, v182, v178, v90
	s_waitcnt vmcnt(1)
	ds_write_b128 v65, v[126:129]
	s_waitcnt vmcnt(0)
	ds_write_b128 v66, v[183:186]
	s_waitcnt lgkmcnt(0)
	s_barrier
	buffer_gl0_inv
	ds_read_b128 v[83:86], v64 offset:512
	ds_read_b128 v[87:90], v64 offset:528
	;; [unrolled: 1-line block ×11, first 2 shown]
	ds_read2_b64 v[9:12], v73 offset1:32
	s_waitcnt lgkmcnt(11)
	v_mul_u32_u24_sdwa v170, v85, v71 dst_sel:DWORD dst_unused:UNUSED_PAD src0_sel:WORD_0 src1_sel:DWORD
	v_mul_u32_u24_sdwa v171, v85, v71 dst_sel:DWORD dst_unused:UNUSED_PAD src0_sel:WORD_1 src1_sel:DWORD
	v_mul_u32_u24_sdwa v172, v86, v71 dst_sel:DWORD dst_unused:UNUSED_PAD src0_sel:WORD_0 src1_sel:DWORD
	v_mul_u32_u24_sdwa v173, v86, v71 dst_sel:DWORD dst_unused:UNUSED_PAD src0_sel:WORD_1 src1_sel:DWORD
	s_waitcnt lgkmcnt(10)
	v_mul_u32_u24_sdwa v174, v87, v71 dst_sel:DWORD dst_unused:UNUSED_PAD src0_sel:WORD_0 src1_sel:DWORD
	v_mul_u32_u24_sdwa v175, v87, v71 dst_sel:DWORD dst_unused:UNUSED_PAD src0_sel:WORD_1 src1_sel:DWORD
	v_mul_u32_u24_sdwa v176, v88, v71 dst_sel:DWORD dst_unused:UNUSED_PAD src0_sel:WORD_0 src1_sel:DWORD
	v_mul_u32_u24_sdwa v177, v88, v71 dst_sel:DWORD dst_unused:UNUSED_PAD src0_sel:WORD_1 src1_sel:DWORD
	;; [unrolled: 5-line block ×3, first 2 shown]
	v_mul_u32_u24_sdwa v135, v146, v71 dst_sel:DWORD dst_unused:UNUSED_PAD src0_sel:WORD_0 src1_sel:DWORD
	v_mul_u32_u24_sdwa v134, v146, v71 dst_sel:DWORD dst_unused:UNUSED_PAD src0_sel:WORD_1 src1_sel:DWORD
	v_mul_u32_u24_sdwa v133, v147, v71 dst_sel:DWORD dst_unused:UNUSED_PAD src0_sel:WORD_0 src1_sel:DWORD
	v_mul_u32_u24_sdwa v132, v147, v71 dst_sel:DWORD dst_unused:UNUSED_PAD src0_sel:WORD_1 src1_sel:DWORD
	s_waitcnt lgkmcnt(1)
	v_mul_u32_u24_sdwa v162, v163, v71 dst_sel:DWORD dst_unused:UNUSED_PAD src0_sel:WORD_0 src1_sel:DWORD
	v_mul_u32_u24_sdwa v161, v163, v71 dst_sel:DWORD dst_unused:UNUSED_PAD src0_sel:WORD_1 src1_sel:DWORD
	v_mul_u32_u24_sdwa v160, v164, v71 dst_sel:DWORD dst_unused:UNUSED_PAD src0_sel:WORD_0 src1_sel:DWORD
	v_mul_u32_u24_sdwa v159, v164, v71 dst_sel:DWORD dst_unused:UNUSED_PAD src0_sel:WORD_1 src1_sel:DWORD
	;; [unrolled: 2-line block ×4, first 2 shown]
	ds_read_b128 v[144:147], v64 offset:688
	ds_read_b128 v[163:166], v64 offset:704
	v_mul_u32_u24_sdwa v202, v93, v71 dst_sel:DWORD dst_unused:UNUSED_PAD src0_sel:WORD_0 src1_sel:DWORD
	v_mul_u32_u24_sdwa v203, v93, v71 dst_sel:DWORD dst_unused:UNUSED_PAD src0_sel:WORD_1 src1_sel:DWORD
	v_mul_u32_u24_sdwa v204, v94, v71 dst_sel:DWORD dst_unused:UNUSED_PAD src0_sel:WORD_0 src1_sel:DWORD
	v_mul_u32_u24_sdwa v205, v94, v71 dst_sel:DWORD dst_unused:UNUSED_PAD src0_sel:WORD_1 src1_sel:DWORD
	;; [unrolled: 2-line block ×16, first 2 shown]
	s_waitcnt lgkmcnt(1)
	v_mul_u32_u24_sdwa v186, v144, v71 dst_sel:DWORD dst_unused:UNUSED_PAD src0_sel:WORD_0 src1_sel:DWORD
	v_mul_u32_u24_sdwa v185, v144, v71 dst_sel:DWORD dst_unused:UNUSED_PAD src0_sel:WORD_1 src1_sel:DWORD
	v_mul_u32_u24_sdwa v184, v145, v71 dst_sel:DWORD dst_unused:UNUSED_PAD src0_sel:WORD_0 src1_sel:DWORD
	v_mul_u32_u24_sdwa v183, v145, v71 dst_sel:DWORD dst_unused:UNUSED_PAD src0_sel:WORD_1 src1_sel:DWORD
	;; [unrolled: 2-line block ×4, first 2 shown]
	s_waitcnt lgkmcnt(0)
	v_mul_u32_u24_sdwa v151, v163, v71 dst_sel:DWORD dst_unused:UNUSED_PAD src0_sel:WORD_0 src1_sel:DWORD
	v_mul_u32_u24_sdwa v150, v163, v71 dst_sel:DWORD dst_unused:UNUSED_PAD src0_sel:WORD_1 src1_sel:DWORD
	v_mul_u32_u24_sdwa v149, v164, v71 dst_sel:DWORD dst_unused:UNUSED_PAD src0_sel:WORD_0 src1_sel:DWORD
	v_mul_u32_u24_sdwa v148, v164, v71 dst_sel:DWORD dst_unused:UNUSED_PAD src0_sel:WORD_1 src1_sel:DWORD
	;; [unrolled: 2-line block ×4, first 2 shown]
	ds_read2_b64 v[163:166], v67 offset1:32
	v_mul_u32_u24_sdwa v131, v83, v71 dst_sel:DWORD dst_unused:UNUSED_PAD src0_sel:WORD_0 src1_sel:DWORD
	v_mul_u32_u24_sdwa v167, v83, v71 dst_sel:DWORD dst_unused:UNUSED_PAD src0_sel:WORD_1 src1_sel:DWORD
	v_mul_u32_u24_sdwa v168, v84, v71 dst_sel:DWORD dst_unused:UNUSED_PAD src0_sel:WORD_0 src1_sel:DWORD
	v_mul_u32_u24_sdwa v169, v84, v71 dst_sel:DWORD dst_unused:UNUSED_PAD src0_sel:WORD_1 src1_sel:DWORD
	;; [unrolled: 2-line block ×9, first 2 shown]
	v_mul_u32_u24_sdwa v188, v118, v71 dst_sel:DWORD dst_unused:UNUSED_PAD src0_sel:WORD_0 src1_sel:DWORD
	s_waitcnt lgkmcnt(0)
	v_pk_fma_f16 v24, v163, v131, v24
	v_pk_fma_f16 v23, v163, v167, v23
	;; [unrolled: 1-line block ×24, first 2 shown]
	ds_read_b128 v[17:20], v64 offset:720
	v_pk_fma_f16 v82, v166, v174, v82
	v_pk_fma_f16 v81, v166, v175, v81
	;; [unrolled: 1-line block ×5, first 2 shown]
	v_mul_u32_u24_sdwa v187, v118, v71 dst_sel:DWORD dst_unused:UNUSED_PAD src0_sel:WORD_1 src1_sel:DWORD
	v_mul_u32_u24_sdwa v90, v119, v71 dst_sel:DWORD dst_unused:UNUSED_PAD src0_sel:WORD_0 src1_sel:DWORD
	v_mul_u32_u24_sdwa v89, v119, v71 dst_sel:DWORD dst_unused:UNUSED_PAD src0_sel:WORD_1 src1_sel:DWORD
	v_mul_u32_u24_sdwa v84, v122, v71 dst_sel:DWORD dst_unused:UNUSED_PAD src0_sel:WORD_0 src1_sel:DWORD
	v_mul_u32_u24_sdwa v83, v122, v71 dst_sel:DWORD dst_unused:UNUSED_PAD src0_sel:WORD_1 src1_sel:DWORD
	v_mul_u32_u24_sdwa v152, v124, v71 dst_sel:DWORD dst_unused:UNUSED_PAD src0_sel:WORD_0 src1_sel:DWORD
	v_mul_u32_u24_sdwa v143, v124, v71 dst_sel:DWORD dst_unused:UNUSED_PAD src0_sel:WORD_1 src1_sel:DWORD
	v_mul_u32_u24_sdwa v136, v126, v71 dst_sel:DWORD dst_unused:UNUSED_PAD src0_sel:WORD_0 src1_sel:DWORD
	v_mul_u32_u24_sdwa v116, v126, v71 dst_sel:DWORD dst_unused:UNUSED_PAD src0_sel:WORD_1 src1_sel:DWORD
	v_mul_u32_u24_sdwa v97, v128, v71 dst_sel:DWORD dst_unused:UNUSED_PAD src0_sel:WORD_0 src1_sel:DWORD
	v_mul_u32_u24_sdwa v95, v128, v71 dst_sel:DWORD dst_unused:UNUSED_PAD src0_sel:WORD_1 src1_sel:DWORD
	v_mul_u32_u24_sdwa v92, v130, v71 dst_sel:DWORD dst_unused:UNUSED_PAD src0_sel:WORD_0 src1_sel:DWORD
	v_mul_u32_u24_sdwa v91, v130, v71 dst_sel:DWORD dst_unused:UNUSED_PAD src0_sel:WORD_1 src1_sel:DWORD
	v_pk_fma_f16 v77, v166, v195, v77
	s_waitcnt lgkmcnt(0)
	v_mul_u32_u24_sdwa v178, v17, v71 dst_sel:DWORD dst_unused:UNUSED_PAD src0_sel:WORD_0 src1_sel:DWORD
	v_mul_u32_u24_sdwa v177, v17, v71 dst_sel:DWORD dst_unused:UNUSED_PAD src0_sel:WORD_1 src1_sel:DWORD
	v_mul_u32_u24_sdwa v176, v18, v71 dst_sel:DWORD dst_unused:UNUSED_PAD src0_sel:WORD_0 src1_sel:DWORD
	v_mul_u32_u24_sdwa v175, v18, v71 dst_sel:DWORD dst_unused:UNUSED_PAD src0_sel:WORD_1 src1_sel:DWORD
	;; [unrolled: 2-line block ×4, first 2 shown]
	ds_read_b128 v[17:20], v64 offset:736
	v_pk_fma_f16 v76, v166, v196, v76
	v_pk_fma_f16 v75, v166, v197, v75
	s_waitcnt lgkmcnt(0)
	v_mul_u32_u24_sdwa v131, v17, v71 dst_sel:DWORD dst_unused:UNUSED_PAD src0_sel:WORD_0 src1_sel:DWORD
	v_mul_u32_u24_sdwa v130, v17, v71 dst_sel:DWORD dst_unused:UNUSED_PAD src0_sel:WORD_1 src1_sel:DWORD
	v_mul_u32_u24_sdwa v128, v18, v71 dst_sel:DWORD dst_unused:UNUSED_PAD src0_sel:WORD_0 src1_sel:DWORD
	v_mul_u32_u24_sdwa v126, v18, v71 dst_sel:DWORD dst_unused:UNUSED_PAD src0_sel:WORD_1 src1_sel:DWORD
	;; [unrolled: 2-line block ×4, first 2 shown]
	ds_read2_b64 v[17:20], v67 offset0:64 offset1:96
	s_waitcnt lgkmcnt(0)
	v_pk_fma_f16 v24, v17, v198, v24
	v_pk_fma_f16 v82, v18, v198, v82
	v_pk_fma_f16 v23, v17, v199, v23
	v_pk_fma_f16 v81, v18, v199, v81
	v_pk_fma_f16 v22, v17, v200, v22
	v_pk_fma_f16 v80, v18, v200, v80
	v_pk_fma_f16 v21, v17, v201, v21
	v_pk_fma_f16 v79, v18, v201, v79
	v_pk_fma_f16 v163, v17, v202, v163
	v_pk_fma_f16 v78, v18, v202, v78
	v_pk_fma_f16 v164, v17, v203, v164
	v_pk_fma_f16 v77, v18, v203, v77
	v_pk_fma_f16 v166, v17, v204, v167
	v_pk_fma_f16 v76, v18, v204, v76
	v_pk_fma_f16 v17, v17, v205, v165
	v_pk_fma_f16 v18, v18, v205, v75
	v_pk_fma_f16 v195, v19, v206, v24
	v_pk_fma_f16 v82, v20, v206, v82
	v_pk_fma_f16 v196, v19, v207, v23
	v_pk_fma_f16 v81, v20, v207, v81
	v_pk_fma_f16 v197, v19, v208, v22
	v_pk_fma_f16 v80, v20, v208, v80
	v_pk_fma_f16 v198, v19, v209, v21
	v_pk_fma_f16 v79, v20, v209, v79
	v_pk_fma_f16 v199, v19, v210, v163
	v_pk_fma_f16 v200, v20, v210, v78
	v_pk_fma_f16 v201, v19, v211, v164
	v_pk_fma_f16 v202, v20, v211, v77
	v_pk_fma_f16 v203, v19, v212, v166
	v_pk_fma_f16 v204, v20, v212, v76
	v_pk_fma_f16 v205, v19, v213, v17
	v_pk_fma_f16 v206, v20, v213, v18
	ds_read_b128 v[17:20], v64 offset:752
	ds_read_b128 v[75:78], v64 offset:768
	s_waitcnt lgkmcnt(1)
	v_mul_u32_u24_sdwa v170, v17, v71 dst_sel:DWORD dst_unused:UNUSED_PAD src0_sel:WORD_0 src1_sel:DWORD
	v_mul_u32_u24_sdwa v169, v17, v71 dst_sel:DWORD dst_unused:UNUSED_PAD src0_sel:WORD_1 src1_sel:DWORD
	v_mul_u32_u24_sdwa v168, v18, v71 dst_sel:DWORD dst_unused:UNUSED_PAD src0_sel:WORD_0 src1_sel:DWORD
	v_mul_u32_u24_sdwa v167, v18, v71 dst_sel:DWORD dst_unused:UNUSED_PAD src0_sel:WORD_1 src1_sel:DWORD
	;; [unrolled: 2-line block ×4, first 2 shown]
	s_waitcnt lgkmcnt(0)
	v_mul_u32_u24_sdwa v24, v75, v71 dst_sel:DWORD dst_unused:UNUSED_PAD src0_sel:WORD_0 src1_sel:DWORD
	v_mul_u32_u24_sdwa v23, v75, v71 dst_sel:DWORD dst_unused:UNUSED_PAD src0_sel:WORD_1 src1_sel:DWORD
	v_mul_u32_u24_sdwa v22, v76, v71 dst_sel:DWORD dst_unused:UNUSED_PAD src0_sel:WORD_0 src1_sel:DWORD
	v_mul_u32_u24_sdwa v21, v76, v71 dst_sel:DWORD dst_unused:UNUSED_PAD src0_sel:WORD_1 src1_sel:DWORD
	v_mul_u32_u24_sdwa v20, v77, v71 dst_sel:DWORD dst_unused:UNUSED_PAD src0_sel:WORD_0 src1_sel:DWORD
	v_mul_u32_u24_sdwa v19, v77, v71 dst_sel:DWORD dst_unused:UNUSED_PAD src0_sel:WORD_1 src1_sel:DWORD
	v_mul_u32_u24_sdwa v18, v78, v71 dst_sel:DWORD dst_unused:UNUSED_PAD src0_sel:WORD_0 src1_sel:DWORD
	v_mul_u32_u24_sdwa v17, v78, v71 dst_sel:DWORD dst_unused:UNUSED_PAD src0_sel:WORD_1 src1_sel:DWORD
	ds_read2_b64 v[75:78], v67 offset0:128 offset1:160
	s_waitcnt lgkmcnt(0)
	v_pk_fma_f16 v195, v75, v194, v195
	v_pk_fma_f16 v82, v76, v194, v82
	;; [unrolled: 1-line block ×32, first 2 shown]
	ds_read_b128 v[75:78], v64 offset:784
	ds_read_b128 v[187:190], v64 offset:800
	s_waitcnt lgkmcnt(1)
	v_mul_u32_u24_sdwa v87, v75, v71 dst_sel:DWORD dst_unused:UNUSED_PAD src0_sel:WORD_0 src1_sel:DWORD
	v_mul_u32_u24_sdwa v86, v75, v71 dst_sel:DWORD dst_unused:UNUSED_PAD src0_sel:WORD_1 src1_sel:DWORD
	v_mul_u32_u24_sdwa v85, v76, v71 dst_sel:DWORD dst_unused:UNUSED_PAD src0_sel:WORD_0 src1_sel:DWORD
	v_mul_u32_u24_sdwa v84, v76, v71 dst_sel:DWORD dst_unused:UNUSED_PAD src0_sel:WORD_1 src1_sel:DWORD
	;; [unrolled: 2-line block ×3, first 2 shown]
	s_waitcnt lgkmcnt(0)
	v_mul_u32_u24_sdwa v90, v187, v71 dst_sel:DWORD dst_unused:UNUSED_PAD src0_sel:WORD_0 src1_sel:DWORD
	v_mul_u32_u24_sdwa v89, v187, v71 dst_sel:DWORD dst_unused:UNUSED_PAD src0_sel:WORD_1 src1_sel:DWORD
	v_mul_u32_u24_sdwa v88, v188, v71 dst_sel:DWORD dst_unused:UNUSED_PAD src0_sel:WORD_0 src1_sel:DWORD
	v_mul_u32_u24_sdwa v81, v188, v71 dst_sel:DWORD dst_unused:UNUSED_PAD src0_sel:WORD_1 src1_sel:DWORD
	;; [unrolled: 2-line block ×4, first 2 shown]
	ds_read2_b64 v[187:190], v67 offset0:192 offset1:224
	v_mul_u32_u24_sdwa v80, v78, v71 dst_sel:DWORD dst_unused:UNUSED_PAD src0_sel:WORD_0 src1_sel:DWORD
	v_mul_u32_u24_sdwa v78, v78, v71 dst_sel:DWORD dst_unused:UNUSED_PAD src0_sel:WORD_1 src1_sel:DWORD
	s_waitcnt lgkmcnt(0)
	v_pk_fma_f16 v195, v187, v154, v195
	v_pk_fma_f16 v154, v188, v154, v198
	;; [unrolled: 1-line block ×32, first 2 shown]
	ds_read2_b64 v[187:190], v72 offset1:32
	ds_read_b128 v[91:94], v64 offset:816
	s_waitcnt lgkmcnt(1)
	v_pk_fma_f16 v195, v187, v142, v195
	v_pk_fma_f16 v142, v188, v142, v198
	;; [unrolled: 1-line block ×32, first 2 shown]
	ds_read2_b64 v[187:190], v72 offset0:64 offset1:96
	ds_read_b128 v[132:135], v64 offset:848
	s_waitcnt lgkmcnt(2)
	v_mul_u32_u24_sdwa v152, v91, v71 dst_sel:DWORD dst_unused:UNUSED_PAD src0_sel:WORD_0 src1_sel:DWORD
	v_mul_u32_u24_sdwa v153, v91, v71 dst_sel:DWORD dst_unused:UNUSED_PAD src0_sel:WORD_1 src1_sel:DWORD
	v_mul_u32_u24_sdwa v154, v92, v71 dst_sel:DWORD dst_unused:UNUSED_PAD src0_sel:WORD_0 src1_sel:DWORD
	v_mul_u32_u24_sdwa v143, v92, v71 dst_sel:DWORD dst_unused:UNUSED_PAD src0_sel:WORD_1 src1_sel:DWORD
	;; [unrolled: 2-line block ×4, first 2 shown]
	ds_read_b128 v[91:94], v64 offset:832
	s_waitcnt lgkmcnt(2)
	v_pk_fma_f16 v195, v187, v162, v195
	v_pk_fma_f16 v162, v188, v162, v198
	;; [unrolled: 1-line block ×32, first 2 shown]
	ds_read2_b64 v[187:190], v72 offset0:128 offset1:160
	s_waitcnt lgkmcnt(2)
	v_mul_u32_u24_sdwa v96, v132, v71 dst_sel:DWORD dst_unused:UNUSED_PAD src0_sel:WORD_0 src1_sel:DWORD
	v_mul_u32_u24_sdwa v117, v132, v71 dst_sel:DWORD dst_unused:UNUSED_PAD src0_sel:WORD_1 src1_sel:DWORD
	v_mul_u32_u24_sdwa v120, v133, v71 dst_sel:DWORD dst_unused:UNUSED_PAD src0_sel:WORD_0 src1_sel:DWORD
	v_mul_u32_u24_sdwa v129, v133, v71 dst_sel:DWORD dst_unused:UNUSED_PAD src0_sel:WORD_1 src1_sel:DWORD
	;; [unrolled: 2-line block ×4, first 2 shown]
	ds_read_b128 v[132:135], v64 offset:864
	ds_read_b128 v[159:162], v64 offset:880
	;; [unrolled: 1-line block ×3, first 2 shown]
	s_waitcnt lgkmcnt(4)
	v_mul_u32_u24_sdwa v116, v91, v71 dst_sel:DWORD dst_unused:UNUSED_PAD src0_sel:WORD_0 src1_sel:DWORD
	v_mul_u32_u24_sdwa v98, v91, v71 dst_sel:DWORD dst_unused:UNUSED_PAD src0_sel:WORD_1 src1_sel:DWORD
	v_mul_u32_u24_sdwa v97, v92, v71 dst_sel:DWORD dst_unused:UNUSED_PAD src0_sel:WORD_0 src1_sel:DWORD
	v_mul_u32_u24_sdwa v95, v92, v71 dst_sel:DWORD dst_unused:UNUSED_PAD src0_sel:WORD_1 src1_sel:DWORD
	;; [unrolled: 2-line block ×4, first 2 shown]
	s_waitcnt lgkmcnt(3)
	v_pk_fma_f16 v195, v187, v151, v195
	v_pk_fma_f16 v151, v188, v151, v198
	;; [unrolled: 1-line block ×32, first 2 shown]
	ds_read2_b64 v[187:190], v72 offset0:192 offset1:224
	ds_read_b128 v[148:151], v64 offset:912
	ds_read_b128 v[175:178], v64 offset:928
	s_waitcnt lgkmcnt(5)
	v_mul_u32_u24_sdwa v139, v132, v71 dst_sel:DWORD dst_unused:UNUSED_PAD src0_sel:WORD_0 src1_sel:DWORD
	v_mul_u32_u24_sdwa v140, v132, v71 dst_sel:DWORD dst_unused:UNUSED_PAD src0_sel:WORD_1 src1_sel:DWORD
	v_mul_u32_u24_sdwa v141, v133, v71 dst_sel:DWORD dst_unused:UNUSED_PAD src0_sel:WORD_0 src1_sel:DWORD
	v_mul_u32_u24_sdwa v142, v133, v71 dst_sel:DWORD dst_unused:UNUSED_PAD src0_sel:WORD_1 src1_sel:DWORD
	;; [unrolled: 2-line block ×4, first 2 shown]
	s_waitcnt lgkmcnt(4)
	v_mul_u32_u24_sdwa v155, v159, v71 dst_sel:DWORD dst_unused:UNUSED_PAD src0_sel:WORD_0 src1_sel:DWORD
	v_mul_u32_u24_sdwa v156, v159, v71 dst_sel:DWORD dst_unused:UNUSED_PAD src0_sel:WORD_1 src1_sel:DWORD
	v_mul_u32_u24_sdwa v157, v160, v71 dst_sel:DWORD dst_unused:UNUSED_PAD src0_sel:WORD_0 src1_sel:DWORD
	v_mul_u32_u24_sdwa v158, v160, v71 dst_sel:DWORD dst_unused:UNUSED_PAD src0_sel:WORD_1 src1_sel:DWORD
	;; [unrolled: 2-line block ×4, first 2 shown]
	s_waitcnt lgkmcnt(3)
	v_mul_u32_u24_sdwa v179, v183, v71 dst_sel:DWORD dst_unused:UNUSED_PAD src0_sel:WORD_0 src1_sel:DWORD
	s_waitcnt lgkmcnt(2)
	v_pk_fma_f16 v195, v187, v131, v195
	v_pk_fma_f16 v131, v188, v131, v198
	;; [unrolled: 1-line block ×64, first 2 shown]
	ds_read2_b64 v[9:12], v73 offset0:64 offset1:96
	ds_read_b128 v[187:190], v64 offset:976
	ds_read_b128 v[191:194], v64 offset:1008
	;; [unrolled: 1-line block ×4, first 2 shown]
	v_mul_u32_u24_sdwa v180, v183, v71 dst_sel:DWORD dst_unused:UNUSED_PAD src0_sel:WORD_1 src1_sel:DWORD
	v_mul_u32_u24_sdwa v181, v184, v71 dst_sel:DWORD dst_unused:UNUSED_PAD src0_sel:WORD_0 src1_sel:DWORD
	v_mul_u32_u24_sdwa v182, v184, v71 dst_sel:DWORD dst_unused:UNUSED_PAD src0_sel:WORD_1 src1_sel:DWORD
	v_mul_u32_u24_sdwa v183, v185, v71 dst_sel:DWORD dst_unused:UNUSED_PAD src0_sel:WORD_0 src1_sel:DWORD
	;; [unrolled: 2-line block ×3, first 2 shown]
	v_mul_u32_u24_sdwa v186, v186, v71 dst_sel:DWORD dst_unused:UNUSED_PAD src0_sel:WORD_1 src1_sel:DWORD
	s_waitcnt lgkmcnt(6)
	v_mul_u32_u24_sdwa v144, v148, v71 dst_sel:DWORD dst_unused:UNUSED_PAD src0_sel:WORD_0 src1_sel:DWORD
	v_mul_u32_u24_sdwa v145, v148, v71 dst_sel:DWORD dst_unused:UNUSED_PAD src0_sel:WORD_1 src1_sel:DWORD
	v_mul_u32_u24_sdwa v146, v149, v71 dst_sel:DWORD dst_unused:UNUSED_PAD src0_sel:WORD_0 src1_sel:DWORD
	v_mul_u32_u24_sdwa v147, v149, v71 dst_sel:DWORD dst_unused:UNUSED_PAD src0_sel:WORD_1 src1_sel:DWORD
	;; [unrolled: 2-line block ×4, first 2 shown]
	s_waitcnt lgkmcnt(4)
	v_pk_fma_f16 v84, v9, v90, v13
	v_pk_fma_f16 v85, v10, v90, v14
	;; [unrolled: 1-line block ×4, first 2 shown]
	ds_read2_b64 v[13:16], v73 offset0:128 offset1:160
	v_pk_fma_f16 v89, v9, v88, v17
	v_pk_fma_f16 v22, v10, v88, v22
	;; [unrolled: 1-line block ×10, first 2 shown]
	ds_read2_b64 v[17:20], v73 offset0:192 offset1:224
	v_pk_fma_f16 v9, v9, v75, v80
	v_pk_fma_f16 v10, v10, v75, v78
	;; [unrolled: 1-line block ×18, first 2 shown]
	ds_read2_b64 v[21:24], v74 offset1:32
	s_waitcnt lgkmcnt(2)
	v_pk_fma_f16 v80, v13, v116, v80
	v_pk_fma_f16 v84, v14, v116, v84
	;; [unrolled: 1-line block ×32, first 2 shown]
	ds_read2_b64 v[75:78], v74 offset0:64 offset1:96
	s_waitcnt lgkmcnt(2)
	v_pk_fma_f16 v15, v17, v139, v80
	v_pk_fma_f16 v16, v17, v140, v85
	;; [unrolled: 1-line block ×32, first 2 shown]
	ds_read2_b64 v[9:12], v74 offset0:128 offset1:160
	s_waitcnt lgkmcnt(2)
	v_pk_fma_f16 v15, v21, v179, v15
	v_pk_fma_f16 v16, v21, v180, v16
	;; [unrolled: 1-line block ×16, first 2 shown]
	v_mul_u32_u24_sdwa v171, v175, v71 dst_sel:DWORD dst_unused:UNUSED_PAD src0_sel:WORD_0 src1_sel:DWORD
	v_mul_u32_u24_sdwa v172, v175, v71 dst_sel:DWORD dst_unused:UNUSED_PAD src0_sel:WORD_1 src1_sel:DWORD
	v_mul_u32_u24_sdwa v173, v176, v71 dst_sel:DWORD dst_unused:UNUSED_PAD src0_sel:WORD_0 src1_sel:DWORD
	v_mul_u32_u24_sdwa v174, v176, v71 dst_sel:DWORD dst_unused:UNUSED_PAD src0_sel:WORD_1 src1_sel:DWORD
	;; [unrolled: 2-line block ×8, first 2 shown]
	ds_read_b128 v[187:190], v64 offset:992
	v_pk_fma_f16 v15, v23, v144, v15
	v_pk_fma_f16 v16, v23, v145, v16
	v_pk_fma_f16 v18, v23, v146, v18
	v_pk_fma_f16 v20, v23, v147, v20
	v_pk_fma_f16 v22, v23, v148, v80
	v_pk_fma_f16 v80, v23, v149, v83
	v_pk_fma_f16 v82, v23, v150, v82
	v_pk_fma_f16 v13, v23, v151, v13
	v_pk_fma_f16 v19, v24, v144, v19
	v_pk_fma_f16 v21, v24, v145, v21
	v_pk_fma_f16 v23, v24, v146, v84
	v_pk_fma_f16 v81, v24, v147, v81
	v_pk_fma_f16 v17, v24, v148, v17
	v_pk_fma_f16 v79, v24, v149, v79
	v_pk_fma_f16 v83, v24, v150, v85
	v_pk_fma_f16 v14, v24, v151, v14
	v_mul_u32_u24_sdwa v118, v163, v71 dst_sel:DWORD dst_unused:UNUSED_PAD src0_sel:WORD_0 src1_sel:DWORD
	v_mul_u32_u24_sdwa v119, v163, v71 dst_sel:DWORD dst_unused:UNUSED_PAD src0_sel:WORD_1 src1_sel:DWORD
	v_mul_u32_u24_sdwa v122, v164, v71 dst_sel:DWORD dst_unused:UNUSED_PAD src0_sel:WORD_0 src1_sel:DWORD
	v_mul_u32_u24_sdwa v124, v164, v71 dst_sel:DWORD dst_unused:UNUSED_PAD src0_sel:WORD_1 src1_sel:DWORD
	;; [unrolled: 2-line block ×4, first 2 shown]
	ds_read2_b64 v[97:100], v74 offset0:192 offset1:224
	s_waitcnt lgkmcnt(3)
	v_pk_fma_f16 v15, v75, v171, v15
	v_pk_fma_f16 v16, v75, v172, v16
	v_pk_fma_f16 v18, v75, v173, v18
	v_pk_fma_f16 v20, v75, v174, v20
	v_pk_fma_f16 v22, v75, v175, v22
	v_pk_fma_f16 v24, v75, v176, v80
	v_pk_fma_f16 v80, v75, v177, v82
	v_pk_fma_f16 v13, v75, v178, v13
	v_pk_fma_f16 v19, v76, v171, v19
	v_pk_fma_f16 v21, v76, v172, v21
	v_pk_fma_f16 v23, v76, v173, v23
	v_pk_fma_f16 v75, v76, v174, v81
	v_pk_fma_f16 v17, v76, v175, v17
	v_pk_fma_f16 v79, v76, v176, v79
	v_pk_fma_f16 v81, v76, v177, v83
	v_pk_fma_f16 v14, v76, v178, v14
	s_waitcnt lgkmcnt(0)
	s_barrier
	buffer_gl0_inv
	s_load_dword s0, s[36:37], 0x4
	v_mul_u32_u24_sdwa v163, v167, v71 dst_sel:DWORD dst_unused:UNUSED_PAD src0_sel:WORD_0 src1_sel:DWORD
	v_mul_u32_u24_sdwa v164, v167, v71 dst_sel:DWORD dst_unused:UNUSED_PAD src0_sel:WORD_1 src1_sel:DWORD
	v_mul_u32_u24_sdwa v165, v168, v71 dst_sel:DWORD dst_unused:UNUSED_PAD src0_sel:WORD_0 src1_sel:DWORD
	v_mul_u32_u24_sdwa v166, v168, v71 dst_sel:DWORD dst_unused:UNUSED_PAD src0_sel:WORD_1 src1_sel:DWORD
	;; [unrolled: 2-line block ×4, first 2 shown]
	v_pk_fma_f16 v15, v77, v118, v15
	v_pk_fma_f16 v16, v77, v119, v16
	;; [unrolled: 1-line block ×32, first 2 shown]
	v_mul_u32_u24_sdwa v195, v187, v71 dst_sel:DWORD dst_unused:UNUSED_PAD src0_sel:WORD_0 src1_sel:DWORD
	v_mul_u32_u24_sdwa v196, v187, v71 dst_sel:DWORD dst_unused:UNUSED_PAD src0_sel:WORD_1 src1_sel:DWORD
	v_mul_u32_u24_sdwa v197, v188, v71 dst_sel:DWORD dst_unused:UNUSED_PAD src0_sel:WORD_0 src1_sel:DWORD
	v_mul_u32_u24_sdwa v198, v188, v71 dst_sel:DWORD dst_unused:UNUSED_PAD src0_sel:WORD_1 src1_sel:DWORD
	;; [unrolled: 2-line block ×4, first 2 shown]
	v_pk_fma_f16 v14, v11, v203, v15
	v_pk_fma_f16 v15, v11, v204, v16
	;; [unrolled: 1-line block ×16, first 2 shown]
	v_mul_u32_u24_sdwa v187, v191, v71 dst_sel:DWORD dst_unused:UNUSED_PAD src0_sel:WORD_0 src1_sel:DWORD
	v_mul_u32_u24_sdwa v188, v191, v71 dst_sel:DWORD dst_unused:UNUSED_PAD src0_sel:WORD_1 src1_sel:DWORD
	v_mul_u32_u24_sdwa v189, v192, v71 dst_sel:DWORD dst_unused:UNUSED_PAD src0_sel:WORD_0 src1_sel:DWORD
	v_mul_u32_u24_sdwa v190, v192, v71 dst_sel:DWORD dst_unused:UNUSED_PAD src0_sel:WORD_1 src1_sel:DWORD
	;; [unrolled: 2-line block ×4, first 2 shown]
	v_pk_fma_f16 v12, v97, v195, v14
	v_pk_fma_f16 v14, v97, v196, v15
	;; [unrolled: 1-line block ×16, first 2 shown]
	s_waitcnt lgkmcnt(0)
	s_lshl_b32 s0, s0, 6
	v_pk_fma_f16 v89, v99, v187, v12
	v_pk_fma_f16 v87, v99, v188, v14
	;; [unrolled: 1-line block ×16, first 2 shown]
	s_add_i32 s43, s0, s43
	s_cmp_ge_i32 s43, s58
	s_cbranch_scc0 .LBB17_9
; %bb.10:
	v_mov_b32_e32 v9, 32
	v_mov_b32_e32 v10, v48
.LBB17_11:
	v_cmp_lt_i32_e32 vcc_lo, v52, v9
	s_cmp_lg_u64 s[44:45], 0
	s_cselect_b32 s0, -1, 0
	s_cmp_eq_u32 s34, 0
	v_cndmask_b32_e32 v11, v10, v52, vcc_lo
	v_cmp_lt_i32_e32 vcc_lo, v49, v9
	s_cselect_b32 s1, -1, 0
	s_and_b32 s0, s1, s0
	v_lshlrev_b32_e32 v11, 2, v11
	v_cndmask_b32_e32 v19, v10, v49, vcc_lo
	v_cmp_lt_i32_e32 vcc_lo, v47, v9
	ds_bpermute_b32 v12, v11, v58
	ds_bpermute_b32 v13, v11, v57
	;; [unrolled: 1-line block ×8, first 2 shown]
	v_lshlrev_b32_e32 v19, 2, v19
	v_cndmask_b32_e32 v27, v10, v47, vcc_lo
	v_cmp_lt_i32_e32 vcc_lo, v46, v9
	v_lshlrev_b32_e32 v27, 2, v27
	s_waitcnt lgkmcnt(7)
	v_add_f32_e32 v12, v58, v12
	s_waitcnt lgkmcnt(6)
	v_add_f32_e32 v13, v57, v13
	;; [unrolled: 2-line block ×8, first 2 shown]
	ds_bpermute_b32 v20, v19, v12
	ds_bpermute_b32 v21, v19, v13
	;; [unrolled: 1-line block ×8, first 2 shown]
	s_waitcnt lgkmcnt(7)
	v_add_f32_e32 v12, v12, v20
	s_waitcnt lgkmcnt(6)
	v_add_f32_e32 v13, v13, v21
	;; [unrolled: 2-line block ×8, first 2 shown]
	ds_bpermute_b32 v19, v27, v12
	ds_bpermute_b32 v20, v27, v13
	;; [unrolled: 1-line block ×8, first 2 shown]
	v_cndmask_b32_e32 v27, v10, v46, vcc_lo
	v_cmp_lt_i32_e32 vcc_lo, v45, v9
	v_lshlrev_b32_e32 v27, 2, v27
	v_cndmask_b32_e32 v9, v10, v45, vcc_lo
	s_and_b32 vcc_lo, exec_lo, s0
	v_lshlrev_b32_e32 v9, 2, v9
	s_waitcnt lgkmcnt(7)
	v_add_f32_e32 v12, v12, v19
	s_waitcnt lgkmcnt(6)
	v_add_f32_e32 v13, v13, v20
	;; [unrolled: 2-line block ×8, first 2 shown]
	ds_bpermute_b32 v19, v27, v12
	ds_bpermute_b32 v20, v27, v13
	;; [unrolled: 1-line block ×8, first 2 shown]
	s_waitcnt lgkmcnt(7)
	v_add_f32_e32 v10, v12, v19
	s_waitcnt lgkmcnt(6)
	v_add_f32_e32 v12, v13, v20
	;; [unrolled: 2-line block ×8, first 2 shown]
	ds_bpermute_b32 v11, v9, v10
	ds_bpermute_b32 v19, v9, v12
	;; [unrolled: 1-line block ×8, first 2 shown]
	s_waitcnt lgkmcnt(7)
	v_add_f32_e32 v9, v10, v11
	s_waitcnt lgkmcnt(6)
	v_add_f32_e32 v10, v12, v19
	;; [unrolled: 2-line block ×8, first 2 shown]
	s_cbranch_vccz .LBB17_14
; %bb.12:
	s_ashr_i32 s57, s56, 31
	v_mov_b32_e32 v17, 0
	s_lshl_b64 s[0:1], s[56:57], 2
	v_max_f32_e32 v18, v2, v2
	s_add_u32 s0, s44, s0
	s_addc_u32 s1, s45, s1
	v_max_f32_e32 v19, v3, v3
	global_load_dwordx4 v[26:29], v17, s[0:1]
	v_max_f32_e32 v17, v1, v1
	v_max_f32_e32 v20, v4, v4
	;; [unrolled: 1-line block ×6, first 2 shown]
	v_mov_b32_e32 v25, 0x10001
	s_waitcnt vmcnt(0)
	v_max_f32_e32 v24, v26, v26
	v_max_f32_e32 v30, v27, v27
	;; [unrolled: 1-line block ×12, first 2 shown]
	v_sub_f32_e32 v30, v1, v17
	v_sub_f32_e32 v32, v2, v18
	;; [unrolled: 1-line block ×8, first 2 shown]
	v_mov_b32_e32 v1, v17
	v_sub_f32_e32 v31, v26, v17
	v_mov_b32_e32 v2, v18
	v_mov_b32_e32 v3, v19
	;; [unrolled: 1-line block ×7, first 2 shown]
	v_mul_f32_e32 v17, 0x3fb8aa3b, v30
	v_sub_f32_e32 v44, v27, v18
	v_mul_f32_e32 v18, 0x3fb8aa3b, v31
	v_sub_f32_e32 v46, v28, v19
	v_mul_f32_e32 v19, 0x3fb8aa3b, v32
	v_fma_f32 v61, 0x3fb8aa3b, v30, -v17
	v_rndne_f32_e32 v62, v17
	v_fma_f32 v63, 0x3fb8aa3b, v31, -v18
	v_rndne_f32_e32 v64, v18
	v_sub_f32_e32 v48, v29, v20
	v_fmac_f32_e32 v61, 0x32a5705f, v30
	v_sub_f32_e32 v17, v17, v62
	v_mul_f32_e32 v20, 0x3fb8aa3b, v44
	v_fma_f32 v65, 0x3fb8aa3b, v32, -v19
	v_rndne_f32_e32 v66, v19
	v_fmac_f32_e32 v63, 0x32a5705f, v31
	v_sub_f32_e32 v18, v18, v64
	v_add_f32_e32 v17, v17, v61
	v_sub_f32_e32 v26, v26, v21
	v_mul_f32_e32 v21, 0x3fb8aa3b, v45
	v_fma_f32 v67, 0x3fb8aa3b, v44, -v20
	v_rndne_f32_e32 v68, v20
	v_fmac_f32_e32 v65, 0x32a5705f, v32
	v_sub_f32_e32 v19, v19, v66
	v_add_f32_e32 v18, v18, v63
	v_exp_f32_e32 v17, v17
	v_sub_f32_e32 v27, v27, v22
	v_mul_f32_e32 v22, 0x3fb8aa3b, v46
	v_fma_f32 v69, 0x3fb8aa3b, v45, -v21
	v_rndne_f32_e32 v70, v21
	v_cvt_i32_f32_e32 v62, v62
	v_fmac_f32_e32 v67, 0x32a5705f, v44
	v_sub_f32_e32 v20, v20, v68
	v_add_f32_e32 v19, v19, v65
	v_exp_f32_e32 v18, v18
	v_sub_f32_e32 v28, v28, v23
	v_mul_f32_e32 v23, 0x3fb8aa3b, v47
	v_fma_f32 v71, 0x3fb8aa3b, v46, -v22
	v_rndne_f32_e32 v72, v22
	v_cvt_i32_f32_e32 v64, v64
	v_fmac_f32_e32 v69, 0x32a5705f, v45
	v_sub_f32_e32 v21, v21, v70
	v_add_f32_e32 v20, v20, v67
	v_exp_f32_e32 v19, v19
	v_ldexp_f32 v17, v17, v62
	v_cmp_ngt_f32_e32 vcc_lo, 0xc2ce8ed0, v30
	v_sub_f32_e32 v29, v29, v24
	v_mul_f32_e32 v24, 0x3fb8aa3b, v48
	v_fma_f32 v73, 0x3fb8aa3b, v47, -v23
	v_rndne_f32_e32 v74, v23
	v_cvt_i32_f32_e32 v66, v66
	v_fmac_f32_e32 v71, 0x32a5705f, v46
	v_sub_f32_e32 v22, v22, v72
	v_add_f32_e32 v21, v21, v69
	v_exp_f32_e32 v20, v20
	v_ldexp_f32 v18, v18, v64
	v_cndmask_b32_e32 v17, 0, v17, vcc_lo
	v_cmp_ngt_f32_e32 vcc_lo, 0xc2ce8ed0, v31
	v_mul_f32_e32 v53, 0x3fb8aa3b, v49
	v_fma_f32 v91, 0x3fb8aa3b, v48, -v24
	v_rndne_f32_e32 v92, v24
	v_cvt_i32_f32_e32 v68, v68
	v_fmac_f32_e32 v73, 0x32a5705f, v47
	v_sub_f32_e32 v23, v23, v74
	v_add_f32_e32 v22, v22, v71
	v_exp_f32_e32 v21, v21
	v_ldexp_f32 v19, v19, v66
	v_cndmask_b32_e32 v18, 0, v18, vcc_lo
	v_cmp_ngt_f32_e32 vcc_lo, 0xc2ce8ed0, v32
	v_mul_f32_e32 v54, 0x3fb8aa3b, v26
	v_fma_f32 v93, 0x3fb8aa3b, v49, -v53
	v_rndne_f32_e32 v94, v53
	v_cvt_i32_f32_e32 v70, v70
	v_fmac_f32_e32 v91, 0x32a5705f, v48
	v_sub_f32_e32 v24, v24, v92
	v_add_f32_e32 v23, v23, v73
	v_exp_f32_e32 v22, v22
	v_ldexp_f32 v20, v20, v68
	v_cndmask_b32_e32 v19, 0, v19, vcc_lo
	v_cmp_ngt_f32_e32 vcc_lo, 0xc2ce8ed0, v44
	v_mul_f32_e32 v55, 0x3fb8aa3b, v50
	v_fma_f32 v95, 0x3fb8aa3b, v26, -v54
	v_rndne_f32_e32 v96, v54
	v_cvt_i32_f32_e32 v72, v72
	v_fmac_f32_e32 v93, 0x32a5705f, v49
	v_sub_f32_e32 v53, v53, v94
	v_add_f32_e32 v24, v24, v91
	v_exp_f32_e32 v23, v23
	v_ldexp_f32 v21, v21, v70
	v_cndmask_b32_e32 v20, 0, v20, vcc_lo
	v_cmp_ngt_f32_e32 vcc_lo, 0xc2ce8ed0, v45
	v_mul_f32_e32 v56, 0x3fb8aa3b, v27
	v_fma_f32 v97, 0x3fb8aa3b, v50, -v55
	v_rndne_f32_e32 v98, v55
	v_cvt_i32_f32_e32 v74, v74
	v_fmac_f32_e32 v95, 0x32a5705f, v26
	v_sub_f32_e32 v54, v54, v96
	v_add_f32_e32 v53, v53, v93
	v_exp_f32_e32 v24, v24
	v_ldexp_f32 v22, v22, v72
	v_cndmask_b32_e32 v21, 0, v21, vcc_lo
	v_cmp_ngt_f32_e32 vcc_lo, 0xc2ce8ed0, v46
	v_mul_f32_e32 v57, 0x3fb8aa3b, v51
	v_fma_f32 v99, 0x3fb8aa3b, v27, -v56
	v_rndne_f32_e32 v100, v56
	v_cvt_i32_f32_e32 v92, v92
	v_fmac_f32_e32 v97, 0x32a5705f, v50
	v_sub_f32_e32 v55, v55, v98
	v_add_f32_e32 v54, v54, v95
	v_exp_f32_e32 v53, v53
	v_ldexp_f32 v23, v23, v74
	v_cndmask_b32_e32 v22, 0, v22, vcc_lo
	v_cmp_ngt_f32_e32 vcc_lo, 0xc2ce8ed0, v47
	v_mul_f32_e32 v58, 0x3fb8aa3b, v28
	v_fma_f32 v101, 0x3fb8aa3b, v51, -v57
	v_rndne_f32_e32 v102, v57
	v_cvt_i32_f32_e32 v94, v94
	v_fmac_f32_e32 v99, 0x32a5705f, v27
	v_sub_f32_e32 v56, v56, v100
	v_add_f32_e32 v55, v55, v97
	v_exp_f32_e32 v54, v54
	v_ldexp_f32 v24, v24, v92
	v_cndmask_b32_e32 v23, 0, v23, vcc_lo
	v_cmp_ngt_f32_e32 vcc_lo, 0xc2ce8ed0, v48
	v_mul_f32_e32 v59, 0x3fb8aa3b, v52
	v_fma_f32 v103, 0x3fb8aa3b, v28, -v58
	v_rndne_f32_e32 v104, v58
	v_cvt_i32_f32_e32 v96, v96
	v_fmac_f32_e32 v101, 0x32a5705f, v51
	v_sub_f32_e32 v57, v57, v102
	v_add_f32_e32 v56, v56, v99
	v_exp_f32_e32 v55, v55
	v_ldexp_f32 v53, v53, v94
	v_cndmask_b32_e32 v24, 0, v24, vcc_lo
	v_cmp_ngt_f32_e32 vcc_lo, 0xc2ce8ed0, v49
	v_mul_f32_e32 v60, 0x3fb8aa3b, v29
	v_fma_f32 v105, 0x3fb8aa3b, v52, -v59
	v_rndne_f32_e32 v106, v59
	v_cvt_i32_f32_e32 v98, v98
	v_fmac_f32_e32 v103, 0x32a5705f, v28
	v_sub_f32_e32 v58, v58, v104
	v_add_f32_e32 v57, v57, v101
	v_exp_f32_e32 v56, v56
	v_ldexp_f32 v54, v54, v96
	v_cndmask_b32_e32 v53, 0, v53, vcc_lo
	v_cmp_ngt_f32_e32 vcc_lo, 0xc2ce8ed0, v26
	v_fma_f32 v107, 0x3fb8aa3b, v29, -v60
	v_rndne_f32_e32 v108, v60
	v_cvt_i32_f32_e32 v100, v100
	v_fmac_f32_e32 v105, 0x32a5705f, v52
	v_sub_f32_e32 v59, v59, v106
	v_add_f32_e32 v58, v58, v103
	v_exp_f32_e32 v57, v57
	v_ldexp_f32 v55, v55, v98
	v_cndmask_b32_e32 v54, 0, v54, vcc_lo
	v_cmp_ngt_f32_e32 vcc_lo, 0xc2ce8ed0, v50
	v_cvt_i32_f32_e32 v102, v102
	v_fmac_f32_e32 v107, 0x32a5705f, v29
	v_sub_f32_e32 v60, v60, v108
	v_add_f32_e32 v59, v59, v105
	v_exp_f32_e32 v58, v58
	v_ldexp_f32 v56, v56, v100
	v_cndmask_b32_e32 v55, 0, v55, vcc_lo
	v_cmp_ngt_f32_e32 vcc_lo, 0xc2ce8ed0, v27
	v_cvt_i32_f32_e32 v104, v104
	v_add_f32_e32 v60, v60, v107
	v_exp_f32_e32 v59, v59
	v_ldexp_f32 v57, v57, v102
	v_cndmask_b32_e32 v56, 0, v56, vcc_lo
	v_cmp_ngt_f32_e32 vcc_lo, 0xc2ce8ed0, v51
	v_cvt_i32_f32_e32 v106, v106
	v_exp_f32_e32 v60, v60
	v_ldexp_f32 v58, v58, v104
	v_cvt_i32_f32_e32 v108, v108
	v_cndmask_b32_e32 v57, 0, v57, vcc_lo
	v_cmp_ngt_f32_e32 vcc_lo, 0xc2ce8ed0, v28
	v_ldexp_f32 v59, v59, v106
	v_cndmask_b32_e32 v58, 0, v58, vcc_lo
	v_cmp_ngt_f32_e32 vcc_lo, 0xc2ce8ed0, v52
	v_ldexp_f32 v60, v60, v108
	v_cndmask_b32_e32 v59, 0, v59, vcc_lo
	v_cmp_ngt_f32_e32 vcc_lo, 0xc2ce8ed0, v29
	v_cndmask_b32_e32 v60, 0, v60, vcc_lo
	v_cmp_nlt_f32_e32 vcc_lo, 0x42b17218, v30
	v_cndmask_b32_e32 v30, 0x7f800000, v17, vcc_lo
	v_cmp_nlt_f32_e32 vcc_lo, 0x42b17218, v31
	;; [unrolled: 2-line block ×3, first 2 shown]
	v_fmac_f32_e32 v17, v9, v30
	v_cndmask_b32_e32 v31, 0x7f800000, v19, vcc_lo
	v_cmp_nlt_f32_e32 vcc_lo, 0x42b17218, v44
	v_cvt_f16_f32_e32 v9, v30
	v_cndmask_b32_e32 v18, 0x7f800000, v20, vcc_lo
	v_cmp_nlt_f32_e32 vcc_lo, 0x42b17218, v45
	v_fmac_f32_e32 v18, v10, v31
	v_cndmask_b32_e32 v32, 0x7f800000, v21, vcc_lo
	v_cmp_nlt_f32_e32 vcc_lo, 0x42b17218, v46
	v_cvt_f16_f32_e32 v10, v31
	v_cndmask_b32_e32 v19, 0x7f800000, v22, vcc_lo
	v_cmp_nlt_f32_e32 vcc_lo, 0x42b17218, v47
	;; [unrolled: 6-line block ×5, first 2 shown]
	v_mul_u32_u24_sdwa v30, v13, v25 dst_sel:DWORD dst_unused:UNUSED_PAD src0_sel:WORD_0 src1_sel:DWORD
	v_mov_b32_e32 v13, v21
	v_fmac_f32_e32 v22, v14, v26
	v_cndmask_b32_e32 v27, 0x7f800000, v57, vcc_lo
	v_cmp_nlt_f32_e32 vcc_lo, 0x42b17218, v28
	v_cvt_f16_f32_e32 v14, v26
	v_mul_u32_u24_sdwa v26, v9, v25 dst_sel:DWORD dst_unused:UNUSED_PAD src0_sel:WORD_0 src1_sel:DWORD
	v_mov_b32_e32 v9, v17
	v_pk_mul_f16 v81, v81, v30
	v_cndmask_b32_e32 v23, 0x7f800000, v58, vcc_lo
	v_cmp_nlt_f32_e32 vcc_lo, 0x42b17218, v52
	v_mul_u32_u24_sdwa v31, v14, v25 dst_sel:DWORD dst_unused:UNUSED_PAD src0_sel:WORD_0 src1_sel:DWORD
	v_mov_b32_e32 v14, v22
	v_pk_mul_f16 v89, v89, v26
	v_fmac_f32_e32 v23, v15, v27
	v_cndmask_b32_e32 v28, 0x7f800000, v59, vcc_lo
	v_cmp_nlt_f32_e32 vcc_lo, 0x42b17218, v29
	v_cvt_f16_f32_e32 v15, v27
	v_mul_u32_u24_sdwa v27, v10, v25 dst_sel:DWORD dst_unused:UNUSED_PAD src0_sel:WORD_0 src1_sel:DWORD
	v_mul_u32_u24_sdwa v29, v12, v25 dst_sel:DWORD dst_unused:UNUSED_PAD src0_sel:WORD_0 src1_sel:DWORD
	v_mov_b32_e32 v10, v18
	v_cndmask_b32_e32 v24, 0x7f800000, v60, vcc_lo
	v_mul_u32_u24_sdwa v32, v15, v25 dst_sel:DWORD dst_unused:UNUSED_PAD src0_sel:WORD_0 src1_sel:DWORD
	v_mov_b32_e32 v12, v20
	v_mov_b32_e32 v15, v23
	v_pk_mul_f16 v90, v90, v26
	v_fmac_f32_e32 v24, v16, v28
	v_cvt_f16_f32_e32 v16, v28
	v_mul_u32_u24_sdwa v28, v11, v25 dst_sel:DWORD dst_unused:UNUSED_PAD src0_sel:WORD_0 src1_sel:DWORD
	v_mov_b32_e32 v11, v19
	v_pk_mul_f16 v87, v87, v27
	v_pk_mul_f16 v88, v88, v27
	v_mul_u32_u24_sdwa v16, v16, v25 dst_sel:DWORD dst_unused:UNUSED_PAD src0_sel:WORD_0 src1_sel:DWORD
	v_pk_mul_f16 v85, v85, v28
	v_pk_mul_f16 v86, v86, v28
	;; [unrolled: 1-line block ×11, first 2 shown]
	v_mov_b32_e32 v16, v24
	s_mov_b32 s0, exec_lo
	v_cmpx_gt_i32_e64 s54, v43
	s_cbranch_execnz .LBB17_15
.LBB17_13:
	s_endpgm
.LBB17_14:
	v_mov_b32_e32 v24, v16
	v_mov_b32_e32 v23, v15
	;; [unrolled: 1-line block ×8, first 2 shown]
	s_mov_b32 s0, exec_lo
	v_cmpx_gt_i32_e64 s54, v43
	s_cbranch_execz .LBB17_13
.LBB17_15:
	s_load_dword s1, s[4:5], 0xd4
	v_mov_b32_e32 v28, 1.0
	s_waitcnt lgkmcnt(0)
	s_cmp_lg_u32 s1, 1
	s_cselect_b32 s4, -1, 0
	s_cmp_eq_u32 s1, 1
	s_cselect_b32 s2, -1, 0
	s_and_b32 vcc_lo, exec_lo, s4
	s_cbranch_vccnz .LBB17_17
; %bb.16:
	v_div_scale_f32 v25, null, v9, v9, 1.0
	v_rcp_f32_e32 v26, v25
	v_fma_f32 v27, -v25, v26, 1.0
	v_fmac_f32_e32 v26, v27, v26
	v_div_scale_f32 v27, vcc_lo, 1.0, v9, 1.0
	v_mul_f32_e32 v28, v27, v26
	v_fma_f32 v29, -v25, v28, v27
	v_fmac_f32_e32 v28, v29, v26
	v_fma_f32 v25, -v25, v28, v27
	v_div_fmas_f32 v25, v25, v26, v28
	v_div_fixup_f32 v28, v25, v9, 1.0
.LBB17_17:
	s_mul_i32 s3, s35, s54
	v_mov_b32_e32 v30, 0
	s_add_i32 s3, s3, s42
	v_cmp_eq_u32_e32 vcc_lo, 0, v0
	v_add_nc_u32_e32 v9, s3, v42
	v_cvt_f32_f16_e32 v0, v89
	v_cvt_f32_f16_sdwa v32, v90 dst_sel:DWORD dst_unused:UNUSED_PAD src0_sel:WORD_1
	s_and_b32 s5, vcc_lo, s4
	v_mul_lo_u32 v27, v9, s55
	v_mul_f32_e32 v32, v28, v32
	v_add_nc_u32_e32 v9, s56, v27
	v_mad_u64_u32 v[25:26], null, s1, v9, s[34:35]
	v_cvt_f32_f16_sdwa v9, v89 dst_sel:DWORD dst_unused:UNUSED_PAD src0_sel:WORD_1
	v_cvt_f32_f16_e32 v26, v90
	v_mul_f32_e32 v31, v28, v26
	v_lshl_add_u32 v29, v25, 7, v41
	v_lshlrev_b64 v[42:43], 2, v[29:30]
	v_mul_f32_e32 v29, v28, v0
	v_mul_f32_e32 v30, v28, v9
	v_add_co_u32 v42, s0, s48, v42
	v_add_co_ci_u32_e64 v43, null, s49, v43, s0
	global_store_dwordx4 v[42:43], v[29:32], off
	s_and_saveexec_b32 s0, s5
	s_cbranch_execz .LBB17_19
; %bb.18:
	v_ashrrev_i32_e32 v26, 31, v25
	v_mov_b32_e32 v0, v1
	v_mov_b32_e32 v1, v17
	v_lshlrev_b64 v[25:26], 3, v[25:26]
	v_add_co_u32 v25, vcc_lo, s50, v25
	v_add_co_ci_u32_e64 v26, null, s51, v26, vcc_lo
	global_store_dwordx2 v[25:26], v[0:1], off
.LBB17_19:
	s_or_b32 exec_lo, exec_lo, s0
	v_cndmask_b32_e64 v9, 0, 1, s2
	v_mov_b32_e32 v17, 1.0
	s_andn2_b32 vcc_lo, exec_lo, s2
	s_cbranch_vccnz .LBB17_21
; %bb.20:
	v_div_scale_f32 v0, null, v10, v10, 1.0
	v_rcp_f32_e32 v1, v0
	v_fma_f32 v17, -v0, v1, 1.0
	v_fmac_f32_e32 v1, v17, v1
	v_div_scale_f32 v17, vcc_lo, 1.0, v10, 1.0
	v_mul_f32_e32 v25, v17, v1
	v_fma_f32 v26, -v0, v25, v17
	v_fmac_f32_e32 v25, v26, v1
	v_fma_f32 v0, -v0, v25, v17
	v_div_fmas_f32 v0, v0, v1, v25
	v_div_fixup_f32 v17, v0, v10, 1.0
.LBB17_21:
	s_add_i32 s4, s56, 1
	v_mov_b32_e32 v26, 0
	v_add_nc_u32_e32 v0, s4, v27
	v_cvt_f32_f16_sdwa v10, v87 dst_sel:DWORD dst_unused:UNUSED_PAD src0_sel:WORD_1
	v_cvt_f32_f16_e32 v30, v88
	v_cvt_f32_f16_sdwa v31, v88 dst_sel:DWORD dst_unused:UNUSED_PAD src0_sel:WORD_1
	v_mad_u64_u32 v[0:1], null, s1, v0, s[34:35]
	v_cvt_f32_f16_e32 v1, v87
	v_mul_f32_e32 v29, v17, v10
	v_mul_f32_e32 v30, v17, v30
	;; [unrolled: 1-line block ×4, first 2 shown]
	v_lshl_add_u32 v25, v0, 7, v41
	v_lshlrev_b64 v[25:26], 2, v[25:26]
	v_add_co_u32 v25, vcc_lo, s48, v25
	v_add_co_ci_u32_e64 v26, null, s49, v26, vcc_lo
	global_store_dwordx4 v[25:26], v[28:31], off
	s_and_saveexec_b32 s0, s5
	s_cbranch_execz .LBB17_23
; %bb.22:
	v_ashrrev_i32_e32 v1, 31, v0
	v_mov_b32_e32 v17, v2
	v_lshlrev_b64 v[0:1], 3, v[0:1]
	v_add_co_u32 v0, vcc_lo, s50, v0
	v_add_co_ci_u32_e64 v1, null, s51, v1, vcc_lo
	global_store_dwordx2 v[0:1], v[17:18], off
.LBB17_23:
	s_or_b32 exec_lo, exec_lo, s0
	v_cmp_ne_u32_e32 vcc_lo, 1, v9
	v_mov_b32_e32 v2, 1.0
	s_cbranch_vccnz .LBB17_25
; %bb.24:
	v_div_scale_f32 v0, null, v11, v11, 1.0
	v_rcp_f32_e32 v1, v0
	v_fma_f32 v2, -v0, v1, 1.0
	v_fmac_f32_e32 v1, v2, v1
	v_div_scale_f32 v2, vcc_lo, 1.0, v11, 1.0
	v_mul_f32_e32 v10, v2, v1
	v_fma_f32 v17, -v0, v10, v2
	v_fmac_f32_e32 v10, v17, v1
	v_fma_f32 v0, -v0, v10, v2
	v_div_fmas_f32 v0, v0, v1, v10
	v_div_fixup_f32 v2, v0, v11, 1.0
.LBB17_25:
	s_add_i32 s2, s56, 2
	v_mov_b32_e32 v11, 0
	v_add_nc_u32_e32 v0, s2, v27
	v_cvt_f32_f16_sdwa v17, v85 dst_sel:DWORD dst_unused:UNUSED_PAD src0_sel:WORD_1
	v_cvt_f32_f16_e32 v18, v86
	v_cvt_f32_f16_sdwa v25, v86 dst_sel:DWORD dst_unused:UNUSED_PAD src0_sel:WORD_1
	v_mad_u64_u32 v[0:1], null, s1, v0, s[34:35]
	v_cvt_f32_f16_e32 v1, v85
	v_mul_f32_e32 v29, v2, v17
	v_mul_f32_e32 v30, v2, v18
	;; [unrolled: 1-line block ×4, first 2 shown]
	v_lshl_add_u32 v10, v0, 7, v41
	v_lshlrev_b64 v[10:11], 2, v[10:11]
	v_add_co_u32 v1, vcc_lo, s48, v10
	v_add_co_ci_u32_e64 v2, null, s49, v11, vcc_lo
	global_store_dwordx4 v[1:2], v[28:31], off
	s_and_saveexec_b32 s0, s5
	s_cbranch_execz .LBB17_27
; %bb.26:
	v_ashrrev_i32_e32 v1, 31, v0
	v_mov_b32_e32 v18, v3
	v_lshlrev_b64 v[0:1], 3, v[0:1]
	v_add_co_u32 v0, vcc_lo, s50, v0
	v_add_co_ci_u32_e64 v1, null, s51, v1, vcc_lo
	global_store_dwordx2 v[0:1], v[18:19], off
.LBB17_27:
	s_or_b32 exec_lo, exec_lo, s0
	v_cmp_ne_u32_e32 vcc_lo, 1, v9
	v_mov_b32_e32 v2, 1.0
	s_cbranch_vccnz .LBB17_29
; %bb.28:
	v_div_scale_f32 v0, null, v12, v12, 1.0
	v_rcp_f32_e32 v1, v0
	v_fma_f32 v2, -v0, v1, 1.0
	v_fmac_f32_e32 v1, v2, v1
	v_div_scale_f32 v2, vcc_lo, 1.0, v12, 1.0
	v_mul_f32_e32 v3, v2, v1
	v_fma_f32 v10, -v0, v3, v2
	v_fmac_f32_e32 v3, v10, v1
	v_fma_f32 v0, -v0, v3, v2
	v_div_fmas_f32 v0, v0, v1, v3
	v_div_fixup_f32 v2, v0, v12, 1.0
.LBB17_29:
	s_add_i32 s0, s56, 3
	v_mov_b32_e32 v11, 0
	v_add_nc_u32_e32 v0, s0, v27
	v_cvt_f32_f16_sdwa v3, v83 dst_sel:DWORD dst_unused:UNUSED_PAD src0_sel:WORD_1
	v_cvt_f32_f16_e32 v12, v84
	v_cvt_f32_f16_sdwa v17, v84 dst_sel:DWORD dst_unused:UNUSED_PAD src0_sel:WORD_1
	v_mad_u64_u32 v[0:1], null, s1, v0, s[34:35]
	v_cvt_f32_f16_e32 v1, v83
	v_mul_f32_e32 v26, v2, v3
	v_mul_f32_e32 v27, v2, v12
	;; [unrolled: 1-line block ×4, first 2 shown]
	v_lshl_add_u32 v10, v0, 7, v41
	v_lshlrev_b64 v[10:11], 2, v[10:11]
	v_add_co_u32 v1, vcc_lo, s48, v10
	v_add_co_ci_u32_e64 v2, null, s49, v11, vcc_lo
	global_store_dwordx4 v[1:2], v[25:28], off
	s_and_saveexec_b32 s6, s5
	s_cbranch_execz .LBB17_31
; %bb.30:
	v_ashrrev_i32_e32 v1, 31, v0
	v_mov_b32_e32 v19, v4
	v_lshlrev_b64 v[0:1], 3, v[0:1]
	v_add_co_u32 v0, vcc_lo, s50, v0
	v_add_co_ci_u32_e64 v1, null, s51, v1, vcc_lo
	global_store_dwordx2 v[0:1], v[19:20], off
.LBB17_31:
	s_or_b32 exec_lo, exec_lo, s6
	v_cmp_gt_i32_e32 vcc_lo, s54, v40
	s_and_b32 exec_lo, exec_lo, vcc_lo
	s_cbranch_execz .LBB17_13
; %bb.32:
	v_cmp_ne_u32_e32 vcc_lo, 1, v9
	v_mov_b32_e32 v2, 1.0
	s_cbranch_vccnz .LBB17_34
; %bb.33:
	v_div_scale_f32 v0, null, v13, v13, 1.0
	v_rcp_f32_e32 v1, v0
	v_fma_f32 v2, -v0, v1, 1.0
	v_fmac_f32_e32 v1, v2, v1
	v_div_scale_f32 v2, vcc_lo, 1.0, v13, 1.0
	v_mul_f32_e32 v3, v2, v1
	v_fma_f32 v4, -v0, v3, v2
	v_fmac_f32_e32 v3, v4, v1
	v_fma_f32 v0, -v0, v3, v2
	v_div_fmas_f32 v0, v0, v1, v3
	v_div_fixup_f32 v2, v0, v13, 1.0
.LBB17_34:
	v_add_nc_u32_e32 v0, s3, v38
	v_mov_b32_e32 v4, 0
	v_cvt_f32_f16_sdwa v11, v81 dst_sel:DWORD dst_unused:UNUSED_PAD src0_sel:WORD_1
	v_cvt_f32_f16_e32 v12, v82
	v_cvt_f32_f16_sdwa v13, v82 dst_sel:DWORD dst_unused:UNUSED_PAD src0_sel:WORD_1
	v_mad_u64_u32 v[0:1], null, v0, s55, s[56:57]
	v_mul_f32_e32 v11, v2, v11
	v_mul_f32_e32 v12, v2, v12
	;; [unrolled: 1-line block ×3, first 2 shown]
	v_mad_u64_u32 v[0:1], null, s1, v0, s[34:35]
	v_cvt_f32_f16_e32 v1, v81
	v_mul_f32_e32 v10, v2, v1
	v_lshl_add_u32 v3, v0, 7, v41
	v_lshlrev_b64 v[3:4], 2, v[3:4]
	v_add_co_u32 v1, vcc_lo, s48, v3
	v_add_co_ci_u32_e64 v2, null, s49, v4, vcc_lo
	global_store_dwordx4 v[1:2], v[10:13], off
	s_and_saveexec_b32 s6, s5
	s_cbranch_execz .LBB17_36
; %bb.35:
	v_ashrrev_i32_e32 v1, 31, v0
	v_mov_b32_e32 v20, v5
	v_lshlrev_b64 v[0:1], 3, v[0:1]
	v_add_co_u32 v0, vcc_lo, s50, v0
	v_add_co_ci_u32_e64 v1, null, s51, v1, vcc_lo
	global_store_dwordx2 v[0:1], v[20:21], off
.LBB17_36:
	s_or_b32 exec_lo, exec_lo, s6
	v_cmp_gt_i32_e32 vcc_lo, s54, v39
	s_and_b32 exec_lo, exec_lo, vcc_lo
	s_cbranch_execz .LBB17_13
; %bb.37:
	v_cmp_ne_u32_e32 vcc_lo, 1, v9
	v_mov_b32_e32 v2, 1.0
	s_cbranch_vccnz .LBB17_39
; %bb.38:
	v_div_scale_f32 v0, null, v14, v14, 1.0
	v_rcp_f32_e32 v1, v0
	v_fma_f32 v2, -v0, v1, 1.0
	v_fmac_f32_e32 v1, v2, v1
	v_div_scale_f32 v2, vcc_lo, 1.0, v14, 1.0
	v_mul_f32_e32 v3, v2, v1
	v_fma_f32 v4, -v0, v3, v2
	v_fmac_f32_e32 v3, v4, v1
	v_fma_f32 v0, -v0, v3, v2
	v_div_fmas_f32 v0, v0, v1, v3
	v_div_fixup_f32 v2, v0, v14, 1.0
.LBB17_39:
	v_add_nc_u32_e32 v0, s3, v36
	v_mov_b32_e32 v4, 0
	v_cvt_f32_f16_sdwa v5, v79 dst_sel:DWORD dst_unused:UNUSED_PAD src0_sel:WORD_1
	v_cvt_f32_f16_e32 v12, v80
	v_cvt_f32_f16_sdwa v13, v80 dst_sel:DWORD dst_unused:UNUSED_PAD src0_sel:WORD_1
	v_mad_u64_u32 v[0:1], null, v0, s55, s[4:5]
	v_mul_f32_e32 v11, v2, v5
	v_mul_f32_e32 v12, v2, v12
	;; [unrolled: 1-line block ×3, first 2 shown]
	v_mad_u64_u32 v[0:1], null, s1, v0, s[34:35]
	v_cvt_f32_f16_e32 v1, v79
	v_mul_f32_e32 v10, v2, v1
	v_lshl_add_u32 v3, v0, 7, v41
	v_lshlrev_b64 v[3:4], 2, v[3:4]
	v_add_co_u32 v1, vcc_lo, s48, v3
	v_add_co_ci_u32_e64 v2, null, s49, v4, vcc_lo
	global_store_dwordx4 v[1:2], v[10:13], off
	s_and_saveexec_b32 s4, s5
	s_cbranch_execz .LBB17_41
; %bb.40:
	v_ashrrev_i32_e32 v1, 31, v0
	v_mov_b32_e32 v21, v6
	v_lshlrev_b64 v[0:1], 3, v[0:1]
	v_add_co_u32 v0, vcc_lo, s50, v0
	v_add_co_ci_u32_e64 v1, null, s51, v1, vcc_lo
	global_store_dwordx2 v[0:1], v[21:22], off
.LBB17_41:
	s_or_b32 exec_lo, exec_lo, s4
	v_cmp_gt_i32_e32 vcc_lo, s54, v37
	s_and_b32 exec_lo, exec_lo, vcc_lo
	s_cbranch_execz .LBB17_13
; %bb.42:
	v_cmp_ne_u32_e32 vcc_lo, 1, v9
	v_mov_b32_e32 v2, 1.0
	s_cbranch_vccnz .LBB17_44
; %bb.43:
	v_div_scale_f32 v0, null, v15, v15, 1.0
	v_rcp_f32_e32 v1, v0
	v_fma_f32 v2, -v0, v1, 1.0
	v_fmac_f32_e32 v1, v2, v1
	v_div_scale_f32 v2, vcc_lo, 1.0, v15, 1.0
	v_mul_f32_e32 v3, v2, v1
	v_fma_f32 v4, -v0, v3, v2
	v_fmac_f32_e32 v3, v4, v1
	v_fma_f32 v0, -v0, v3, v2
	v_div_fmas_f32 v0, v0, v1, v3
	v_div_fixup_f32 v2, v0, v15, 1.0
.LBB17_44:
	v_add_nc_u32_e32 v0, s3, v34
	v_mov_b32_e32 v4, 0
	v_cvt_f32_f16_sdwa v5, v77 dst_sel:DWORD dst_unused:UNUSED_PAD src0_sel:WORD_1
	v_cvt_f32_f16_e32 v6, v78
	v_cvt_f32_f16_sdwa v12, v78 dst_sel:DWORD dst_unused:UNUSED_PAD src0_sel:WORD_1
	v_mad_u64_u32 v[0:1], null, v0, s55, s[2:3]
	v_mad_u64_u32 v[0:1], null, s1, v0, s[34:35]
	v_cvt_f32_f16_e32 v1, v77
	v_lshl_add_u32 v3, v0, 7, v41
	v_lshlrev_b64 v[10:11], 2, v[3:4]
	v_mul_f32_e32 v3, v2, v1
	v_mul_f32_e32 v4, v2, v5
	;; [unrolled: 1-line block ×4, first 2 shown]
	v_add_co_u32 v1, vcc_lo, s48, v10
	v_add_co_ci_u32_e64 v2, null, s49, v11, vcc_lo
	global_store_dwordx4 v[1:2], v[3:6], off
	s_and_saveexec_b32 s2, s5
	s_cbranch_execz .LBB17_46
; %bb.45:
	v_ashrrev_i32_e32 v1, 31, v0
	v_mov_b32_e32 v22, v7
	v_lshlrev_b64 v[0:1], 3, v[0:1]
	v_add_co_u32 v0, vcc_lo, s50, v0
	v_add_co_ci_u32_e64 v1, null, s51, v1, vcc_lo
	global_store_dwordx2 v[0:1], v[22:23], off
.LBB17_46:
	s_or_b32 exec_lo, exec_lo, s2
	v_cmp_gt_i32_e32 vcc_lo, s54, v35
	s_and_b32 exec_lo, exec_lo, vcc_lo
	s_cbranch_execz .LBB17_13
; %bb.47:
	v_cmp_ne_u32_e32 vcc_lo, 1, v9
	v_mov_b32_e32 v2, 1.0
	s_cbranch_vccnz .LBB17_49
; %bb.48:
	v_div_scale_f32 v0, null, v16, v16, 1.0
	v_rcp_f32_e32 v1, v0
	v_fma_f32 v2, -v0, v1, 1.0
	v_fmac_f32_e32 v1, v2, v1
	v_div_scale_f32 v2, vcc_lo, 1.0, v16, 1.0
	v_mul_f32_e32 v3, v2, v1
	v_fma_f32 v4, -v0, v3, v2
	v_fmac_f32_e32 v3, v4, v1
	v_fma_f32 v0, -v0, v3, v2
	v_div_fmas_f32 v0, v0, v1, v3
	v_div_fixup_f32 v2, v0, v16, 1.0
.LBB17_49:
	v_add_nc_u32_e32 v0, s3, v33
	v_mov_b32_e32 v4, 0
	v_cvt_f32_f16_sdwa v5, v76 dst_sel:DWORD dst_unused:UNUSED_PAD src0_sel:WORD_1
	v_cvt_f32_f16_e32 v6, v75
	v_cvt_f32_f16_sdwa v7, v75 dst_sel:DWORD dst_unused:UNUSED_PAD src0_sel:WORD_1
	v_mad_u64_u32 v[0:1], null, v0, s55, s[0:1]
	v_mad_u64_u32 v[0:1], null, s1, v0, s[34:35]
	v_cvt_f32_f16_e32 v1, v76
	v_lshl_add_u32 v3, v0, 7, v41
	v_lshlrev_b64 v[9:10], 2, v[3:4]
	v_mul_f32_e32 v3, v2, v1
	v_mul_f32_e32 v4, v2, v5
	;; [unrolled: 1-line block ×4, first 2 shown]
	v_add_co_u32 v1, vcc_lo, s48, v9
	v_add_co_ci_u32_e64 v2, null, s49, v10, vcc_lo
	global_store_dwordx4 v[1:2], v[3:6], off
	s_and_b32 exec_lo, exec_lo, s5
	s_cbranch_execz .LBB17_13
; %bb.50:
	v_ashrrev_i32_e32 v1, 31, v0
	v_mov_b32_e32 v23, v8
	v_lshlrev_b64 v[0:1], 3, v[0:1]
	v_add_co_u32 v0, vcc_lo, s50, v0
	v_add_co_ci_u32_e64 v1, null, s51, v1, vcc_lo
	global_store_dwordx2 v[0:1], v[23:24], off
	s_endpgm
	.section	.rodata,"a",@progbits
	.p2align	6, 0x0
	.amdhsa_kernel _ZL15flash_attn_tileILi128ELi128ELi16ELi4ELb0EEvPKcS1_S1_S1_S1_PKiPfP15HIP_vector_typeIfLj2EEffffjfiS5_IjLj3EEiiiiiiiiiiiliiliiiiil
		.amdhsa_group_segment_fixed_size 33792
		.amdhsa_private_segment_fixed_size 0
		.amdhsa_kernarg_size 464
		.amdhsa_user_sgpr_count 6
		.amdhsa_user_sgpr_private_segment_buffer 1
		.amdhsa_user_sgpr_dispatch_ptr 0
		.amdhsa_user_sgpr_queue_ptr 0
		.amdhsa_user_sgpr_kernarg_segment_ptr 1
		.amdhsa_user_sgpr_dispatch_id 0
		.amdhsa_user_sgpr_flat_scratch_init 0
		.amdhsa_user_sgpr_private_segment_size 0
		.amdhsa_wavefront_size32 1
		.amdhsa_uses_dynamic_stack 0
		.amdhsa_system_sgpr_private_segment_wavefront_offset 0
		.amdhsa_system_sgpr_workgroup_id_x 1
		.amdhsa_system_sgpr_workgroup_id_y 1
		.amdhsa_system_sgpr_workgroup_id_z 1
		.amdhsa_system_sgpr_workgroup_info 0
		.amdhsa_system_vgpr_workitem_id 1
		.amdhsa_next_free_vgpr 228
		.amdhsa_next_free_sgpr 62
		.amdhsa_reserve_vcc 1
		.amdhsa_reserve_flat_scratch 0
		.amdhsa_float_round_mode_32 0
		.amdhsa_float_round_mode_16_64 0
		.amdhsa_float_denorm_mode_32 3
		.amdhsa_float_denorm_mode_16_64 3
		.amdhsa_dx10_clamp 1
		.amdhsa_ieee_mode 1
		.amdhsa_fp16_overflow 0
		.amdhsa_workgroup_processor_mode 1
		.amdhsa_memory_ordered 1
		.amdhsa_forward_progress 1
		.amdhsa_shared_vgpr_count 0
		.amdhsa_exception_fp_ieee_invalid_op 0
		.amdhsa_exception_fp_denorm_src 0
		.amdhsa_exception_fp_ieee_div_zero 0
		.amdhsa_exception_fp_ieee_overflow 0
		.amdhsa_exception_fp_ieee_underflow 0
		.amdhsa_exception_fp_ieee_inexact 0
		.amdhsa_exception_int_div_zero 0
	.end_amdhsa_kernel
	.section	.text._ZL15flash_attn_tileILi128ELi128ELi16ELi4ELb0EEvPKcS1_S1_S1_S1_PKiPfP15HIP_vector_typeIfLj2EEffffjfiS5_IjLj3EEiiiiiiiiiiiliiliiiiil,"axG",@progbits,_ZL15flash_attn_tileILi128ELi128ELi16ELi4ELb0EEvPKcS1_S1_S1_S1_PKiPfP15HIP_vector_typeIfLj2EEffffjfiS5_IjLj3EEiiiiiiiiiiiliiliiiiil,comdat
.Lfunc_end17:
	.size	_ZL15flash_attn_tileILi128ELi128ELi16ELi4ELb0EEvPKcS1_S1_S1_S1_PKiPfP15HIP_vector_typeIfLj2EEffffjfiS5_IjLj3EEiiiiiiiiiiiliiliiiiil, .Lfunc_end17-_ZL15flash_attn_tileILi128ELi128ELi16ELi4ELb0EEvPKcS1_S1_S1_S1_PKiPfP15HIP_vector_typeIfLj2EEffffjfiS5_IjLj3EEiiiiiiiiiiiliiliiiiil
                                        ; -- End function
	.set _ZL15flash_attn_tileILi128ELi128ELi16ELi4ELb0EEvPKcS1_S1_S1_S1_PKiPfP15HIP_vector_typeIfLj2EEffffjfiS5_IjLj3EEiiiiiiiiiiiliiliiiiil.num_vgpr, 228
	.set _ZL15flash_attn_tileILi128ELi128ELi16ELi4ELb0EEvPKcS1_S1_S1_S1_PKiPfP15HIP_vector_typeIfLj2EEffffjfiS5_IjLj3EEiiiiiiiiiiiliiliiiiil.num_agpr, 0
	.set _ZL15flash_attn_tileILi128ELi128ELi16ELi4ELb0EEvPKcS1_S1_S1_S1_PKiPfP15HIP_vector_typeIfLj2EEffffjfiS5_IjLj3EEiiiiiiiiiiiliiliiiiil.numbered_sgpr, 62
	.set _ZL15flash_attn_tileILi128ELi128ELi16ELi4ELb0EEvPKcS1_S1_S1_S1_PKiPfP15HIP_vector_typeIfLj2EEffffjfiS5_IjLj3EEiiiiiiiiiiiliiliiiiil.num_named_barrier, 0
	.set _ZL15flash_attn_tileILi128ELi128ELi16ELi4ELb0EEvPKcS1_S1_S1_S1_PKiPfP15HIP_vector_typeIfLj2EEffffjfiS5_IjLj3EEiiiiiiiiiiiliiliiiiil.private_seg_size, 0
	.set _ZL15flash_attn_tileILi128ELi128ELi16ELi4ELb0EEvPKcS1_S1_S1_S1_PKiPfP15HIP_vector_typeIfLj2EEffffjfiS5_IjLj3EEiiiiiiiiiiiliiliiiiil.uses_vcc, 1
	.set _ZL15flash_attn_tileILi128ELi128ELi16ELi4ELb0EEvPKcS1_S1_S1_S1_PKiPfP15HIP_vector_typeIfLj2EEffffjfiS5_IjLj3EEiiiiiiiiiiiliiliiiiil.uses_flat_scratch, 0
	.set _ZL15flash_attn_tileILi128ELi128ELi16ELi4ELb0EEvPKcS1_S1_S1_S1_PKiPfP15HIP_vector_typeIfLj2EEffffjfiS5_IjLj3EEiiiiiiiiiiiliiliiiiil.has_dyn_sized_stack, 0
	.set _ZL15flash_attn_tileILi128ELi128ELi16ELi4ELb0EEvPKcS1_S1_S1_S1_PKiPfP15HIP_vector_typeIfLj2EEffffjfiS5_IjLj3EEiiiiiiiiiiiliiliiiiil.has_recursion, 0
	.set _ZL15flash_attn_tileILi128ELi128ELi16ELi4ELb0EEvPKcS1_S1_S1_S1_PKiPfP15HIP_vector_typeIfLj2EEffffjfiS5_IjLj3EEiiiiiiiiiiiliiliiiiil.has_indirect_call, 0
	.section	.AMDGPU.csdata,"",@progbits
; Kernel info:
; codeLenInByte = 48172
; TotalNumSgprs: 64
; NumVgprs: 228
; ScratchSize: 0
; MemoryBound: 0
; FloatMode: 240
; IeeeMode: 1
; LDSByteSize: 33792 bytes/workgroup (compile time only)
; SGPRBlocks: 0
; VGPRBlocks: 28
; NumSGPRsForWavesPerEU: 64
; NumVGPRsForWavesPerEU: 228
; Occupancy: 4
; WaveLimiterHint : 1
; COMPUTE_PGM_RSRC2:SCRATCH_EN: 0
; COMPUTE_PGM_RSRC2:USER_SGPR: 6
; COMPUTE_PGM_RSRC2:TRAP_HANDLER: 0
; COMPUTE_PGM_RSRC2:TGID_X_EN: 1
; COMPUTE_PGM_RSRC2:TGID_Y_EN: 1
; COMPUTE_PGM_RSRC2:TGID_Z_EN: 1
; COMPUTE_PGM_RSRC2:TIDIG_COMP_CNT: 1
	.section	.text._ZL25flash_attn_mask_to_KV_maxILi16EEvPK7__half2Piiii,"axG",@progbits,_ZL25flash_attn_mask_to_KV_maxILi16EEvPK7__half2Piiii,comdat
	.globl	_ZL25flash_attn_mask_to_KV_maxILi16EEvPK7__half2Piiii ; -- Begin function _ZL25flash_attn_mask_to_KV_maxILi16EEvPK7__half2Piiii
	.p2align	8
	.type	_ZL25flash_attn_mask_to_KV_maxILi16EEvPK7__half2Piiii,@function
_ZL25flash_attn_mask_to_KV_maxILi16EEvPK7__half2Piiii: ; @_ZL25flash_attn_mask_to_KV_maxILi16EEvPK7__half2Piiii
; %bb.0:
	s_load_dwordx4 s[8:11], s[4:5], 0x0
	s_mov_b32 s0, exec_lo
	v_cmpx_gt_u32_e32 32, v0
; %bb.1:
	v_lshlrev_b32_e32 v1, 2, v0
	v_mov_b32_e32 v2, 1
	ds_write_b32 v1, v2
; %bb.2:
	s_or_b32 exec_lo, exec_lo, s0
	s_clause 0x1
	s_load_dwordx4 s[12:15], s[4:5], 0x10
	s_load_dword s1, s[4:5], 0x20
	v_and_b32_e32 v1, 31, v0
	v_lshrrev_b32_e32 v5, 3, v0
	v_mov_b32_e32 v2, 0
	v_mov_b32_e32 v6, 0x204
	s_waitcnt lgkmcnt(0)
	v_lshlrev_b32_e32 v7, 2, v1
	s_barrier
	buffer_gl0_inv
	s_mul_i32 s0, s6, s13
	s_mul_i32 s2, s14, s7
	s_lshl_b32 s0, s0, 4
	s_add_i32 s2, s2, s0
	v_cmp_eq_u32_e64 s0, 0, v1
	s_ashr_i32 s3, s2, 31
	s_lshl_b64 s[4:5], s[2:3], 2
	s_add_u32 s3, s8, s4
	s_addc_u32 s4, s9, s5
	s_lshl_b32 s5, s12, 8
	s_branch .LBB18_4
.LBB18_3:                               ;   in Loop: Header=BB18_4 Depth=1
	s_or_b32 exec_lo, exec_lo, s8
	s_waitcnt lgkmcnt(0)
	s_barrier
	buffer_gl0_inv
	ds_read_b32 v1, v7
	s_waitcnt lgkmcnt(0)
	s_barrier
	buffer_gl0_inv
	v_cmp_ne_u32_e32 vcc_lo, 0, v1
	s_cmp_lg_u32 vcc_lo, exec_lo
	s_cselect_b32 s8, -1, 0
	s_and_b32 vcc_lo, exec_lo, s8
	s_cbranch_vccnz .LBB18_68
.LBB18_4:                               ; =>This Inner Loop Header: Depth=1
	s_mov_b32 s2, s5
	s_addk_i32 s5, 0xff00
	s_cmp_lt_i32 s5, 0
	s_cbranch_scc1 .LBB18_67
; %bb.5:                                ;   in Loop: Header=BB18_4 Depth=1
	s_lshr_b32 s8, s5, 1
	v_add_nc_u32_e32 v1, s8, v0
	v_lshlrev_b64 v[3:4], 2, v[1:2]
	v_add_co_u32 v3, vcc_lo, s3, v3
	v_add_co_ci_u32_e64 v4, null, s4, v4, vcc_lo
	global_load_dword v3, v[3:4], off
	s_waitcnt vmcnt(0)
	v_cmp_class_f16_e64 s8, v3, 0x204
	v_cmp_class_f16_sdwa s9, v3, v6 src0_sel:WORD_1 src1_sel:DWORD
	s_and_b32 s12, s8, s9
	s_mov_b32 s9, 0
	s_and_saveexec_b32 s8, s12
	s_cbranch_execz .LBB18_65
; %bb.6:                                ;   in Loop: Header=BB18_4 Depth=1
	v_add_nc_u32_e32 v3, s13, v1
	s_mov_b32 s12, 0
	v_ashrrev_i32_e32 v4, 31, v3
	v_lshlrev_b64 v[8:9], 2, v[3:4]
	v_add_co_u32 v8, vcc_lo, s3, v8
	v_add_co_ci_u32_e64 v9, null, s4, v9, vcc_lo
	global_load_dword v1, v[8:9], off
	s_waitcnt vmcnt(0)
	v_cmp_class_f16_e64 s14, v1, 0x204
	s_and_saveexec_b32 s9, s14
	s_cbranch_execz .LBB18_64
; %bb.7:                                ;   in Loop: Header=BB18_4 Depth=1
	v_cmp_class_f16_sdwa s15, v1, v6 src0_sel:WORD_1 src1_sel:DWORD
	s_mov_b32 s14, 0
	s_and_saveexec_b32 s12, s15
	s_cbranch_execz .LBB18_63
; %bb.8:                                ;   in Loop: Header=BB18_4 Depth=1
	v_add_nc_u32_e32 v3, s13, v3
	s_mov_b32 s15, 0
	v_ashrrev_i32_e32 v4, 31, v3
	v_lshlrev_b64 v[8:9], 2, v[3:4]
	v_add_co_u32 v8, vcc_lo, s3, v8
	v_add_co_ci_u32_e64 v9, null, s4, v9, vcc_lo
	global_load_dword v1, v[8:9], off
	s_waitcnt vmcnt(0)
	v_cmp_class_f16_e64 s16, v1, 0x204
	s_and_saveexec_b32 s14, s16
	s_cbranch_execz .LBB18_62
; %bb.9:                                ;   in Loop: Header=BB18_4 Depth=1
	v_cmp_class_f16_sdwa s17, v1, v6 src0_sel:WORD_1 src1_sel:DWORD
	s_mov_b32 s16, 0
	s_and_saveexec_b32 s15, s17
	s_cbranch_execz .LBB18_61
; %bb.10:                               ;   in Loop: Header=BB18_4 Depth=1
	v_add_nc_u32_e32 v3, s13, v3
	s_mov_b32 s17, 0
	v_ashrrev_i32_e32 v4, 31, v3
	v_lshlrev_b64 v[8:9], 2, v[3:4]
	v_add_co_u32 v8, vcc_lo, s3, v8
	v_add_co_ci_u32_e64 v9, null, s4, v9, vcc_lo
	global_load_dword v1, v[8:9], off
	s_waitcnt vmcnt(0)
	v_cmp_class_f16_e64 s18, v1, 0x204
	s_and_saveexec_b32 s16, s18
	s_cbranch_execz .LBB18_60
; %bb.11:                               ;   in Loop: Header=BB18_4 Depth=1
	v_cmp_class_f16_sdwa s19, v1, v6 src0_sel:WORD_1 src1_sel:DWORD
	s_mov_b32 s18, 0
	s_and_saveexec_b32 s17, s19
	s_cbranch_execz .LBB18_59
; %bb.12:                               ;   in Loop: Header=BB18_4 Depth=1
	v_add_nc_u32_e32 v3, s13, v3
	s_mov_b32 s19, 0
	v_ashrrev_i32_e32 v4, 31, v3
	v_lshlrev_b64 v[8:9], 2, v[3:4]
	v_add_co_u32 v8, vcc_lo, s3, v8
	v_add_co_ci_u32_e64 v9, null, s4, v9, vcc_lo
	global_load_dword v1, v[8:9], off
	s_waitcnt vmcnt(0)
	v_cmp_class_f16_e64 s20, v1, 0x204
	s_and_saveexec_b32 s18, s20
	s_cbranch_execz .LBB18_58
; %bb.13:                               ;   in Loop: Header=BB18_4 Depth=1
	;; [unrolled: 17-line block ×12, first 2 shown]
	v_cmp_class_f16_sdwa s42, v1, v6 src0_sel:WORD_1 src1_sel:DWORD
	s_mov_b32 s41, 0
	s_and_saveexec_b32 s40, s42
	s_cbranch_execz .LBB18_37
; %bb.34:                               ;   in Loop: Header=BB18_4 Depth=1
	v_add_nc_u32_e32 v3, s13, v3
	v_ashrrev_i32_e32 v4, 31, v3
	v_lshlrev_b64 v[3:4], 2, v[3:4]
	v_add_co_u32 v3, vcc_lo, s3, v3
	v_add_co_ci_u32_e64 v4, null, s4, v4, vcc_lo
	global_load_dword v1, v[3:4], off
	s_waitcnt vmcnt(0)
	v_cmp_class_f16_e64 s43, v1, 0x204
	s_and_saveexec_b32 s42, s43
; %bb.35:                               ;   in Loop: Header=BB18_4 Depth=1
	v_cmp_class_f16_sdwa s41, v1, v6 src0_sel:WORD_1 src1_sel:DWORD
	s_and_b32 s41, s41, exec_lo
; %bb.36:                               ;   in Loop: Header=BB18_4 Depth=1
	s_or_b32 exec_lo, exec_lo, s42
	s_and_b32 s41, s41, exec_lo
.LBB18_37:                              ;   in Loop: Header=BB18_4 Depth=1
	s_or_b32 exec_lo, exec_lo, s40
	s_and_b32 s40, s41, exec_lo
.LBB18_38:                              ;   in Loop: Header=BB18_4 Depth=1
	s_or_b32 exec_lo, exec_lo, s39
	s_and_b32 s39, s40, exec_lo
.LBB18_39:                              ;   in Loop: Header=BB18_4 Depth=1
	s_or_b32 exec_lo, exec_lo, s38
	s_and_b32 s38, s39, exec_lo
.LBB18_40:                              ;   in Loop: Header=BB18_4 Depth=1
	s_or_b32 exec_lo, exec_lo, s37
	s_and_b32 s37, s38, exec_lo
.LBB18_41:                              ;   in Loop: Header=BB18_4 Depth=1
	s_or_b32 exec_lo, exec_lo, s36
	s_and_b32 s36, s37, exec_lo
.LBB18_42:                              ;   in Loop: Header=BB18_4 Depth=1
	s_or_b32 exec_lo, exec_lo, s35
	s_and_b32 s35, s36, exec_lo
.LBB18_43:                              ;   in Loop: Header=BB18_4 Depth=1
	s_or_b32 exec_lo, exec_lo, s34
	s_and_b32 s34, s35, exec_lo
.LBB18_44:                              ;   in Loop: Header=BB18_4 Depth=1
	s_or_b32 exec_lo, exec_lo, s33
	s_and_b32 s33, s34, exec_lo
.LBB18_45:                              ;   in Loop: Header=BB18_4 Depth=1
	s_or_b32 exec_lo, exec_lo, s31
	s_and_b32 s31, s33, exec_lo
.LBB18_46:                              ;   in Loop: Header=BB18_4 Depth=1
	s_or_b32 exec_lo, exec_lo, s30
	s_and_b32 s30, s31, exec_lo
.LBB18_47:                              ;   in Loop: Header=BB18_4 Depth=1
	s_or_b32 exec_lo, exec_lo, s29
	s_and_b32 s29, s30, exec_lo
.LBB18_48:                              ;   in Loop: Header=BB18_4 Depth=1
	s_or_b32 exec_lo, exec_lo, s28
	s_and_b32 s28, s29, exec_lo
.LBB18_49:                              ;   in Loop: Header=BB18_4 Depth=1
	s_or_b32 exec_lo, exec_lo, s27
	s_and_b32 s27, s28, exec_lo
.LBB18_50:                              ;   in Loop: Header=BB18_4 Depth=1
	s_or_b32 exec_lo, exec_lo, s26
	s_and_b32 s26, s27, exec_lo
.LBB18_51:                              ;   in Loop: Header=BB18_4 Depth=1
	s_or_b32 exec_lo, exec_lo, s25
	s_and_b32 s25, s26, exec_lo
.LBB18_52:                              ;   in Loop: Header=BB18_4 Depth=1
	s_or_b32 exec_lo, exec_lo, s24
	s_and_b32 s24, s25, exec_lo
.LBB18_53:                              ;   in Loop: Header=BB18_4 Depth=1
	s_or_b32 exec_lo, exec_lo, s23
	s_and_b32 s23, s24, exec_lo
.LBB18_54:                              ;   in Loop: Header=BB18_4 Depth=1
	s_or_b32 exec_lo, exec_lo, s22
	s_and_b32 s22, s23, exec_lo
.LBB18_55:                              ;   in Loop: Header=BB18_4 Depth=1
	s_or_b32 exec_lo, exec_lo, s21
	s_and_b32 s21, s22, exec_lo
.LBB18_56:                              ;   in Loop: Header=BB18_4 Depth=1
	s_or_b32 exec_lo, exec_lo, s20
	s_and_b32 s20, s21, exec_lo
.LBB18_57:                              ;   in Loop: Header=BB18_4 Depth=1
	s_or_b32 exec_lo, exec_lo, s19
	s_and_b32 s19, s20, exec_lo
.LBB18_58:                              ;   in Loop: Header=BB18_4 Depth=1
	s_or_b32 exec_lo, exec_lo, s18
	s_and_b32 s18, s19, exec_lo
.LBB18_59:                              ;   in Loop: Header=BB18_4 Depth=1
	s_or_b32 exec_lo, exec_lo, s17
	s_and_b32 s17, s18, exec_lo
.LBB18_60:                              ;   in Loop: Header=BB18_4 Depth=1
	s_or_b32 exec_lo, exec_lo, s16
	s_and_b32 s16, s17, exec_lo
.LBB18_61:                              ;   in Loop: Header=BB18_4 Depth=1
	s_or_b32 exec_lo, exec_lo, s15
	s_and_b32 s15, s16, exec_lo
.LBB18_62:                              ;   in Loop: Header=BB18_4 Depth=1
	s_or_b32 exec_lo, exec_lo, s14
	s_and_b32 s14, s15, exec_lo
.LBB18_63:                              ;   in Loop: Header=BB18_4 Depth=1
	s_or_b32 exec_lo, exec_lo, s12
	s_and_b32 s12, s14, exec_lo
.LBB18_64:                              ;   in Loop: Header=BB18_4 Depth=1
	s_or_b32 exec_lo, exec_lo, s9
	s_and_b32 s9, s12, exec_lo
.LBB18_65:                              ;   in Loop: Header=BB18_4 Depth=1
	s_or_b32 exec_lo, exec_lo, s8
	v_cndmask_b32_e64 v1, 0, 1, s9
	s_mov_b32 s12, exec_lo
	v_cmp_ne_u32_e32 vcc_lo, 0, v1
	s_and_saveexec_b32 s8, s0
	s_cbranch_execz .LBB18_3
; %bb.66:                               ;   in Loop: Header=BB18_4 Depth=1
	s_cmp_eq_u32 vcc_lo, s12
	s_cselect_b32 s9, -1, 0
	v_cndmask_b32_e64 v1, 0, 1, s9
	ds_write_b32 v5, v1
	s_branch .LBB18_3
.LBB18_67:                              ;   in Loop: Header=BB18_4 Depth=1
	s_cbranch_execz .LBB18_4
.LBB18_68:
	s_mov_b32 s0, exec_lo
	v_cmpx_eq_u32_e32 0, v0
	s_cbranch_execz .LBB18_70
; %bb.69:
	s_mul_i32 s0, s1, s7
	v_mov_b32_e32 v0, 0
	s_add_i32 s0, s0, s6
	v_mov_b32_e32 v1, s2
	s_ashr_i32 s1, s0, 31
	s_lshl_b64 s[0:1], s[0:1], 2
	s_add_u32 s0, s10, s0
	s_addc_u32 s1, s11, s1
	global_store_dword v0, v1, s[0:1]
.LBB18_70:
	s_endpgm
	.section	.rodata,"a",@progbits
	.p2align	6, 0x0
	.amdhsa_kernel _ZL25flash_attn_mask_to_KV_maxILi16EEvPK7__half2Piiii
		.amdhsa_group_segment_fixed_size 128
		.amdhsa_private_segment_fixed_size 0
		.amdhsa_kernarg_size 288
		.amdhsa_user_sgpr_count 6
		.amdhsa_user_sgpr_private_segment_buffer 1
		.amdhsa_user_sgpr_dispatch_ptr 0
		.amdhsa_user_sgpr_queue_ptr 0
		.amdhsa_user_sgpr_kernarg_segment_ptr 1
		.amdhsa_user_sgpr_dispatch_id 0
		.amdhsa_user_sgpr_flat_scratch_init 0
		.amdhsa_user_sgpr_private_segment_size 0
		.amdhsa_wavefront_size32 1
		.amdhsa_uses_dynamic_stack 0
		.amdhsa_system_sgpr_private_segment_wavefront_offset 0
		.amdhsa_system_sgpr_workgroup_id_x 1
		.amdhsa_system_sgpr_workgroup_id_y 1
		.amdhsa_system_sgpr_workgroup_id_z 0
		.amdhsa_system_sgpr_workgroup_info 0
		.amdhsa_system_vgpr_workitem_id 0
		.amdhsa_next_free_vgpr 10
		.amdhsa_next_free_sgpr 44
		.amdhsa_reserve_vcc 1
		.amdhsa_reserve_flat_scratch 0
		.amdhsa_float_round_mode_32 0
		.amdhsa_float_round_mode_16_64 0
		.amdhsa_float_denorm_mode_32 3
		.amdhsa_float_denorm_mode_16_64 3
		.amdhsa_dx10_clamp 1
		.amdhsa_ieee_mode 1
		.amdhsa_fp16_overflow 0
		.amdhsa_workgroup_processor_mode 1
		.amdhsa_memory_ordered 1
		.amdhsa_forward_progress 1
		.amdhsa_shared_vgpr_count 0
		.amdhsa_exception_fp_ieee_invalid_op 0
		.amdhsa_exception_fp_denorm_src 0
		.amdhsa_exception_fp_ieee_div_zero 0
		.amdhsa_exception_fp_ieee_overflow 0
		.amdhsa_exception_fp_ieee_underflow 0
		.amdhsa_exception_fp_ieee_inexact 0
		.amdhsa_exception_int_div_zero 0
	.end_amdhsa_kernel
	.section	.text._ZL25flash_attn_mask_to_KV_maxILi16EEvPK7__half2Piiii,"axG",@progbits,_ZL25flash_attn_mask_to_KV_maxILi16EEvPK7__half2Piiii,comdat
.Lfunc_end18:
	.size	_ZL25flash_attn_mask_to_KV_maxILi16EEvPK7__half2Piiii, .Lfunc_end18-_ZL25flash_attn_mask_to_KV_maxILi16EEvPK7__half2Piiii
                                        ; -- End function
	.set _ZL25flash_attn_mask_to_KV_maxILi16EEvPK7__half2Piiii.num_vgpr, 10
	.set _ZL25flash_attn_mask_to_KV_maxILi16EEvPK7__half2Piiii.num_agpr, 0
	.set _ZL25flash_attn_mask_to_KV_maxILi16EEvPK7__half2Piiii.numbered_sgpr, 44
	.set _ZL25flash_attn_mask_to_KV_maxILi16EEvPK7__half2Piiii.num_named_barrier, 0
	.set _ZL25flash_attn_mask_to_KV_maxILi16EEvPK7__half2Piiii.private_seg_size, 0
	.set _ZL25flash_attn_mask_to_KV_maxILi16EEvPK7__half2Piiii.uses_vcc, 1
	.set _ZL25flash_attn_mask_to_KV_maxILi16EEvPK7__half2Piiii.uses_flat_scratch, 0
	.set _ZL25flash_attn_mask_to_KV_maxILi16EEvPK7__half2Piiii.has_dyn_sized_stack, 0
	.set _ZL25flash_attn_mask_to_KV_maxILi16EEvPK7__half2Piiii.has_recursion, 0
	.set _ZL25flash_attn_mask_to_KV_maxILi16EEvPK7__half2Piiii.has_indirect_call, 0
	.section	.AMDGPU.csdata,"",@progbits
; Kernel info:
; codeLenInByte = 1956
; TotalNumSgprs: 46
; NumVgprs: 10
; ScratchSize: 0
; MemoryBound: 0
; FloatMode: 240
; IeeeMode: 1
; LDSByteSize: 128 bytes/workgroup (compile time only)
; SGPRBlocks: 0
; VGPRBlocks: 1
; NumSGPRsForWavesPerEU: 46
; NumVGPRsForWavesPerEU: 10
; Occupancy: 16
; WaveLimiterHint : 0
; COMPUTE_PGM_RSRC2:SCRATCH_EN: 0
; COMPUTE_PGM_RSRC2:USER_SGPR: 6
; COMPUTE_PGM_RSRC2:TRAP_HANDLER: 0
; COMPUTE_PGM_RSRC2:TGID_X_EN: 1
; COMPUTE_PGM_RSRC2:TGID_Y_EN: 1
; COMPUTE_PGM_RSRC2:TGID_Z_EN: 0
; COMPUTE_PGM_RSRC2:TIDIG_COMP_CNT: 0
	.section	.text._ZL33flash_attn_stream_k_fixup_uniformILi128ELi16ELi4EEvPfPK15HIP_vector_typeIfLj2EEiiiiiiS1_IjLj3EES5_S5_,"axG",@progbits,_ZL33flash_attn_stream_k_fixup_uniformILi128ELi16ELi4EEvPfPK15HIP_vector_typeIfLj2EEiiiiiiS1_IjLj3EES5_S5_,comdat
	.globl	_ZL33flash_attn_stream_k_fixup_uniformILi128ELi16ELi4EEvPfPK15HIP_vector_typeIfLj2EEiiiiiiS1_IjLj3EES5_S5_ ; -- Begin function _ZL33flash_attn_stream_k_fixup_uniformILi128ELi16ELi4EEvPfPK15HIP_vector_typeIfLj2EEiiiiiiS1_IjLj3EES5_S5_
	.p2align	8
	.type	_ZL33flash_attn_stream_k_fixup_uniformILi128ELi16ELi4EEvPfPK15HIP_vector_typeIfLj2EEiiiiiiS1_IjLj3EES5_S5_,@function
_ZL33flash_attn_stream_k_fixup_uniformILi128ELi16ELi4EEvPfPK15HIP_vector_typeIfLj2EEiiiiiiS1_IjLj3EES5_S5_: ; @_ZL33flash_attn_stream_k_fixup_uniformILi128ELi16ELi4EEvPfPK15HIP_vector_typeIfLj2EEiiiiiiS1_IjLj3EES5_S5_
; %bb.0:
	s_clause 0x2
	s_load_dwordx8 s[12:19], s[4:5], 0x1c
	s_load_dwordx4 s[20:23], s[4:5], 0x3c
	s_load_dwordx2 s[10:11], s[4:5], 0x10
	s_waitcnt lgkmcnt(0)
	s_mul_hi_u32 s0, s15, s6
	s_add_i32 s0, s6, s0
	s_lshr_b32 s0, s0, s16
	s_mul_i32 s1, s0, s17
	s_sub_i32 s2, s6, s1
	s_mul_hi_u32 s1, s2, s18
	s_add_i32 s1, s2, s1
	s_lshr_b32 s1, s1, s19
	s_mul_i32 s3, s1, s20
	s_sub_i32 s2, s2, s3
	s_mul_hi_u32 s3, s2, s21
	s_add_i32 s3, s2, s3
	s_lshr_b32 s3, s3, s22
	s_mul_i32 s9, s3, s23
	s_lshl_b32 s15, s3, 2
	s_sub_i32 s9, s2, s9
	s_lshl_b32 s2, s9, 4
	s_add_i32 s2, s2, s7
	s_cmp_lt_i32 s2, s10
	s_cselect_b32 s2, -1, 0
	s_add_i32 s3, s15, s8
	s_cmp_lt_i32 s3, s13
	s_cselect_b32 s3, -1, 0
	s_and_b32 s2, s2, s3
	s_andn2_b32 vcc_lo, exec_lo, s2
	s_cbranch_vccnz .LBB19_6
; %bb.1:
	s_mul_i32 s0, s0, s10
	s_mul_i32 s10, s1, s13
	s_add_i32 s0, s0, s7
	s_mul_i32 s0, s0, s11
	s_add_i32 s13, s0, s8
	s_load_dwordx4 s[0:3], s[4:5], 0x0
	s_add_i32 s4, s13, s10
	s_mul_i32 s5, s11, s9
	s_add_i32 s4, s4, s15
	s_lshl_b32 s5, s5, 11
	s_lshl_b32 s4, s4, 7
	;; [unrolled: 1-line block ×3, first 2 shown]
	s_add_i32 s5, s5, s4
	s_mul_i32 s4, s14, s6
	v_or_b32_e32 v1, s5, v0
	s_add_i32 s11, s4, s14
	v_ashrrev_i32_e32 v2, 31, v1
	v_lshlrev_b64 v[1:2], 2, v[1:2]
	s_waitcnt lgkmcnt(0)
	v_add_co_u32 v1, vcc_lo, s0, v1
	v_add_co_ci_u32_e64 v2, null, s1, v2, vcc_lo
	s_add_i32 s0, s10, s8
	s_lshl_b32 s1, s11, 6
	s_add_i32 s0, s0, s1
	global_load_dword v5, v[1:2], off
	s_sub_i32 s0, s0, 64
	s_ashr_i32 s1, s0, 31
	s_lshl_b64 s[0:1], s[0:1], 3
	s_add_u32 s0, s2, s0
	s_addc_u32 s1, s3, s1
	s_add_i32 s5, s11, -2
	s_load_dword s13, s[0:1], 0x4
	s_cmp_lt_i32 s5, s4
	s_cbranch_scc1 .LBB19_4
; %bb.2:
	s_lshl_b32 s16, s12, 8
	s_load_dword s15, s[0:1], 0x0
	s_ashr_i32 s17, s16, 31
	s_waitcnt lgkmcnt(0)
	v_mov_b32_e32 v6, s13
	s_lshl_b64 s[0:1], s[16:17], 2
	s_add_u32 s5, s2, s0
	s_addc_u32 s9, s3, s1
	s_add_i32 s6, s6, 1
	s_lshl_b32 s0, s7, 9
	s_lshl_b32 s1, s8, 7
	s_mul_i32 s6, s14, s6
	s_add_i32 s0, s1, s0
	s_lshl_b32 s1, s6, 13
	s_add_i32 s0, s0, s1
	s_lshl_b32 s1, s6, 6
	v_or_b32_e32 v0, s0, v0
	s_lshl_b32 s0, s12, 6
	s_add_i32 s1, s8, s1
	s_add_i32 s6, s11, -1
	s_add_i32 s0, s1, s0
	v_add_nc_u32_e32 v3, 0xffffc000, v0
	v_mov_b32_e32 v0, s15
	s_add_i32 s0, s0, s10
	s_addk_i32 s0, 0xff80
.LBB19_3:                               ; =>This Inner Loop Header: Depth=1
	v_ashrrev_i32_e32 v4, 31, v3
	s_ashr_i32 s1, s0, 31
	s_lshl_b64 s[10:11], s[0:1], 3
	s_add_u32 s10, s2, s10
	v_lshlrev_b64 v[7:8], 2, v[3:4]
	s_addc_u32 s11, s3, s11
	v_add_nc_u32_e32 v3, 0xffffe000, v3
	s_add_i32 s6, s6, -1
	s_sub_i32 s0, s0, 64
	s_cmp_le_i32 s6, s4
	v_add_co_u32 v7, vcc_lo, s5, v7
	v_add_co_ci_u32_e64 v8, null, s9, v8, vcc_lo
	s_load_dwordx2 s[10:11], s[10:11], 0x0
	global_load_dword v4, v[7:8], off
	v_max_f32_e32 v7, v0, v0
	s_waitcnt lgkmcnt(0)
	v_max_f32_e64 v8, s10, s10
	v_max_f32_e32 v7, v7, v8
	v_sub_f32_e32 v8, s10, v7
	v_sub_f32_e32 v0, v0, v7
	v_mul_f32_e32 v9, 0x3fb8aa3b, v8
	v_mul_f32_e32 v12, 0x3fb8aa3b, v0
	v_cmp_ngt_f32_e32 vcc_lo, 0xc2ce8ed0, v8
	v_fma_f32 v10, 0x3fb8aa3b, v8, -v9
	v_rndne_f32_e32 v11, v9
	v_fma_f32 v13, 0x3fb8aa3b, v0, -v12
	v_rndne_f32_e32 v14, v12
	v_fmac_f32_e32 v10, 0x32a5705f, v8
	v_sub_f32_e32 v9, v9, v11
	v_fmac_f32_e32 v13, 0x32a5705f, v0
	v_cvt_i32_f32_e32 v11, v11
	v_add_f32_e32 v9, v9, v10
	v_sub_f32_e32 v10, v12, v14
	v_exp_f32_e32 v9, v9
	v_add_f32_e32 v10, v10, v13
	v_exp_f32_e32 v10, v10
	v_ldexp_f32 v9, v9, v11
	v_cvt_i32_f32_e32 v11, v14
	v_cndmask_b32_e32 v9, 0, v9, vcc_lo
	v_cmp_nlt_f32_e32 vcc_lo, 0x42b17218, v8
	v_ldexp_f32 v10, v10, v11
	v_mov_b32_e32 v11, v6
	v_cndmask_b32_e32 v9, 0x7f800000, v9, vcc_lo
	v_cmp_ngt_f32_e32 vcc_lo, 0xc2ce8ed0, v0
	v_cndmask_b32_e32 v10, 0, v10, vcc_lo
	v_cmp_le_f32_e32 vcc_lo, 0xc1a00000, v8
	v_cndmask_b32_e32 v8, 0, v9, vcc_lo
	v_cmp_nlt_f32_e32 vcc_lo, 0x42b17218, v0
	s_waitcnt vmcnt(1)
	v_mov_b32_e32 v9, v5
	v_cndmask_b32_e32 v5, 0x7f800000, v10, vcc_lo
	v_mul_f32_e32 v10, s11, v8
	v_cmp_le_f32_e32 vcc_lo, 0xc1a00000, v0
	v_mov_b32_e32 v0, v7
	v_mov_b32_e32 v6, v10
	v_cndmask_b32_e32 v12, 0, v5, vcc_lo
	v_fmac_f32_e32 v6, v11, v12
	s_waitcnt vmcnt(0)
	v_mul_f32_e32 v5, v4, v8
	v_fmac_f32_e32 v5, v9, v12
	s_cbranch_scc0 .LBB19_3
	s_branch .LBB19_5
.LBB19_4:
	s_waitcnt lgkmcnt(0)
	v_mov_b32_e32 v6, s13
.LBB19_5:
	s_waitcnt vmcnt(0)
	v_div_scale_f32 v0, null, v6, v6, v5
	v_rcp_f32_e32 v3, v0
	v_fma_f32 v4, -v0, v3, 1.0
	v_fmac_f32_e32 v3, v4, v3
	v_div_scale_f32 v4, vcc_lo, v5, v6, v5
	v_mul_f32_e32 v7, v4, v3
	v_fma_f32 v8, -v0, v7, v4
	v_fmac_f32_e32 v7, v8, v3
	v_fma_f32 v0, -v0, v7, v4
	v_div_fmas_f32 v0, v0, v3, v7
	v_div_fixup_f32 v0, v0, v6, v5
	global_store_dword v[1:2], v0, off
.LBB19_6:
	s_endpgm
	.section	.rodata,"a",@progbits
	.p2align	6, 0x0
	.amdhsa_kernel _ZL33flash_attn_stream_k_fixup_uniformILi128ELi16ELi4EEvPfPK15HIP_vector_typeIfLj2EEiiiiiiS1_IjLj3EES5_S5_
		.amdhsa_group_segment_fixed_size 0
		.amdhsa_private_segment_fixed_size 0
		.amdhsa_kernarg_size 76
		.amdhsa_user_sgpr_count 6
		.amdhsa_user_sgpr_private_segment_buffer 1
		.amdhsa_user_sgpr_dispatch_ptr 0
		.amdhsa_user_sgpr_queue_ptr 0
		.amdhsa_user_sgpr_kernarg_segment_ptr 1
		.amdhsa_user_sgpr_dispatch_id 0
		.amdhsa_user_sgpr_flat_scratch_init 0
		.amdhsa_user_sgpr_private_segment_size 0
		.amdhsa_wavefront_size32 1
		.amdhsa_uses_dynamic_stack 0
		.amdhsa_system_sgpr_private_segment_wavefront_offset 0
		.amdhsa_system_sgpr_workgroup_id_x 1
		.amdhsa_system_sgpr_workgroup_id_y 1
		.amdhsa_system_sgpr_workgroup_id_z 1
		.amdhsa_system_sgpr_workgroup_info 0
		.amdhsa_system_vgpr_workitem_id 0
		.amdhsa_next_free_vgpr 15
		.amdhsa_next_free_sgpr 24
		.amdhsa_reserve_vcc 1
		.amdhsa_reserve_flat_scratch 0
		.amdhsa_float_round_mode_32 0
		.amdhsa_float_round_mode_16_64 0
		.amdhsa_float_denorm_mode_32 3
		.amdhsa_float_denorm_mode_16_64 3
		.amdhsa_dx10_clamp 1
		.amdhsa_ieee_mode 1
		.amdhsa_fp16_overflow 0
		.amdhsa_workgroup_processor_mode 1
		.amdhsa_memory_ordered 1
		.amdhsa_forward_progress 1
		.amdhsa_shared_vgpr_count 0
		.amdhsa_exception_fp_ieee_invalid_op 0
		.amdhsa_exception_fp_denorm_src 0
		.amdhsa_exception_fp_ieee_div_zero 0
		.amdhsa_exception_fp_ieee_overflow 0
		.amdhsa_exception_fp_ieee_underflow 0
		.amdhsa_exception_fp_ieee_inexact 0
		.amdhsa_exception_int_div_zero 0
	.end_amdhsa_kernel
	.section	.text._ZL33flash_attn_stream_k_fixup_uniformILi128ELi16ELi4EEvPfPK15HIP_vector_typeIfLj2EEiiiiiiS1_IjLj3EES5_S5_,"axG",@progbits,_ZL33flash_attn_stream_k_fixup_uniformILi128ELi16ELi4EEvPfPK15HIP_vector_typeIfLj2EEiiiiiiS1_IjLj3EES5_S5_,comdat
.Lfunc_end19:
	.size	_ZL33flash_attn_stream_k_fixup_uniformILi128ELi16ELi4EEvPfPK15HIP_vector_typeIfLj2EEiiiiiiS1_IjLj3EES5_S5_, .Lfunc_end19-_ZL33flash_attn_stream_k_fixup_uniformILi128ELi16ELi4EEvPfPK15HIP_vector_typeIfLj2EEiiiiiiS1_IjLj3EES5_S5_
                                        ; -- End function
	.set _ZL33flash_attn_stream_k_fixup_uniformILi128ELi16ELi4EEvPfPK15HIP_vector_typeIfLj2EEiiiiiiS1_IjLj3EES5_S5_.num_vgpr, 15
	.set _ZL33flash_attn_stream_k_fixup_uniformILi128ELi16ELi4EEvPfPK15HIP_vector_typeIfLj2EEiiiiiiS1_IjLj3EES5_S5_.num_agpr, 0
	.set _ZL33flash_attn_stream_k_fixup_uniformILi128ELi16ELi4EEvPfPK15HIP_vector_typeIfLj2EEiiiiiiS1_IjLj3EES5_S5_.numbered_sgpr, 24
	.set _ZL33flash_attn_stream_k_fixup_uniformILi128ELi16ELi4EEvPfPK15HIP_vector_typeIfLj2EEiiiiiiS1_IjLj3EES5_S5_.num_named_barrier, 0
	.set _ZL33flash_attn_stream_k_fixup_uniformILi128ELi16ELi4EEvPfPK15HIP_vector_typeIfLj2EEiiiiiiS1_IjLj3EES5_S5_.private_seg_size, 0
	.set _ZL33flash_attn_stream_k_fixup_uniformILi128ELi16ELi4EEvPfPK15HIP_vector_typeIfLj2EEiiiiiiS1_IjLj3EES5_S5_.uses_vcc, 1
	.set _ZL33flash_attn_stream_k_fixup_uniformILi128ELi16ELi4EEvPfPK15HIP_vector_typeIfLj2EEiiiiiiS1_IjLj3EES5_S5_.uses_flat_scratch, 0
	.set _ZL33flash_attn_stream_k_fixup_uniformILi128ELi16ELi4EEvPfPK15HIP_vector_typeIfLj2EEiiiiiiS1_IjLj3EES5_S5_.has_dyn_sized_stack, 0
	.set _ZL33flash_attn_stream_k_fixup_uniformILi128ELi16ELi4EEvPfPK15HIP_vector_typeIfLj2EEiiiiiiS1_IjLj3EES5_S5_.has_recursion, 0
	.set _ZL33flash_attn_stream_k_fixup_uniformILi128ELi16ELi4EEvPfPK15HIP_vector_typeIfLj2EEiiiiiiS1_IjLj3EES5_S5_.has_indirect_call, 0
	.section	.AMDGPU.csdata,"",@progbits
; Kernel info:
; codeLenInByte = 848
; TotalNumSgprs: 26
; NumVgprs: 15
; ScratchSize: 0
; MemoryBound: 0
; FloatMode: 240
; IeeeMode: 1
; LDSByteSize: 0 bytes/workgroup (compile time only)
; SGPRBlocks: 0
; VGPRBlocks: 1
; NumSGPRsForWavesPerEU: 26
; NumVGPRsForWavesPerEU: 15
; Occupancy: 16
; WaveLimiterHint : 0
; COMPUTE_PGM_RSRC2:SCRATCH_EN: 0
; COMPUTE_PGM_RSRC2:USER_SGPR: 6
; COMPUTE_PGM_RSRC2:TRAP_HANDLER: 0
; COMPUTE_PGM_RSRC2:TGID_X_EN: 1
; COMPUTE_PGM_RSRC2:TGID_Y_EN: 1
; COMPUTE_PGM_RSRC2:TGID_Z_EN: 1
; COMPUTE_PGM_RSRC2:TIDIG_COMP_CNT: 0
	.section	.text._ZL33flash_attn_stream_k_fixup_generalILi128ELi16ELi4EEvPfPK15HIP_vector_typeIfLj2EEiiiiS1_IjLj3EES5_S5_S5_,"axG",@progbits,_ZL33flash_attn_stream_k_fixup_generalILi128ELi16ELi4EEvPfPK15HIP_vector_typeIfLj2EEiiiiS1_IjLj3EES5_S5_S5_,comdat
	.globl	_ZL33flash_attn_stream_k_fixup_generalILi128ELi16ELi4EEvPfPK15HIP_vector_typeIfLj2EEiiiiS1_IjLj3EES5_S5_S5_ ; -- Begin function _ZL33flash_attn_stream_k_fixup_generalILi128ELi16ELi4EEvPfPK15HIP_vector_typeIfLj2EEiiiiS1_IjLj3EES5_S5_S5_
	.p2align	8
	.type	_ZL33flash_attn_stream_k_fixup_generalILi128ELi16ELi4EEvPfPK15HIP_vector_typeIfLj2EEiiiiS1_IjLj3EES5_S5_S5_,@function
_ZL33flash_attn_stream_k_fixup_generalILi128ELi16ELi4EEvPfPK15HIP_vector_typeIfLj2EEiiiiS1_IjLj3EES5_S5_S5_: ; @_ZL33flash_attn_stream_k_fixup_generalILi128ELi16ELi4EEvPfPK15HIP_vector_typeIfLj2EEiiiiS1_IjLj3EES5_S5_S5_
; %bb.0:
	s_clause 0x1
	s_load_dwordx4 s[0:3], s[4:5], 0x10
	s_load_dword s9, s[4:5], 0x50
	s_mov_b32 s16, 0
	s_waitcnt lgkmcnt(0)
	s_mul_hi_i32 s17, s3, s6
	s_mul_i32 s18, s3, s6
	s_cmp_lg_u64 s[16:17], 0
	s_cbranch_scc0 .LBB20_21
; %bb.1:
	s_add_u32 s10, s9, 0
	s_addc_u32 s11, 0, 0
	s_xor_b64 s[10:11], s[10:11], 0
	v_cvt_f32_u32_e32 v1, s10
	v_cvt_f32_u32_e32 v2, s11
	s_sub_u32 s14, 0, s10
	s_subb_u32 s15, 0, s11
	v_fmamk_f32 v1, v2, 0x4f800000, v1
	v_rcp_f32_e32 v1, v1
	v_mul_f32_e32 v1, 0x5f7ffffc, v1
	v_mul_f32_e32 v2, 0x2f800000, v1
	v_trunc_f32_e32 v2, v2
	v_fmamk_f32 v1, v2, 0xcf800000, v1
	v_cvt_u32_f32_e32 v2, v2
	v_cvt_u32_f32_e32 v1, v1
	v_readfirstlane_b32 s12, v2
	v_readfirstlane_b32 s13, v1
	s_mul_i32 s19, s14, s12
	s_mul_hi_u32 s21, s14, s13
	s_mul_i32 s20, s15, s13
	s_add_i32 s19, s21, s19
	s_mul_i32 s22, s14, s13
	s_add_i32 s19, s19, s20
	s_mul_hi_u32 s21, s13, s22
	s_mul_i32 s24, s13, s19
	s_mul_hi_u32 s23, s12, s22
	s_mul_i32 s20, s12, s22
	s_mul_hi_u32 s22, s13, s19
	s_add_u32 s21, s21, s24
	s_addc_u32 s22, 0, s22
	s_mul_hi_u32 s25, s12, s19
	s_add_u32 s20, s21, s20
	s_mul_i32 s19, s12, s19
	s_addc_u32 s20, s22, s23
	s_addc_u32 s21, s25, 0
	s_add_u32 s19, s20, s19
	s_addc_u32 s20, 0, s21
	s_add_u32 s13, s13, s19
	s_cselect_b32 s19, -1, 0
	s_mul_hi_u32 s21, s14, s13
	s_cmp_lg_u32 s19, 0
	s_mul_i32 s19, s14, s13
	s_addc_u32 s12, s12, s20
	s_mul_i32 s15, s15, s13
	s_mul_i32 s14, s14, s12
	s_mul_hi_u32 s20, s13, s19
	s_add_i32 s14, s21, s14
	s_mul_hi_u32 s21, s12, s19
	s_add_i32 s14, s14, s15
	s_mul_i32 s15, s12, s19
	s_mul_i32 s23, s13, s14
	s_mul_hi_u32 s22, s13, s14
	s_add_u32 s20, s20, s23
	s_addc_u32 s22, 0, s22
	s_mul_hi_u32 s19, s12, s14
	s_add_u32 s15, s20, s15
	s_mul_i32 s14, s12, s14
	s_addc_u32 s15, s22, s21
	s_addc_u32 s19, s19, 0
	s_add_u32 s14, s15, s14
	s_addc_u32 s15, 0, s19
	s_add_u32 s19, s13, s14
	s_cselect_b32 s13, -1, 0
	s_cmp_lg_u32 s13, 0
	s_addc_u32 s20, s12, s15
	s_ashr_i32 s12, s17, 31
	s_add_u32 s14, s18, s12
	s_mov_b32 s13, s12
	s_addc_u32 s15, s17, s12
	s_xor_b64 s[14:15], s[14:15], s[12:13]
	s_mul_i32 s21, s14, s20
	s_mul_hi_u32 s22, s14, s19
	s_mul_hi_u32 s17, s14, s20
	;; [unrolled: 1-line block ×3, first 2 shown]
	s_mul_i32 s19, s15, s19
	s_add_u32 s21, s22, s21
	s_addc_u32 s17, 0, s17
	s_mul_hi_u32 s23, s15, s20
	s_add_u32 s19, s21, s19
	s_mul_i32 s20, s15, s20
	s_addc_u32 s17, s17, s24
	s_addc_u32 s19, s23, 0
	s_add_u32 s17, s17, s20
	s_addc_u32 s19, 0, s19
	s_mul_hi_u32 s20, s10, s17
	s_mul_i32 s21, s10, s19
	s_mul_i32 s22, s11, s17
	s_add_i32 s20, s20, s21
	s_mul_i32 s21, s10, s17
	s_add_i32 s20, s20, s22
	s_sub_i32 s22, s15, s20
	s_sub_u32 s14, s14, s21
	s_cselect_b32 s21, -1, 0
	s_cmp_lg_u32 s21, 0
	s_subb_u32 s22, s22, s11
	s_sub_u32 s23, s14, s10
	s_cselect_b32 s24, -1, 0
	s_cmp_lg_u32 s24, 0
	s_subb_u32 s22, s22, 0
	s_cmp_ge_u32 s22, s11
	s_cselect_b32 s24, -1, 0
	s_cmp_ge_u32 s23, s10
	s_cselect_b32 s23, -1, 0
	s_cmp_eq_u32 s22, s11
	s_cselect_b32 s22, s23, s24
	s_add_u32 s23, s17, 1
	s_addc_u32 s24, s19, 0
	s_add_u32 s25, s17, 2
	s_addc_u32 s26, s19, 0
	s_cmp_lg_u32 s22, 0
	s_cselect_b32 s22, s25, s23
	s_cselect_b32 s23, s26, s24
	s_cmp_lg_u32 s21, 0
	s_subb_u32 s15, s15, s20
	s_cmp_ge_u32 s15, s11
	s_cselect_b32 s20, -1, 0
	s_cmp_ge_u32 s14, s10
	s_cselect_b32 s10, -1, 0
	s_cmp_eq_u32 s15, s11
	s_cselect_b32 s10, s10, s20
	s_cmp_lg_u32 s10, 0
	s_cselect_b32 s11, s23, s19
	s_cselect_b32 s10, s22, s17
	s_xor_b64 s[12:13], s[12:13], 0
	s_xor_b64 s[10:11], s[10:11], s[12:13]
	s_sub_u32 s10, s10, s12
	s_load_dwordx4 s[12:15], s[4:5], 0x44
	s_andn2_b32 vcc_lo, exec_lo, s16
	s_cbranch_vccnz .LBB20_3
.LBB20_2:
	v_cvt_f32_u32_e32 v1, s9
	s_sub_i32 s11, 0, s9
	v_rcp_iflag_f32_e32 v1, v1
	v_mul_f32_e32 v1, 0x4f7ffffe, v1
	v_cvt_u32_f32_e32 v1, v1
	v_readfirstlane_b32 s10, v1
	s_mul_i32 s11, s11, s10
	s_mul_hi_u32 s11, s10, s11
	s_add_i32 s10, s10, s11
	s_mul_hi_u32 s10, s18, s10
	s_mul_i32 s11, s10, s9
	s_waitcnt lgkmcnt(0)
	s_add_i32 s15, s10, 1
	s_sub_i32 s11, s18, s11
	s_sub_i32 s16, s11, s9
	s_cmp_ge_u32 s11, s9
	s_cselect_b32 s10, s15, s10
	s_cselect_b32 s11, s16, s11
	s_add_i32 s15, s10, 1
	s_cmp_ge_u32 s11, s9
	s_cselect_b32 s10, s15, s10
.LBB20_3:
	s_add_i32 s11, s6, 1
	s_mov_b32 s16, 0
	s_mul_hi_i32 s17, s3, s11
	s_mul_i32 s11, s3, s11
	s_cmp_lg_u64 s[16:17], 0
	s_cbranch_scc0 .LBB20_22
; %bb.4:
	s_add_u32 s18, s9, 0
	s_addc_u32 s19, 0, 0
	s_xor_b64 s[18:19], s[18:19], 0
	v_cvt_f32_u32_e32 v1, s18
	v_cvt_f32_u32_e32 v2, s19
	s_sub_u32 s21, 0, s18
	s_subb_u32 s22, 0, s19
	v_fmamk_f32 v1, v2, 0x4f800000, v1
	v_rcp_f32_e32 v1, v1
	v_mul_f32_e32 v1, 0x5f7ffffc, v1
	v_mul_f32_e32 v2, 0x2f800000, v1
	v_trunc_f32_e32 v2, v2
	v_fmamk_f32 v1, v2, 0xcf800000, v1
	v_cvt_u32_f32_e32 v2, v2
	v_cvt_u32_f32_e32 v1, v1
	s_waitcnt lgkmcnt(0)
	v_readfirstlane_b32 s15, v2
	v_readfirstlane_b32 s20, v1
	s_mul_i32 s23, s21, s15
	s_mul_hi_u32 s25, s21, s20
	s_mul_i32 s24, s22, s20
	s_add_i32 s23, s25, s23
	s_mul_i32 s26, s21, s20
	s_add_i32 s23, s23, s24
	s_mul_hi_u32 s25, s20, s26
	s_mul_i32 s28, s20, s23
	s_mul_hi_u32 s27, s15, s26
	s_mul_i32 s24, s15, s26
	s_mul_hi_u32 s26, s20, s23
	s_add_u32 s25, s25, s28
	s_addc_u32 s26, 0, s26
	s_mul_hi_u32 s29, s15, s23
	s_add_u32 s24, s25, s24
	s_mul_i32 s23, s15, s23
	s_addc_u32 s24, s26, s27
	s_addc_u32 s25, s29, 0
	s_add_u32 s23, s24, s23
	s_addc_u32 s24, 0, s25
	s_add_u32 s20, s20, s23
	s_cselect_b32 s23, -1, 0
	s_mul_hi_u32 s25, s21, s20
	s_cmp_lg_u32 s23, 0
	s_mul_i32 s23, s21, s20
	s_addc_u32 s15, s15, s24
	s_mul_i32 s22, s22, s20
	s_mul_i32 s21, s21, s15
	s_mul_hi_u32 s24, s20, s23
	s_add_i32 s21, s25, s21
	s_mul_hi_u32 s25, s15, s23
	s_add_i32 s21, s21, s22
	s_mul_i32 s22, s15, s23
	s_mul_i32 s27, s20, s21
	s_mul_hi_u32 s26, s20, s21
	s_add_u32 s24, s24, s27
	s_addc_u32 s26, 0, s26
	s_mul_hi_u32 s23, s15, s21
	s_add_u32 s22, s24, s22
	s_mul_i32 s21, s15, s21
	s_addc_u32 s22, s26, s25
	s_addc_u32 s23, s23, 0
	s_add_u32 s21, s22, s21
	s_addc_u32 s22, 0, s23
	s_add_u32 s24, s20, s21
	s_cselect_b32 s20, -1, 0
	s_cmp_lg_u32 s20, 0
	s_addc_u32 s15, s15, s22
	s_ashr_i32 s20, s17, 31
	s_add_u32 s22, s11, s20
	s_mov_b32 s21, s20
	s_addc_u32 s23, s17, s20
	s_xor_b64 s[22:23], s[22:23], s[20:21]
	s_mul_i32 s25, s22, s15
	s_mul_hi_u32 s26, s22, s24
	s_mul_hi_u32 s17, s22, s15
	;; [unrolled: 1-line block ×3, first 2 shown]
	s_mul_i32 s24, s23, s24
	s_add_u32 s25, s26, s25
	s_addc_u32 s17, 0, s17
	s_mul_hi_u32 s27, s23, s15
	s_add_u32 s24, s25, s24
	s_mul_i32 s15, s23, s15
	s_addc_u32 s17, s17, s28
	s_addc_u32 s24, s27, 0
	s_add_u32 s15, s17, s15
	s_addc_u32 s17, 0, s24
	s_mul_hi_u32 s24, s18, s15
	s_mul_i32 s25, s18, s17
	s_mul_i32 s26, s19, s15
	s_add_i32 s24, s24, s25
	s_mul_i32 s25, s18, s15
	s_add_i32 s24, s24, s26
	s_sub_i32 s26, s23, s24
	s_sub_u32 s22, s22, s25
	s_cselect_b32 s25, -1, 0
	s_cmp_lg_u32 s25, 0
	s_subb_u32 s26, s26, s19
	s_sub_u32 s27, s22, s18
	s_cselect_b32 s28, -1, 0
	s_cmp_lg_u32 s28, 0
	s_subb_u32 s26, s26, 0
	s_cmp_ge_u32 s26, s19
	s_cselect_b32 s28, -1, 0
	s_cmp_ge_u32 s27, s18
	s_cselect_b32 s27, -1, 0
	s_cmp_eq_u32 s26, s19
	s_cselect_b32 s26, s27, s28
	s_add_u32 s27, s15, 1
	s_addc_u32 s28, s17, 0
	s_add_u32 s29, s15, 2
	s_addc_u32 s30, s17, 0
	s_cmp_lg_u32 s26, 0
	s_cselect_b32 s26, s29, s27
	s_cselect_b32 s27, s30, s28
	s_cmp_lg_u32 s25, 0
	s_subb_u32 s23, s23, s24
	s_cmp_ge_u32 s23, s19
	s_cselect_b32 s24, -1, 0
	s_cmp_ge_u32 s22, s18
	s_cselect_b32 s18, -1, 0
	s_cmp_eq_u32 s23, s19
	s_cselect_b32 s18, s18, s24
	s_cmp_lg_u32 s18, 0
	s_cselect_b32 s19, s27, s17
	s_cselect_b32 s18, s26, s15
	s_xor_b64 s[20:21], s[20:21], 0
	s_xor_b64 s[18:19], s[18:19], s[20:21]
	s_sub_u32 s18, s18, s20
	s_andn2_b32 vcc_lo, exec_lo, s16
	s_cbranch_vccnz .LBB20_6
.LBB20_5:
	v_cvt_f32_u32_e32 v1, s9
	s_sub_i32 s16, 0, s9
	v_rcp_iflag_f32_e32 v1, v1
	v_mul_f32_e32 v1, 0x4f7ffffe, v1
	v_cvt_u32_f32_e32 v1, v1
	s_waitcnt lgkmcnt(0)
	v_readfirstlane_b32 s15, v1
	s_mul_i32 s16, s16, s15
	s_mul_hi_u32 s16, s15, s16
	s_add_i32 s15, s15, s16
	s_mul_hi_u32 s15, s11, s15
	s_mul_i32 s16, s15, s9
	s_sub_i32 s11, s11, s16
	s_add_i32 s16, s15, 1
	s_sub_i32 s17, s11, s9
	s_cmp_ge_u32 s11, s9
	s_cselect_b32 s15, s16, s15
	s_cselect_b32 s11, s17, s11
	s_add_i32 s16, s15, 1
	s_cmp_ge_u32 s11, s9
	s_cselect_b32 s18, s16, s15
.LBB20_6:
	s_cmp_eq_u32 s10, s18
	s_waitcnt lgkmcnt(0)
	s_mul_hi_u32 s11, s10, s12
	s_cselect_b32 s15, -1, 0
	s_add_i32 s11, s11, s10
	s_lshr_b32 s11, s11, s13
	s_mul_i32 s16, s11, s14
	s_cmp_eq_u32 s16, s10
	s_mul_hi_u32 s16, s18, s12
	s_cselect_b32 s17, -1, 0
	s_add_i32 s16, s16, s18
	s_lshr_b32 s16, s16, s13
	s_cmp_eq_u32 s11, s16
	s_mul_i32 s16, s16, s14
	s_cselect_b32 s19, -1, 0
	s_cmp_lg_u32 s16, s18
	s_cselect_b32 s16, -1, 0
	s_or_b32 s15, s15, s17
	s_and_b32 s16, s19, s16
	s_or_b32 s15, s15, s16
	s_and_b32 vcc_lo, exec_lo, s15
	s_cbranch_vccnz .LBB20_24
; %bb.7:
	s_clause 0x1
	s_load_dwordx8 s[20:27], s[4:5], 0x20
	s_load_dword s16, s[4:5], 0x40
	s_waitcnt lgkmcnt(0)
	s_mul_hi_u32 s15, s10, s20
	s_add_i32 s15, s15, s10
	s_lshr_b32 s15, s15, s21
	s_mul_i32 s17, s15, s22
	s_sub_i32 s17, s10, s17
	s_mul_hi_u32 s18, s17, s23
	s_add_i32 s18, s17, s18
	s_lshr_b32 s22, s18, s24
	s_mul_i32 s18, s22, s25
	s_sub_i32 s17, s17, s18
	s_mul_hi_u32 s18, s17, s26
	s_add_i32 s18, s17, s18
	s_lshr_b32 s18, s18, s27
	s_mul_i32 s16, s18, s16
	s_lshl_b32 s24, s18, 2
	s_sub_i32 s16, s17, s16
	s_mul_hi_u32 s17, s16, s12
	s_add_i32 s16, s16, s17
	s_lshr_b32 s23, s16, s13
	s_lshl_b32 s16, s23, 4
	s_add_i32 s16, s16, s7
	s_cmp_lt_i32 s16, s0
	s_cselect_b32 s16, -1, 0
	s_add_i32 s17, s24, s8
	s_cmp_lt_i32 s17, s2
	s_cselect_b32 s17, -1, 0
	s_and_b32 s16, s16, s17
	s_andn2_b32 vcc_lo, exec_lo, s16
	s_cbranch_vccnz .LBB20_24
; %bb.8:
	s_load_dwordx4 s[16:19], s[4:5], 0x0
	s_mov_b32 s4, 0
	s_lshl_b32 s20, s9, 8
	s_mov_b32 s21, s4
	s_lshl_b32 s5, s7, 2
	s_lshl_b64 s[20:21], s[20:21], 2
	s_mul_i32 s0, s15, s0
	s_add_i32 s15, s5, s8
	s_mul_i32 s22, s22, s2
	v_cvt_f32_u32_e32 v4, s9
	v_rcp_iflag_f32_e32 v4, v4
	s_waitcnt lgkmcnt(0)
	s_add_u32 s20, s18, s20
	s_addc_u32 s21, s19, s21
	s_add_i32 s0, s0, s7
	s_mul_i32 s0, s0, s1
	s_mul_i32 s1, s1, s23
	s_add_i32 s0, s0, s8
	s_lshl_b32 s1, s1, 11
	s_add_i32 s0, s0, s22
	v_mul_f32_e32 v4, 0x4f7ffffe, v4
	s_add_i32 s0, s0, s24
	s_lshl_b32 s0, s0, 7
	s_add_i32 s1, s1, s0
	s_lshl_b32 s0, s6, 6
	v_or_b32_e32 v1, s1, v0
	s_add_i32 s0, s15, s0
	v_lshl_or_b32 v0, s15, 7, v0
	s_ashr_i32 s1, s0, 31
	v_cvt_u32_f32_e32 v4, v4
	v_ashrrev_i32_e32 v2, 31, v1
	s_lshl_b64 s[0:1], s[0:1], 3
	s_add_u32 s0, s18, s0
	s_addc_u32 s1, s19, s1
	v_lshlrev_b64 v[1:2], 2, v[1:2]
	s_load_dwordx2 s[0:1], s[0:1], 0x0
	s_add_i32 s8, s6, -1
	s_sub_i32 s2, 0, s9
	v_add_co_u32 v1, vcc_lo, s16, v1
	v_add_co_ci_u32_e64 v2, null, s17, v2, vcc_lo
	global_load_dword v3, v[1:2], off
	s_waitcnt lgkmcnt(0)
	v_mov_b32_e32 v5, s1
	v_mov_b32_e32 v6, s0
.LBB20_9:                               ; =>This Inner Loop Header: Depth=1
	s_mul_hi_i32 s5, s8, s3
	s_mul_i32 s6, s8, s3
	s_cmp_lg_u64 s[4:5], 0
	s_mov_b32 s7, -1
                                        ; implicit-def: $sgpr0_sgpr1
	s_cbranch_scc0 .LBB20_11
; %bb.10:                               ;   in Loop: Header=BB20_9 Depth=1
	s_add_u32 s0, s9, 0
	s_addc_u32 s1, 0, 0
	s_xor_b64 s[0:1], s[0:1], 0
	v_cvt_f32_u32_e32 v7, s0
	v_cvt_f32_u32_e32 v8, s1
	s_sub_u32 s17, 0, s0
	s_subb_u32 s22, 0, s1
	v_fmac_f32_e32 v7, 0x4f800000, v8
	v_rcp_f32_e32 v7, v7
	v_mul_f32_e32 v7, 0x5f7ffffc, v7
	v_mul_f32_e32 v8, 0x2f800000, v7
	v_trunc_f32_e32 v8, v8
	v_fmac_f32_e32 v7, 0xcf800000, v8
	v_cvt_u32_f32_e32 v8, v8
	v_cvt_u32_f32_e32 v7, v7
	v_readfirstlane_b32 s7, v8
	v_readfirstlane_b32 s16, v7
	s_mul_i32 s23, s17, s7
	s_mul_hi_u32 s25, s17, s16
	s_mul_i32 s24, s22, s16
	s_add_i32 s23, s25, s23
	s_mul_i32 s26, s17, s16
	s_add_i32 s23, s23, s24
	s_mul_hi_u32 s25, s16, s26
	s_mul_i32 s28, s16, s23
	s_mul_hi_u32 s27, s7, s26
	s_mul_i32 s24, s7, s26
	s_mul_hi_u32 s26, s16, s23
	s_add_u32 s25, s25, s28
	s_addc_u32 s26, 0, s26
	s_mul_hi_u32 s29, s7, s23
	s_add_u32 s24, s25, s24
	s_mul_i32 s23, s7, s23
	s_addc_u32 s24, s26, s27
	s_addc_u32 s25, s29, 0
	s_add_u32 s23, s24, s23
	s_addc_u32 s24, 0, s25
	s_add_u32 s16, s16, s23
	s_cselect_b32 s23, -1, 0
	s_mul_hi_u32 s25, s17, s16
	s_cmp_lg_u32 s23, 0
	s_mul_i32 s23, s17, s16
	s_addc_u32 s7, s7, s24
	s_mul_i32 s22, s22, s16
	s_mul_i32 s17, s17, s7
	s_mul_hi_u32 s24, s16, s23
	s_add_i32 s17, s25, s17
	s_mul_hi_u32 s25, s7, s23
	s_add_i32 s17, s17, s22
	s_mul_i32 s22, s7, s23
	s_mul_i32 s27, s16, s17
	s_mul_hi_u32 s26, s16, s17
	s_add_u32 s24, s24, s27
	s_addc_u32 s26, 0, s26
	s_mul_hi_u32 s23, s7, s17
	s_add_u32 s22, s24, s22
	s_mul_i32 s17, s7, s17
	s_addc_u32 s22, s26, s25
	s_addc_u32 s23, s23, 0
	s_add_u32 s17, s22, s17
	s_addc_u32 s22, 0, s23
	s_add_u32 s24, s16, s17
	s_cselect_b32 s16, -1, 0
	s_cmp_lg_u32 s16, 0
	s_addc_u32 s7, s7, s22
	s_ashr_i32 s16, s5, 31
	s_add_u32 s22, s6, s16
	s_mov_b32 s17, s16
	s_addc_u32 s23, s5, s16
	s_xor_b64 s[22:23], s[22:23], s[16:17]
	s_mul_i32 s25, s22, s7
	s_mul_hi_u32 s26, s22, s24
	s_mul_hi_u32 s5, s22, s7
	;; [unrolled: 1-line block ×3, first 2 shown]
	s_mul_i32 s24, s23, s24
	s_add_u32 s25, s26, s25
	s_addc_u32 s5, 0, s5
	s_mul_hi_u32 s27, s23, s7
	s_add_u32 s24, s25, s24
	s_mul_i32 s7, s23, s7
	s_addc_u32 s5, s5, s28
	s_addc_u32 s24, s27, 0
	s_add_u32 s5, s5, s7
	s_addc_u32 s7, 0, s24
	s_mul_hi_u32 s24, s0, s5
	s_mul_i32 s25, s0, s7
	s_mul_i32 s26, s1, s5
	s_add_i32 s24, s24, s25
	s_mul_i32 s25, s0, s5
	s_add_i32 s24, s24, s26
	s_sub_i32 s26, s23, s24
	s_sub_u32 s22, s22, s25
	s_cselect_b32 s25, -1, 0
	s_cmp_lg_u32 s25, 0
	s_subb_u32 s26, s26, s1
	s_sub_u32 s27, s22, s0
	s_cselect_b32 s28, -1, 0
	s_cmp_lg_u32 s28, 0
	s_subb_u32 s26, s26, 0
	s_cmp_ge_u32 s26, s1
	s_cselect_b32 s28, -1, 0
	s_cmp_ge_u32 s27, s0
	s_cselect_b32 s27, -1, 0
	s_cmp_eq_u32 s26, s1
	s_cselect_b32 s26, s27, s28
	s_add_u32 s27, s5, 1
	s_addc_u32 s28, s7, 0
	s_add_u32 s29, s5, 2
	s_addc_u32 s30, s7, 0
	s_cmp_lg_u32 s26, 0
	s_cselect_b32 s26, s29, s27
	s_cselect_b32 s27, s30, s28
	s_cmp_lg_u32 s25, 0
	s_subb_u32 s23, s23, s24
	s_cmp_ge_u32 s23, s1
	s_cselect_b32 s24, -1, 0
	s_cmp_ge_u32 s22, s0
	s_cselect_b32 s0, -1, 0
	s_cmp_eq_u32 s23, s1
	s_cselect_b32 s0, s0, s24
	s_cmp_lg_u32 s0, 0
	s_cselect_b32 s1, s27, s7
	s_cselect_b32 s0, s26, s5
	s_xor_b64 s[16:17], s[16:17], 0
	s_mov_b32 s7, 0
	s_xor_b64 s[0:1], s[0:1], s[16:17]
	s_sub_u32 s0, s0, s16
.LBB20_11:                              ;   in Loop: Header=BB20_9 Depth=1
	s_andn2_b32 vcc_lo, exec_lo, s7
	s_cbranch_vccnz .LBB20_13
; %bb.12:                               ;   in Loop: Header=BB20_9 Depth=1
	v_readfirstlane_b32 s0, v4
	s_mul_i32 s1, s2, s0
	s_mul_hi_u32 s1, s0, s1
	s_add_i32 s0, s0, s1
	s_mul_hi_u32 s0, s6, s0
	s_mul_i32 s1, s0, s9
	s_add_i32 s5, s0, 1
	s_sub_i32 s1, s6, s1
	s_sub_i32 s6, s1, s9
	s_cmp_ge_u32 s1, s9
	s_cselect_b32 s0, s5, s0
	s_cselect_b32 s1, s6, s1
	s_add_i32 s5, s0, 1
	s_cmp_ge_u32 s1, s9
	s_cselect_b32 s0, s5, s0
.LBB20_13:                              ;   in Loop: Header=BB20_9 Depth=1
	s_cmp_lg_u32 s10, s0
	s_mov_b32 s6, -1
                                        ; implicit-def: $sgpr5
                                        ; implicit-def: $vgpr8
                                        ; implicit-def: $vgpr7
                                        ; implicit-def: $vgpr9
                                        ; implicit-def: $sgpr1
                                        ; implicit-def: $sgpr16
	s_cbranch_scc0 .LBB20_18
; %bb.14:                               ;   in Loop: Header=BB20_9 Depth=1
	s_add_i32 s1, s8, s9
	s_mov_b32 s7, s4
	s_lshl_b32 s1, s1, 6
	s_mov_b32 s16, s10
	s_add_i32 s6, s1, s15
	s_mul_hi_u32 s1, s0, s12
	s_lshl_b64 s[6:7], s[6:7], 3
	s_add_u32 s6, s18, s6
	s_addc_u32 s7, s19, s7
	s_add_i32 s1, s1, s0
	s_lshr_b32 s1, s1, s13
	s_mul_i32 s5, s1, s14
	s_cmp_eq_u32 s5, s0
	s_cselect_b32 s5, -1, 0
	s_cmp_lt_u32 s1, s11
	s_cselect_b32 s1, -1, 0
	s_or_b32 s1, s1, s5
	s_mov_b32 s5, -1
	s_and_b32 vcc_lo, exec_lo, s1
	s_mov_b32 s1, s8
	s_cbranch_vccnz .LBB20_16
; %bb.15:                               ;   in Loop: Header=BB20_9 Depth=1
	s_add_i32 s1, s8, -1
	s_mov_b32 s5, 0
	s_mov_b32 s16, s0
.LBB20_16:                              ;   in Loop: Header=BB20_9 Depth=1
	v_lshl_add_u32 v7, s8, 13, v0
	s_load_dwordx2 s[6:7], s[6:7], 0x0
	v_ashrrev_i32_e32 v8, 31, v7
	v_lshlrev_b64 v[7:8], 2, v[7:8]
	v_add_co_u32 v7, vcc_lo, s20, v7
	v_add_co_ci_u32_e64 v8, null, s21, v8, vcc_lo
	s_waitcnt lgkmcnt(0)
	v_max_f32_e64 v9, s6, s6
	global_load_dword v8, v[7:8], off
	v_max_f32_e32 v7, v6, v6
	v_max_f32_e32 v7, v7, v9
	v_sub_f32_e32 v9, s6, v7
	v_sub_f32_e32 v10, v6, v7
	v_mul_f32_e32 v11, 0x3fb8aa3b, v9
	v_mul_f32_e32 v12, 0x3fb8aa3b, v10
	v_cmp_ngt_f32_e32 vcc_lo, 0xc2ce8ed0, v9
	v_fma_f32 v13, 0x3fb8aa3b, v9, -v11
	v_rndne_f32_e32 v14, v11
	v_fma_f32 v15, 0x3fb8aa3b, v10, -v12
	v_rndne_f32_e32 v16, v12
	v_fmac_f32_e32 v13, 0x32a5705f, v9
	v_sub_f32_e32 v11, v11, v14
	v_fmac_f32_e32 v15, 0x32a5705f, v10
	v_sub_f32_e32 v12, v12, v16
	v_add_f32_e32 v11, v11, v13
	v_cvt_i32_f32_e32 v13, v14
	v_add_f32_e32 v12, v12, v15
	v_cvt_i32_f32_e32 v14, v16
	v_exp_f32_e32 v11, v11
	v_exp_f32_e32 v12, v12
	v_ldexp_f32 v11, v11, v13
	v_ldexp_f32 v12, v12, v14
	v_cndmask_b32_e32 v11, 0, v11, vcc_lo
	v_cmp_ngt_f32_e32 vcc_lo, 0xc2ce8ed0, v10
	v_cndmask_b32_e32 v12, 0, v12, vcc_lo
	v_cmp_nlt_f32_e32 vcc_lo, 0x42b17218, v9
	v_cndmask_b32_e32 v11, 0x7f800000, v11, vcc_lo
	v_cmp_nlt_f32_e32 vcc_lo, 0x42b17218, v10
	v_cndmask_b32_e32 v12, 0x7f800000, v12, vcc_lo
	v_cmp_le_f32_e32 vcc_lo, 0xc1a00000, v9
	v_cndmask_b32_e32 v9, 0, v11, vcc_lo
	v_cmp_le_f32_e32 vcc_lo, 0xc1a00000, v10
	v_cndmask_b32_e32 v10, 0, v12, vcc_lo
	s_waitcnt vmcnt(0)
	v_mul_f32_e32 v8, v8, v9
	v_mul_f32_e32 v9, s7, v9
	v_fmac_f32_e32 v8, v3, v10
	v_fmac_f32_e32 v9, v5, v10
	s_cbranch_execz .LBB20_19
.LBB20_17:                              ;   in Loop: Header=BB20_9 Depth=1
	s_andn2_b32 vcc_lo, exec_lo, s5
	s_cbranch_vccnz .LBB20_20
	s_branch .LBB20_23
.LBB20_18:                              ;   in Loop: Header=BB20_9 Depth=1
	s_andn2_b32 vcc_lo, exec_lo, s6
	s_cbranch_vccnz .LBB20_17
.LBB20_19:                              ;   in Loop: Header=BB20_9 Depth=1
	v_mov_b32_e32 v9, v5
	v_mov_b32_e32 v7, v6
	s_waitcnt vmcnt(0)
	v_mov_b32_e32 v8, v3
	s_add_i32 s1, s8, -1
	s_mov_b32 s16, s10
	s_cbranch_execz .LBB20_23
.LBB20_20:                              ;   in Loop: Header=BB20_9 Depth=1
	v_mov_b32_e32 v5, v9
	v_mov_b32_e32 v6, v7
	s_waitcnt vmcnt(0)
	v_mov_b32_e32 v3, v8
	s_mov_b32 s10, s16
	s_mov_b32 s8, s1
	s_branch .LBB20_9
.LBB20_21:
                                        ; implicit-def: $sgpr10_sgpr11
	s_load_dwordx4 s[12:15], s[4:5], 0x44
	s_branch .LBB20_2
.LBB20_22:
                                        ; implicit-def: $sgpr18_sgpr19
	s_branch .LBB20_5
.LBB20_23:
	v_div_scale_f32 v0, null, v9, v9, v8
	s_waitcnt vmcnt(0)
	v_rcp_f32_e32 v3, v0
	v_fma_f32 v4, -v0, v3, 1.0
	v_fmac_f32_e32 v3, v4, v3
	v_div_scale_f32 v4, vcc_lo, v8, v9, v8
	v_mul_f32_e32 v5, v4, v3
	v_fma_f32 v6, -v0, v5, v4
	v_fmac_f32_e32 v5, v6, v3
	v_fma_f32 v0, -v0, v5, v4
	v_div_fmas_f32 v0, v0, v3, v5
	v_div_fixup_f32 v0, v0, v9, v8
	global_store_dword v[1:2], v0, off
.LBB20_24:
	s_endpgm
	.section	.rodata,"a",@progbits
	.p2align	6, 0x0
	.amdhsa_kernel _ZL33flash_attn_stream_k_fixup_generalILi128ELi16ELi4EEvPfPK15HIP_vector_typeIfLj2EEiiiiS1_IjLj3EES5_S5_S5_
		.amdhsa_group_segment_fixed_size 0
		.amdhsa_private_segment_fixed_size 0
		.amdhsa_kernarg_size 336
		.amdhsa_user_sgpr_count 6
		.amdhsa_user_sgpr_private_segment_buffer 1
		.amdhsa_user_sgpr_dispatch_ptr 0
		.amdhsa_user_sgpr_queue_ptr 0
		.amdhsa_user_sgpr_kernarg_segment_ptr 1
		.amdhsa_user_sgpr_dispatch_id 0
		.amdhsa_user_sgpr_flat_scratch_init 0
		.amdhsa_user_sgpr_private_segment_size 0
		.amdhsa_wavefront_size32 1
		.amdhsa_uses_dynamic_stack 0
		.amdhsa_system_sgpr_private_segment_wavefront_offset 0
		.amdhsa_system_sgpr_workgroup_id_x 1
		.amdhsa_system_sgpr_workgroup_id_y 1
		.amdhsa_system_sgpr_workgroup_id_z 1
		.amdhsa_system_sgpr_workgroup_info 0
		.amdhsa_system_vgpr_workitem_id 0
		.amdhsa_next_free_vgpr 17
		.amdhsa_next_free_sgpr 31
		.amdhsa_reserve_vcc 1
		.amdhsa_reserve_flat_scratch 0
		.amdhsa_float_round_mode_32 0
		.amdhsa_float_round_mode_16_64 0
		.amdhsa_float_denorm_mode_32 3
		.amdhsa_float_denorm_mode_16_64 3
		.amdhsa_dx10_clamp 1
		.amdhsa_ieee_mode 1
		.amdhsa_fp16_overflow 0
		.amdhsa_workgroup_processor_mode 1
		.amdhsa_memory_ordered 1
		.amdhsa_forward_progress 1
		.amdhsa_shared_vgpr_count 0
		.amdhsa_exception_fp_ieee_invalid_op 0
		.amdhsa_exception_fp_denorm_src 0
		.amdhsa_exception_fp_ieee_div_zero 0
		.amdhsa_exception_fp_ieee_overflow 0
		.amdhsa_exception_fp_ieee_underflow 0
		.amdhsa_exception_fp_ieee_inexact 0
		.amdhsa_exception_int_div_zero 0
	.end_amdhsa_kernel
	.section	.text._ZL33flash_attn_stream_k_fixup_generalILi128ELi16ELi4EEvPfPK15HIP_vector_typeIfLj2EEiiiiS1_IjLj3EES5_S5_S5_,"axG",@progbits,_ZL33flash_attn_stream_k_fixup_generalILi128ELi16ELi4EEvPfPK15HIP_vector_typeIfLj2EEiiiiS1_IjLj3EES5_S5_S5_,comdat
.Lfunc_end20:
	.size	_ZL33flash_attn_stream_k_fixup_generalILi128ELi16ELi4EEvPfPK15HIP_vector_typeIfLj2EEiiiiS1_IjLj3EES5_S5_S5_, .Lfunc_end20-_ZL33flash_attn_stream_k_fixup_generalILi128ELi16ELi4EEvPfPK15HIP_vector_typeIfLj2EEiiiiS1_IjLj3EES5_S5_S5_
                                        ; -- End function
	.set _ZL33flash_attn_stream_k_fixup_generalILi128ELi16ELi4EEvPfPK15HIP_vector_typeIfLj2EEiiiiS1_IjLj3EES5_S5_S5_.num_vgpr, 17
	.set _ZL33flash_attn_stream_k_fixup_generalILi128ELi16ELi4EEvPfPK15HIP_vector_typeIfLj2EEiiiiS1_IjLj3EES5_S5_S5_.num_agpr, 0
	.set _ZL33flash_attn_stream_k_fixup_generalILi128ELi16ELi4EEvPfPK15HIP_vector_typeIfLj2EEiiiiS1_IjLj3EES5_S5_S5_.numbered_sgpr, 31
	.set _ZL33flash_attn_stream_k_fixup_generalILi128ELi16ELi4EEvPfPK15HIP_vector_typeIfLj2EEiiiiS1_IjLj3EES5_S5_S5_.num_named_barrier, 0
	.set _ZL33flash_attn_stream_k_fixup_generalILi128ELi16ELi4EEvPfPK15HIP_vector_typeIfLj2EEiiiiS1_IjLj3EES5_S5_S5_.private_seg_size, 0
	.set _ZL33flash_attn_stream_k_fixup_generalILi128ELi16ELi4EEvPfPK15HIP_vector_typeIfLj2EEiiiiS1_IjLj3EES5_S5_S5_.uses_vcc, 1
	.set _ZL33flash_attn_stream_k_fixup_generalILi128ELi16ELi4EEvPfPK15HIP_vector_typeIfLj2EEiiiiS1_IjLj3EES5_S5_S5_.uses_flat_scratch, 0
	.set _ZL33flash_attn_stream_k_fixup_generalILi128ELi16ELi4EEvPfPK15HIP_vector_typeIfLj2EEiiiiS1_IjLj3EES5_S5_S5_.has_dyn_sized_stack, 0
	.set _ZL33flash_attn_stream_k_fixup_generalILi128ELi16ELi4EEvPfPK15HIP_vector_typeIfLj2EEiiiiS1_IjLj3EES5_S5_S5_.has_recursion, 0
	.set _ZL33flash_attn_stream_k_fixup_generalILi128ELi16ELi4EEvPfPK15HIP_vector_typeIfLj2EEiiiiS1_IjLj3EES5_S5_S5_.has_indirect_call, 0
	.section	.AMDGPU.csdata,"",@progbits
; Kernel info:
; codeLenInByte = 2944
; TotalNumSgprs: 33
; NumVgprs: 17
; ScratchSize: 0
; MemoryBound: 0
; FloatMode: 240
; IeeeMode: 1
; LDSByteSize: 0 bytes/workgroup (compile time only)
; SGPRBlocks: 0
; VGPRBlocks: 2
; NumSGPRsForWavesPerEU: 33
; NumVGPRsForWavesPerEU: 17
; Occupancy: 16
; WaveLimiterHint : 0
; COMPUTE_PGM_RSRC2:SCRATCH_EN: 0
; COMPUTE_PGM_RSRC2:USER_SGPR: 6
; COMPUTE_PGM_RSRC2:TRAP_HANDLER: 0
; COMPUTE_PGM_RSRC2:TGID_X_EN: 1
; COMPUTE_PGM_RSRC2:TGID_Y_EN: 1
; COMPUTE_PGM_RSRC2:TGID_Z_EN: 1
; COMPUTE_PGM_RSRC2:TIDIG_COMP_CNT: 0
	.section	.text._ZL15flash_attn_tileILi128ELi128ELi8ELi4ELb0EEvPKcS1_S1_S1_S1_PKiPfP15HIP_vector_typeIfLj2EEffffjfiS5_IjLj3EEiiiiiiiiiiiliiliiiiil,"axG",@progbits,_ZL15flash_attn_tileILi128ELi128ELi8ELi4ELb0EEvPKcS1_S1_S1_S1_PKiPfP15HIP_vector_typeIfLj2EEffffjfiS5_IjLj3EEiiiiiiiiiiiliiliiiiil,comdat
	.globl	_ZL15flash_attn_tileILi128ELi128ELi8ELi4ELb0EEvPKcS1_S1_S1_S1_PKiPfP15HIP_vector_typeIfLj2EEffffjfiS5_IjLj3EEiiiiiiiiiiiliiliiiiil ; -- Begin function _ZL15flash_attn_tileILi128ELi128ELi8ELi4ELb0EEvPKcS1_S1_S1_S1_PKiPfP15HIP_vector_typeIfLj2EEffffjfiS5_IjLj3EEiiiiiiiiiiiliiliiiiil
	.p2align	8
	.type	_ZL15flash_attn_tileILi128ELi128ELi8ELi4ELb0EEvPKcS1_S1_S1_S1_PKiPfP15HIP_vector_typeIfLj2EEffffjfiS5_IjLj3EEiiiiiiiiiiiliiliiiiil,@function
_ZL15flash_attn_tileILi128ELi128ELi8ELi4ELb0EEvPKcS1_S1_S1_S1_PKiPfP15HIP_vector_typeIfLj2EEffffjfiS5_IjLj3EEiiiiiiiiiiiliiliiiiil: ; @_ZL15flash_attn_tileILi128ELi128ELi8ELi4ELb0EEvPKcS1_S1_S1_S1_PKiPfP15HIP_vector_typeIfLj2EEffffjfiS5_IjLj3EEiiiiiiiiiiiliiliiiiil
; %bb.0:
	s_clause 0x1
	s_load_dwordx4 s[36:39], s[4:5], 0x5c
	s_load_dwordx2 s[42:43], s[4:5], 0x80
	s_mov_b32 s34, s7
	s_mov_b64 s[44:45], 0
	s_waitcnt lgkmcnt(0)
	s_ashr_i32 s0, s39, 31
	s_lshr_b32 s0, s0, 30
	s_add_i32 s0, s39, s0
	s_ashr_i32 s0, s0, 2
	v_cvt_f32_u32_e32 v2, s0
	s_sub_i32 s2, 0, s0
	v_rcp_iflag_f32_e32 v2, v2
	v_mul_f32_e32 v2, 0x4f7ffffe, v2
	v_cvt_u32_f32_e32 v2, v2
	v_readfirstlane_b32 s1, v2
	s_mul_i32 s2, s2, s1
	s_mul_hi_u32 s2, s1, s2
	s_add_i32 s1, s1, s2
	s_mul_hi_u32 s1, s8, s1
	s_mul_i32 s2, s1, s0
	s_add_i32 s3, s1, 1
	s_sub_i32 s2, s8, s2
	s_sub_i32 s7, s2, s0
	s_cmp_ge_u32 s2, s0
	s_cselect_b32 s1, s3, s1
	s_cselect_b32 s2, s7, s2
	s_add_i32 s3, s1, 1
	s_cmp_ge_u32 s2, s0
	s_cselect_b32 s33, s3, s1
	s_abs_i32 s0, s43
	s_lshl_b32 s3, s8, 2
	v_cvt_f32_u32_e32 v2, s0
	s_sub_i32 s2, 0, s0
	s_abs_i32 s8, s39
	s_mul_i32 s7, s33, s39
	v_rcp_iflag_f32_e32 v2, v2
	s_sub_i32 s40, s3, s7
	v_mul_f32_e32 v2, 0x4f7ffffe, v2
	v_cvt_u32_f32_e32 v2, v2
	v_readfirstlane_b32 s1, v2
	s_mul_i32 s2, s2, s1
	s_mul_hi_u32 s2, s1, s2
	s_add_i32 s1, s1, s2
	s_xor_b32 s2, s39, s43
	s_mul_hi_u32 s1, s8, s1
	s_ashr_i32 s2, s2, 31
	s_mul_i32 s3, s1, s0
	s_add_i32 s7, s1, 1
	s_sub_i32 s3, s8, s3
	s_sub_i32 s8, s3, s0
	s_cmp_ge_u32 s3, s0
	s_cselect_b32 s1, s7, s1
	s_cselect_b32 s3, s8, s3
	s_add_i32 s7, s1, 1
	s_cmp_ge_u32 s3, s0
	s_clause 0x1
	s_load_dwordx16 s[16:31], s[4:5], 0x0
	s_load_dwordx2 s[8:9], s[4:5], 0xb8
	s_cselect_b32 s0, s7, s1
	s_xor_b32 s0, s0, s2
	s_sub_i32 s10, s0, s2
	s_abs_i32 s7, s10
	v_cvt_f32_u32_e32 v2, s7
	v_rcp_iflag_f32_e32 v2, v2
	s_waitcnt lgkmcnt(0)
	s_cmp_eq_u64 s[22:23], 0
	v_mul_f32_e32 v2, 0x4f7ffffe, v2
	v_cvt_u32_f32_e32 v2, v2
	v_readfirstlane_b32 s11, v2
	s_cbranch_scc1 .LBB21_2
; %bb.1:
	s_abs_i32 s2, s8
	s_abs_i32 s3, s33
	v_cvt_f32_u32_e32 v2, s2
	s_sub_i32 s1, 0, s2
	v_rcp_iflag_f32_e32 v2, v2
	v_mul_f32_e32 v2, 0x4f7ffffe, v2
	v_cvt_u32_f32_e32 v2, v2
	v_readfirstlane_b32 s0, v2
	s_mul_i32 s1, s1, s0
	s_mul_hi_u32 s1, s0, s1
	s_add_i32 s0, s0, s1
	s_mul_hi_u32 s8, s3, s0
	s_load_dwordx2 s[0:1], s[4:5], 0xc8
	s_mul_i32 s8, s8, s2
	s_sub_i32 s3, s3, s8
	s_ashr_i32 s8, s33, 31
	s_sub_i32 s12, s3, s2
	s_cmp_ge_u32 s3, s2
	s_cselect_b32 s3, s12, s3
	s_sub_i32 s12, s3, s2
	s_cmp_ge_u32 s3, s2
	s_cselect_b32 s2, s12, s3
	s_xor_b32 s2, s2, s8
	s_sub_i32 s2, s2, s8
	s_ashr_i32 s3, s2, 31
	s_waitcnt lgkmcnt(0)
	s_mul_hi_u32 s8, s0, s2
	s_mul_i32 s3, s0, s3
	s_mul_i32 s1, s1, s2
	s_add_i32 s3, s8, s3
	s_mul_i32 s0, s0, s2
	s_add_i32 s3, s3, s1
	s_add_u32 s44, s22, s0
	s_addc_u32 s45, s23, s3
.LBB21_2:
	v_lshl_add_u32 v32, s6, 3, v1
	s_load_dwordx4 s[0:3], s[4:5], 0x70
	v_lshlrev_b32_e32 v51, 3, v0
	v_mul_hi_u32 v2, s36, v32
	v_add_nc_u32_e32 v2, v32, v2
	v_lshrrev_b32_e32 v2, s37, v2
	s_waitcnt lgkmcnt(0)
	s_mul_i32 s3, s33, s2
	s_mul_i32 s8, s40, s1
	v_mul_lo_u32 v2, v2, s38
	s_ashr_i32 s12, s3, 31
	s_add_u32 s3, s16, s3
	s_addc_u32 s12, s17, s12
	s_ashr_i32 s13, s8, 31
	s_add_u32 s8, s3, s8
	s_mov_b32 s2, s0
	s_addc_u32 s14, s12, s13
	v_sub_nc_u32_e32 v2, v32, v2
	s_ashr_i32 s3, s0, 31
	s_lshr_b64 s[12:13], s[2:3], 2
	s_lshr_b32 s0, s3, 2
	v_mad_u64_u32 v[3:4], null, s12, v2, 0
	s_mov_b32 s2, s1
	s_ashr_i32 s3, s1, 31
	s_lshr_b64 s[12:13], s[2:3], 2
	s_and_b32 s2, s1, -4
	v_mad_u64_u32 v[4:5], null, s0, v2, v[4:5]
	v_lshlrev_b32_e32 v5, 4, v0
	s_lshl_b64 s[0:1], s[12:13], 3
	s_cmp_eq_u64 s[26:27], 0
	v_lshlrev_b64 v[3:4], 2, v[3:4]
	v_add_co_u32 v3, vcc_lo, s8, v3
	v_add_co_ci_u32_e64 v4, null, s14, v4, vcc_lo
	v_add_co_u32 v8, vcc_lo, v3, v5
	v_add_co_ci_u32_e64 v9, null, 0, v4, vcc_lo
	v_add_co_u32 v10, vcc_lo, v8, s2
	global_load_dwordx4 v[4:7], v[8:9], off
	v_mad_u64_u32 v[16:17], null, s12, 12, v[8:9]
	v_add_co_ci_u32_e64 v11, null, s3, v9, vcc_lo
	v_add_co_u32 v12, vcc_lo, v8, s0
	v_add_co_ci_u32_e64 v13, null, s1, v9, vcc_lo
	v_mov_b32_e32 v3, v17
	s_load_dword s0, s[4:5], 0x40
	s_clause 0x1
	global_load_dwordx4 v[12:15], v[12:13], off
	global_load_dwordx4 v[8:11], v[10:11], off
	s_waitcnt vmcnt(2)
	v_mad_u64_u32 v[17:18], null, s3, 12, v[3:4]
	s_waitcnt lgkmcnt(0)
	v_fma_mixlo_f16 v5, s0, v5, 0
	v_fma_mixlo_f16 v4, s0, v4, 0
	;; [unrolled: 1-line block ×4, first 2 shown]
	v_lshlrev_b32_e32 v3, 10, v1
	v_lshlrev_b32_e32 v5, 16, v5
	global_load_dwordx4 v[16:19], v[16:17], off
	v_and_b32_e32 v4, 0xffff, v4
	v_lshlrev_b32_e32 v7, 16, v7
	v_and_b32_e32 v6, 0xffff, v6
	s_waitcnt vmcnt(2)
	v_fma_mixlo_f16 v12, s0, v12, 0
	s_waitcnt vmcnt(1)
	v_fma_mixlo_f16 v8, s0, v8, 0
	v_fma_mixlo_f16 v9, s0, v9, 0
	;; [unrolled: 1-line block ×7, first 2 shown]
	v_or_b32_e32 v4, v5, v4
	v_or3_b32 v5, v7, v6, 0
	v_lshlrev_b32_e32 v6, 16, v9
	v_and_b32_e32 v7, 0xffff, v8
	v_lshlrev_b32_e32 v8, 16, v11
	v_and_b32_e32 v9, 0xffff, v10
	;; [unrolled: 2-line block ×4, first 2 shown]
	v_add_nc_u32_e32 v52, 0x6800, v3
	v_or_b32_e32 v6, v6, v7
	v_or3_b32 v7, v8, v9, 0
	v_or_b32_e32 v8, v10, v11
	v_or3_b32 v4, 0, 0, v4
	v_add_nc_u32_e32 v20, v52, v51
	v_or3_b32 v6, 0, 0, v6
	v_or3_b32 v9, v12, v13, 0
	;; [unrolled: 1-line block ×3, first 2 shown]
	s_waitcnt vmcnt(0)
	v_fma_mixlo_f16 v14, s0, v17, 0
	v_fma_mixlo_f16 v15, s0, v16, 0
	;; [unrolled: 1-line block ×4, first 2 shown]
	v_lshlrev_b32_e32 v14, 16, v14
	v_and_b32_e32 v15, 0xffff, v15
	v_and_b32_e32 v11, 0xffff, v16
	v_lshlrev_b32_e32 v10, 16, v17
	v_or_b32_e32 v14, v14, v15
	v_or3_b32 v11, v10, v11, 0
	v_or3_b32 v10, 0, 0, v14
	ds_write2_b64 v20, v[4:5], v[6:7] offset1:32
	ds_write2_b64 v20, v[8:9], v[10:11] offset0:64 offset1:96
	s_waitcnt lgkmcnt(0)
	s_barrier
	buffer_gl0_inv
	s_cbranch_scc1 .LBB21_4
; %bb.3:
	s_load_dword s0, s[4:5], 0xd0
	s_mov_b32 s1, 0
	s_waitcnt lgkmcnt(0)
	s_mul_i32 s0, s0, s33
	s_add_i32 s0, s0, s6
	s_lshl_b64 s[0:1], s[0:1], 2
	s_add_u32 s0, s26, s0
	s_addc_u32 s1, s27, s1
	s_load_dword s42, s[0:1], 0x0
.LBB21_4:
	v_mbcnt_lo_u32_b32 v53, -1, 0
	s_lshl_b32 s26, s34, 7
	s_waitcnt lgkmcnt(0)
	s_cmp_lt_i32 s26, s42
	s_cbranch_scc1 .LBB21_7
; %bb.5:
	v_mbcnt_lo_u32_b32 v5, -1, 0
	v_mov_b32_e32 v54, 32
	v_xor_b32_e32 v59, 16, v5
	v_xor_b32_e32 v58, 8, v5
	;; [unrolled: 1-line block ×5, first 2 shown]
	v_lshlrev_b32_e32 v50, 2, v0
	s_cbranch_execz .LBB21_8
; %bb.6:
	v_mov_b32_e32 v27, 0
	v_mov_b32_e32 v60, 0
	;; [unrolled: 1-line block ×16, first 2 shown]
	s_branch .LBB21_11
.LBB21_7:
                                        ; implicit-def: $vgpr5
                                        ; implicit-def: $vgpr54
                                        ; implicit-def: $vgpr59
                                        ; implicit-def: $vgpr58
                                        ; implicit-def: $vgpr57
                                        ; implicit-def: $vgpr56
                                        ; implicit-def: $vgpr55
	v_lshlrev_b32_e32 v50, 2, v0
.LBB21_8:
	s_clause 0x1
	s_load_dwordx4 s[0:3], s[4:5], 0x98
	s_load_dwordx2 s[12:13], s[4:5], 0x8c
	s_sub_i32 s6, 0, s7
	s_abs_i32 s8, s40
	s_mul_i32 s6, s6, s11
	s_ashr_i32 s16, s40, 31
	s_mul_hi_u32 s6, s11, s6
	s_ashr_i32 s10, s10, 31
	s_add_i32 s11, s11, s6
	s_ashr_i32 s6, s9, 1
	s_mul_hi_u32 s9, s8, s11
	s_ashr_i32 s11, s33, 31
	s_load_dwordx2 s[14:15], s[4:5], 0xa8
	s_mul_i32 s17, s9, s7
	v_lshrrev_b32_e32 v4, 3, v0
	v_and_b32_e32 v18, 28, v50
	v_lshrrev_b32_e32 v7, 4, v0
	v_and_b32_e32 v19, 60, v50
	v_add_nc_u32_e32 v70, 0x4800, v3
	v_lshl_add_u32 v5, v1, 2, v4
	s_waitcnt lgkmcnt(0)
	s_ashr_i32 s27, s2, 2
	s_ashr_i32 s35, s12, 2
	s_mul_hi_u32 s2, s0, s33
	s_mul_i32 s12, s0, s11
	s_mul_i32 s1, s1, s33
	s_add_i32 s2, s2, s12
	s_mul_i32 s0, s0, s33
	s_add_i32 s2, s2, s1
	s_add_u32 s0, s18, s0
	s_addc_u32 s1, s19, s2
	s_sub_i32 s8, s8, s17
	s_xor_b32 s2, s16, s10
	s_add_i32 s10, s9, 1
	s_sub_i32 s12, s8, s7
	s_cmp_ge_u32 s8, s7
	v_mul_lo_u32 v4, s35, v5
	s_cselect_b32 s9, s10, s9
	s_cselect_b32 s8, s12, s8
	s_add_i32 s10, s9, 1
	s_cmp_ge_u32 s8, s7
	s_mul_hi_u32 s8, s14, s33
	s_cselect_b32 s7, s10, s9
	s_mul_i32 s10, s15, s33
	s_xor_b32 s7, s7, s2
	v_lshlrev_b32_e32 v6, 2, v18
	s_sub_i32 s2, s7, s2
	s_mul_i32 s7, s14, s11
	s_mul_i32 s9, s2, s13
	;; [unrolled: 1-line block ×3, first 2 shown]
	s_ashr_i32 s11, s9, 31
	s_add_u32 s36, s0, s9
	s_addc_u32 s37, s1, s11
	s_add_i32 s0, s8, s7
	s_mul_i32 s1, s14, s33
	s_add_i32 s0, s0, s10
	s_add_u32 s1, s20, s1
	s_addc_u32 s0, s21, s0
	s_ashr_i32 s3, s2, 31
	s_add_u32 s41, s1, s2
	s_addc_u32 s43, s0, s3
	s_lshl_b32 s0, s35, 5
	v_lshl_add_u32 v1, v1, 1, v7
	v_mad_u32_u24 v64, 0x90, v5, v6
	v_add_nc_u32_e32 v6, s0, v4
	v_lshlrev_b32_e32 v11, 2, v19
	v_ashrrev_i32_e32 v5, 31, v4
	v_mul_lo_u32 v10, s27, v1
	v_mad_u64_u32 v[33:34], null, v2, s6, v[0:1]
	v_add_nc_u32_e32 v8, s0, v6
	v_ashrrev_i32_e32 v7, 31, v6
	v_lshl_or_b32 v69, v1, 8, v11
	v_lshlrev_b64 v[34:35], 2, v[4:5]
	v_mov_b32_e32 v21, 0
	v_add_nc_u32_e32 v12, s0, v8
	s_lshl_b32 s0, s27, 4
	v_ashrrev_i32_e32 v9, 31, v8
	v_add_nc_u32_e32 v14, s0, v10
	v_ashrrev_i32_e32 v11, 31, v10
	v_ashrrev_i32_e32 v13, 31, v12
	v_lshlrev_b64 v[36:37], 2, v[6:7]
	v_lshlrev_b64 v[38:39], 2, v[8:9]
	v_add_nc_u32_e32 v16, s0, v14
	v_ashrrev_i32_e32 v15, 31, v14
	v_lshlrev_b64 v[40:41], 2, v[12:13]
	v_lshlrev_b64 v[42:43], 2, v[10:11]
	v_add_nc_u32_e32 v65, 0x1200, v64
	v_add_nc_u32_e32 v2, s0, v16
	v_ashrrev_i32_e32 v17, 31, v16
	v_lshlrev_b64 v[44:45], 2, v[14:15]
	v_add_nc_u32_e32 v66, 0x2400, v64
	v_add_nc_u32_e32 v67, 0x3600, v64
	v_ashrrev_i32_e32 v3, 31, v2
	v_lshlrev_b64 v[46:47], 2, v[16:17]
	v_mul_u32_u24_e32 v68, 0x90, v0
	v_add_nc_u32_e32 v71, 0x1000, v69
	v_add_nc_u32_e32 v72, 0x2000, v69
	v_lshlrev_b64 v[48:49], 2, v[2:3]
	v_add_nc_u32_e32 v73, 0x3000, v69
	v_mov_b32_e32 v1, 0xfeffffff
	v_lshlrev_b32_e32 v74, 2, v18
	v_mov_b32_e32 v54, 32
	v_xor_b32_e32 v59, 16, v53
	v_xor_b32_e32 v58, 8, v53
	;; [unrolled: 1-line block ×5, first 2 shown]
	v_add_nc_u32_e32 v75, v70, v51
	v_lshlrev_b32_e32 v76, 2, v19
	v_mov_b32_e32 v77, 0x10001
	v_add_nc_u32_e32 v78, 0x800, v51
	v_add_nc_u32_e32 v79, 0x1000, v51
	;; [unrolled: 1-line block ×7, first 2 shown]
	v_mov_b32_e32 v22, 0
	v_mov_b32_e32 v23, 0
	;; [unrolled: 1-line block ×14, first 2 shown]
	s_add_u32 s22, s4, 0xd0
	s_addc_u32 s23, s5, 0
.LBB21_9:                               ; =>This Inner Loop Header: Depth=1
	v_cmp_gt_i32_e32 vcc_lo, 32, v59
	v_mov_b32_e32 v30, v3
	v_mov_b32_e32 v29, v4
	s_mul_hi_i32 s1, s26, s35
	s_mul_i32 s0, s26, s35
	v_cndmask_b32_e32 v3, v53, v59, vcc_lo
	v_cmp_gt_i32_e32 vcc_lo, 32, v58
	v_mov_b32_e32 v85, v1
	v_add_nc_u32_e32 v1, s26, v33
	s_lshl_b64 s[0:1], s[0:1], 2
	s_mul_hi_i32 s7, s26, s27
	v_cndmask_b32_e32 v4, v53, v58, vcc_lo
	v_cmp_gt_i32_e32 vcc_lo, 32, v57
	s_mul_i32 s6, s26, s27
	s_add_u32 s2, s36, s0
	s_addc_u32 s3, s37, s1
	s_lshl_b64 s[6:7], s[6:7], 2
	v_cndmask_b32_e32 v5, v53, v57, vcc_lo
	v_cmp_gt_i32_e32 vcc_lo, 32, v56
	v_lshlrev_b32_e32 v107, 2, v3
	v_lshlrev_b32_e32 v106, 2, v4
	v_add_co_u32 v4, s0, s2, v38
	v_cndmask_b32_e32 v6, v53, v56, vcc_lo
	v_cmp_gt_i32_e32 vcc_lo, 32, v55
	v_lshlrev_b32_e32 v105, 2, v5
	v_add_co_u32 v5, s1, s2, v40
	v_lshlrev_b32_e32 v104, 2, v6
	v_cndmask_b32_e32 v7, v53, v55, vcc_lo
	v_add_co_u32 v3, vcc_lo, s2, v36
	v_add_co_u32 v6, s2, s2, v34
	v_mov_b32_e32 v31, v2
	v_ashrrev_i32_e32 v2, 31, v1
	s_add_u32 s6, s41, s6
	v_add_co_ci_u32_e64 v10, null, s3, v35, s2
	v_add_co_ci_u32_e64 v12, null, s3, v37, vcc_lo
	v_add_co_ci_u32_e64 v14, null, s3, v39, s0
	v_add_co_ci_u32_e64 v17, null, s3, v41, s1
	s_addc_u32 s3, s43, s7
	v_add_co_u32 v102, s2, s6, v48
	v_add_co_u32 v18, vcc_lo, s6, v42
	v_add_co_u32 v19, s0, s6, v44
	v_add_co_u32 v20, s1, s6, v46
	v_add_co_ci_u32_e64 v110, null, s3, v49, s2
	v_add_co_u32 v15, s2, v6, v74
	v_lshlrev_b32_e32 v103, 2, v7
	v_lshlrev_b64 v[7:8], 1, v[1:2]
	v_add_co_ci_u32_e64 v2, null, s3, v43, vcc_lo
	v_add_co_u32 v9, vcc_lo, v3, v74
	v_add_co_ci_u32_e64 v108, null, s3, v45, s0
	v_add_co_ci_u32_e64 v109, null, s3, v47, s1
	v_add_co_u32 v11, s0, v4, v74
	v_add_co_ci_u32_e64 v16, null, 0, v10, s2
	v_add_co_u32 v13, s1, v5, v74
	v_add_co_ci_u32_e64 v10, null, 0, v12, vcc_lo
	v_add_co_ci_u32_e64 v12, null, 0, v14, s0
	v_add_co_ci_u32_e64 v14, null, 0, v17, s1
	v_add_co_u32 v1, vcc_lo, v19, v76
	v_add_co_u32 v3, s0, v20, v76
	v_add_co_u32 v17, s1, v102, v76
	v_add_co_u32 v5, s2, v18, v76
	v_add_co_ci_u32_e64 v6, null, 0, v2, s2
	v_add_co_ci_u32_e64 v2, null, 0, v108, vcc_lo
	v_add_co_ci_u32_e64 v4, null, 0, v109, s0
	v_add_co_ci_u32_e64 v18, null, 0, v110, s1
	s_clause 0x3
	global_load_dwordx4 v[108:111], v[15:16], off
	global_load_dwordx4 v[112:115], v[9:10], off
	;; [unrolled: 1-line block ×4, first 2 shown]
	v_mov_b32_e32 v86, 0
	v_mov_b32_e32 v87, 0
	;; [unrolled: 1-line block ×16, first 2 shown]
	v_add_co_u32 v7, s0, s44, v7
	v_add_co_ci_u32_e64 v8, null, s45, v8, s0
	s_or_b32 s8, s26, 64
	s_waitcnt vmcnt(3)
	ds_write_b128 v64, v[108:111]
	s_waitcnt vmcnt(2)
	ds_write_b128 v65, v[112:115]
	;; [unrolled: 2-line block ×4, first 2 shown]
	s_waitcnt lgkmcnt(0)
	s_barrier
	buffer_gl0_inv
	ds_read_b128 v[108:111], v68
	ds_read_b128 v[112:115], v52
	ds_read_b128 v[116:119], v52 offset:256
	ds_read_b128 v[120:123], v52 offset:512
	;; [unrolled: 1-line block ×6, first 2 shown]
	s_waitcnt lgkmcnt(6)
	;;#ASMSTART
	v_dot2_f32_f16 v86, v108, v112, v86
	;;#ASMEND
	;;#ASMSTART
	v_dot2_f32_f16 v86, v109, v113, v86
	;;#ASMEND
	;;#ASMSTART
	v_dot2_f32_f16 v86, v110, v114, v86
	;;#ASMEND
	;;#ASMSTART
	v_dot2_f32_f16 v86, v111, v115, v86
	;;#ASMEND
	s_waitcnt lgkmcnt(5)
	;;#ASMSTART
	v_dot2_f32_f16 v87, v108, v116, v87
	;;#ASMEND
	;;#ASMSTART
	v_dot2_f32_f16 v87, v109, v117, v87
	;;#ASMEND
	;;#ASMSTART
	v_dot2_f32_f16 v87, v110, v118, v87
	;;#ASMEND
	;;#ASMSTART
	v_dot2_f32_f16 v87, v111, v119, v87
	;;#ASMEND
	;; [unrolled: 13-line block ×5, first 2 shown]
	;;#ASMSTART
	v_dot2_f32_f16 v91, v128, v116, v91
	;;#ASMEND
	;;#ASMSTART
	v_dot2_f32_f16 v91, v129, v117, v91
	;;#ASMEND
	;; [unrolled: 3-line block ×12, first 2 shown]
	s_waitcnt lgkmcnt(1)
	;;#ASMSTART
	v_dot2_f32_f16 v94, v132, v112, v94
	;;#ASMEND
	;;#ASMSTART
	v_dot2_f32_f16 v94, v133, v113, v94
	;;#ASMEND
	;; [unrolled: 3-line block ×16, first 2 shown]
	s_waitcnt lgkmcnt(0)
	;;#ASMSTART
	v_dot2_f32_f16 v98, v136, v112, v98
	;;#ASMEND
	;;#ASMSTART
	v_dot2_f32_f16 v98, v137, v113, v98
	;;#ASMEND
	;; [unrolled: 3-line block ×16, first 2 shown]
	ds_read_b128 v[108:111], v68 offset:16
	ds_read_b128 v[112:115], v52 offset:16
	;; [unrolled: 1-line block ×8, first 2 shown]
	s_waitcnt lgkmcnt(6)
	;;#ASMSTART
	v_dot2_f32_f16 v86, v108, v112, v86
	;;#ASMEND
	;;#ASMSTART
	v_dot2_f32_f16 v86, v109, v113, v86
	;;#ASMEND
	;;#ASMSTART
	v_dot2_f32_f16 v86, v110, v114, v86
	;;#ASMEND
	;;#ASMSTART
	v_dot2_f32_f16 v86, v111, v115, v86
	;;#ASMEND
	s_waitcnt lgkmcnt(5)
	;;#ASMSTART
	v_dot2_f32_f16 v87, v108, v116, v87
	;;#ASMEND
	;;#ASMSTART
	v_dot2_f32_f16 v87, v109, v117, v87
	;;#ASMEND
	;;#ASMSTART
	v_dot2_f32_f16 v87, v110, v118, v87
	;;#ASMEND
	;;#ASMSTART
	v_dot2_f32_f16 v87, v111, v119, v87
	;;#ASMEND
	;; [unrolled: 13-line block ×5, first 2 shown]
	;;#ASMSTART
	v_dot2_f32_f16 v91, v128, v116, v91
	;;#ASMEND
	;;#ASMSTART
	v_dot2_f32_f16 v91, v129, v117, v91
	;;#ASMEND
	;; [unrolled: 3-line block ×12, first 2 shown]
	s_waitcnt lgkmcnt(1)
	;;#ASMSTART
	v_dot2_f32_f16 v94, v132, v112, v94
	;;#ASMEND
	;;#ASMSTART
	v_dot2_f32_f16 v94, v133, v113, v94
	;;#ASMEND
	;; [unrolled: 3-line block ×16, first 2 shown]
	s_waitcnt lgkmcnt(0)
	;;#ASMSTART
	v_dot2_f32_f16 v98, v136, v112, v98
	;;#ASMEND
	;;#ASMSTART
	v_dot2_f32_f16 v98, v137, v113, v98
	;;#ASMEND
	;; [unrolled: 3-line block ×16, first 2 shown]
	ds_read_b128 v[108:111], v68 offset:32
	ds_read_b128 v[112:115], v52 offset:32
	;; [unrolled: 1-line block ×8, first 2 shown]
	s_waitcnt lgkmcnt(6)
	;;#ASMSTART
	v_dot2_f32_f16 v86, v108, v112, v86
	;;#ASMEND
	;;#ASMSTART
	v_dot2_f32_f16 v86, v109, v113, v86
	;;#ASMEND
	;;#ASMSTART
	v_dot2_f32_f16 v86, v110, v114, v86
	;;#ASMEND
	;;#ASMSTART
	v_dot2_f32_f16 v86, v111, v115, v86
	;;#ASMEND
	s_waitcnt lgkmcnt(5)
	;;#ASMSTART
	v_dot2_f32_f16 v87, v108, v116, v87
	;;#ASMEND
	;;#ASMSTART
	v_dot2_f32_f16 v87, v109, v117, v87
	;;#ASMEND
	;;#ASMSTART
	v_dot2_f32_f16 v87, v110, v118, v87
	;;#ASMEND
	;;#ASMSTART
	v_dot2_f32_f16 v87, v111, v119, v87
	;;#ASMEND
	s_waitcnt lgkmcnt(4)
	;;#ASMSTART
	v_dot2_f32_f16 v88, v108, v120, v88
	;;#ASMEND
	;;#ASMSTART
	v_dot2_f32_f16 v88, v109, v121, v88
	;;#ASMEND
	;;#ASMSTART
	v_dot2_f32_f16 v88, v110, v122, v88
	;;#ASMEND
	;;#ASMSTART
	v_dot2_f32_f16 v88, v111, v123, v88
	;;#ASMEND
	s_waitcnt lgkmcnt(3)
	;;#ASMSTART
	v_dot2_f32_f16 v89, v108, v124, v89
	;;#ASMEND
	;;#ASMSTART
	v_dot2_f32_f16 v89, v109, v125, v89
	;;#ASMEND
	;;#ASMSTART
	v_dot2_f32_f16 v89, v110, v126, v89
	;;#ASMEND
	;;#ASMSTART
	v_dot2_f32_f16 v89, v111, v127, v89
	;;#ASMEND
	s_waitcnt lgkmcnt(2)
	;;#ASMSTART
	v_dot2_f32_f16 v90, v128, v112, v90
	;;#ASMEND
	;;#ASMSTART
	v_dot2_f32_f16 v90, v129, v113, v90
	;;#ASMEND
	;;#ASMSTART
	v_dot2_f32_f16 v90, v130, v114, v90
	;;#ASMEND
	;;#ASMSTART
	v_dot2_f32_f16 v90, v131, v115, v90
	;;#ASMEND
	;;#ASMSTART
	v_dot2_f32_f16 v91, v128, v116, v91
	;;#ASMEND
	;;#ASMSTART
	v_dot2_f32_f16 v91, v129, v117, v91
	;;#ASMEND
	;; [unrolled: 3-line block ×12, first 2 shown]
	s_waitcnt lgkmcnt(1)
	;;#ASMSTART
	v_dot2_f32_f16 v94, v132, v112, v94
	;;#ASMEND
	;;#ASMSTART
	v_dot2_f32_f16 v94, v133, v113, v94
	;;#ASMEND
	;;#ASMSTART
	v_dot2_f32_f16 v94, v134, v114, v94
	;;#ASMEND
	;;#ASMSTART
	v_dot2_f32_f16 v94, v135, v115, v94
	;;#ASMEND
	;;#ASMSTART
	v_dot2_f32_f16 v95, v132, v116, v95
	;;#ASMEND
	;;#ASMSTART
	v_dot2_f32_f16 v95, v133, v117, v95
	;;#ASMEND
	;;#ASMSTART
	v_dot2_f32_f16 v95, v134, v118, v95
	;;#ASMEND
	;;#ASMSTART
	v_dot2_f32_f16 v95, v135, v119, v95
	;;#ASMEND
	;;#ASMSTART
	v_dot2_f32_f16 v96, v132, v120, v96
	;;#ASMEND
	;;#ASMSTART
	v_dot2_f32_f16 v96, v133, v121, v96
	;;#ASMEND
	;;#ASMSTART
	v_dot2_f32_f16 v96, v134, v122, v96
	;;#ASMEND
	;;#ASMSTART
	v_dot2_f32_f16 v96, v135, v123, v96
	;;#ASMEND
	;;#ASMSTART
	v_dot2_f32_f16 v97, v132, v124, v97
	;;#ASMEND
	;;#ASMSTART
	v_dot2_f32_f16 v97, v133, v125, v97
	;;#ASMEND
	;;#ASMSTART
	v_dot2_f32_f16 v97, v134, v126, v97
	;;#ASMEND
	;;#ASMSTART
	v_dot2_f32_f16 v97, v135, v127, v97
	;;#ASMEND
	s_waitcnt lgkmcnt(0)
	;;#ASMSTART
	v_dot2_f32_f16 v98, v136, v112, v98
	;;#ASMEND
	;;#ASMSTART
	v_dot2_f32_f16 v98, v137, v113, v98
	;;#ASMEND
	;; [unrolled: 3-line block ×16, first 2 shown]
	ds_read_b128 v[108:111], v68 offset:48
	ds_read_b128 v[112:115], v52 offset:48
	ds_read_b128 v[116:119], v52 offset:304
	ds_read_b128 v[120:123], v52 offset:560
	ds_read_b128 v[124:127], v52 offset:816
	ds_read_b128 v[128:131], v68 offset:4656
	ds_read_b128 v[132:135], v68 offset:9264
	ds_read_b128 v[136:139], v68 offset:13872
	s_waitcnt lgkmcnt(6)
	;;#ASMSTART
	v_dot2_f32_f16 v86, v108, v112, v86
	;;#ASMEND
	;;#ASMSTART
	v_dot2_f32_f16 v86, v109, v113, v86
	;;#ASMEND
	;;#ASMSTART
	v_dot2_f32_f16 v86, v110, v114, v86
	;;#ASMEND
	;;#ASMSTART
	v_dot2_f32_f16 v86, v111, v115, v86
	;;#ASMEND
	s_waitcnt lgkmcnt(5)
	;;#ASMSTART
	v_dot2_f32_f16 v87, v108, v116, v87
	;;#ASMEND
	;;#ASMSTART
	v_dot2_f32_f16 v87, v109, v117, v87
	;;#ASMEND
	;;#ASMSTART
	v_dot2_f32_f16 v87, v110, v118, v87
	;;#ASMEND
	;;#ASMSTART
	v_dot2_f32_f16 v87, v111, v119, v87
	;;#ASMEND
	;; [unrolled: 13-line block ×5, first 2 shown]
	;;#ASMSTART
	v_dot2_f32_f16 v91, v128, v116, v91
	;;#ASMEND
	;;#ASMSTART
	v_dot2_f32_f16 v91, v129, v117, v91
	;;#ASMEND
	;; [unrolled: 3-line block ×12, first 2 shown]
	s_waitcnt lgkmcnt(1)
	;;#ASMSTART
	v_dot2_f32_f16 v94, v132, v112, v94
	;;#ASMEND
	;;#ASMSTART
	v_dot2_f32_f16 v94, v133, v113, v94
	;;#ASMEND
	;; [unrolled: 3-line block ×16, first 2 shown]
	s_waitcnt lgkmcnt(0)
	;;#ASMSTART
	v_dot2_f32_f16 v98, v136, v112, v98
	;;#ASMEND
	;;#ASMSTART
	v_dot2_f32_f16 v98, v137, v113, v98
	;;#ASMEND
	;; [unrolled: 3-line block ×16, first 2 shown]
	ds_read_b128 v[108:111], v68 offset:64
	ds_read_b128 v[112:115], v52 offset:64
	;; [unrolled: 1-line block ×8, first 2 shown]
	s_waitcnt lgkmcnt(6)
	;;#ASMSTART
	v_dot2_f32_f16 v86, v108, v112, v86
	;;#ASMEND
	;;#ASMSTART
	v_dot2_f32_f16 v86, v109, v113, v86
	;;#ASMEND
	;;#ASMSTART
	v_dot2_f32_f16 v86, v110, v114, v86
	;;#ASMEND
	;;#ASMSTART
	v_dot2_f32_f16 v86, v111, v115, v86
	;;#ASMEND
	s_waitcnt lgkmcnt(5)
	;;#ASMSTART
	v_dot2_f32_f16 v87, v108, v116, v87
	;;#ASMEND
	;;#ASMSTART
	v_dot2_f32_f16 v87, v109, v117, v87
	;;#ASMEND
	;;#ASMSTART
	v_dot2_f32_f16 v87, v110, v118, v87
	;;#ASMEND
	;;#ASMSTART
	v_dot2_f32_f16 v87, v111, v119, v87
	;;#ASMEND
	;; [unrolled: 13-line block ×5, first 2 shown]
	;;#ASMSTART
	v_dot2_f32_f16 v91, v128, v116, v91
	;;#ASMEND
	;;#ASMSTART
	v_dot2_f32_f16 v91, v129, v117, v91
	;;#ASMEND
	;; [unrolled: 3-line block ×12, first 2 shown]
	s_waitcnt lgkmcnt(1)
	;;#ASMSTART
	v_dot2_f32_f16 v94, v132, v112, v94
	;;#ASMEND
	;;#ASMSTART
	v_dot2_f32_f16 v94, v133, v113, v94
	;;#ASMEND
	;; [unrolled: 3-line block ×16, first 2 shown]
	s_waitcnt lgkmcnt(0)
	;;#ASMSTART
	v_dot2_f32_f16 v98, v136, v112, v98
	;;#ASMEND
	;;#ASMSTART
	v_dot2_f32_f16 v98, v137, v113, v98
	;;#ASMEND
	;; [unrolled: 3-line block ×16, first 2 shown]
	ds_read_b128 v[108:111], v68 offset:80
	ds_read_b128 v[112:115], v52 offset:80
	;; [unrolled: 1-line block ×8, first 2 shown]
	s_waitcnt lgkmcnt(6)
	;;#ASMSTART
	v_dot2_f32_f16 v86, v108, v112, v86
	;;#ASMEND
	;;#ASMSTART
	v_dot2_f32_f16 v86, v109, v113, v86
	;;#ASMEND
	;;#ASMSTART
	v_dot2_f32_f16 v86, v110, v114, v86
	;;#ASMEND
	;;#ASMSTART
	v_dot2_f32_f16 v86, v111, v115, v86
	;;#ASMEND
	s_waitcnt lgkmcnt(5)
	;;#ASMSTART
	v_dot2_f32_f16 v87, v108, v116, v87
	;;#ASMEND
	;;#ASMSTART
	v_dot2_f32_f16 v87, v109, v117, v87
	;;#ASMEND
	;;#ASMSTART
	v_dot2_f32_f16 v87, v110, v118, v87
	;;#ASMEND
	;;#ASMSTART
	v_dot2_f32_f16 v87, v111, v119, v87
	;;#ASMEND
	;; [unrolled: 13-line block ×5, first 2 shown]
	;;#ASMSTART
	v_dot2_f32_f16 v91, v128, v116, v91
	;;#ASMEND
	;;#ASMSTART
	v_dot2_f32_f16 v91, v129, v117, v91
	;;#ASMEND
	;; [unrolled: 3-line block ×12, first 2 shown]
	s_waitcnt lgkmcnt(1)
	;;#ASMSTART
	v_dot2_f32_f16 v94, v132, v112, v94
	;;#ASMEND
	;;#ASMSTART
	v_dot2_f32_f16 v94, v133, v113, v94
	;;#ASMEND
	;; [unrolled: 3-line block ×16, first 2 shown]
	s_waitcnt lgkmcnt(0)
	;;#ASMSTART
	v_dot2_f32_f16 v98, v136, v112, v98
	;;#ASMEND
	;;#ASMSTART
	v_dot2_f32_f16 v98, v137, v113, v98
	;;#ASMEND
	;; [unrolled: 3-line block ×16, first 2 shown]
	ds_read_b128 v[108:111], v68 offset:96
	ds_read_b128 v[112:115], v52 offset:96
	;; [unrolled: 1-line block ×8, first 2 shown]
	s_waitcnt lgkmcnt(6)
	;;#ASMSTART
	v_dot2_f32_f16 v86, v108, v112, v86
	;;#ASMEND
	;;#ASMSTART
	v_dot2_f32_f16 v86, v109, v113, v86
	;;#ASMEND
	;;#ASMSTART
	v_dot2_f32_f16 v86, v110, v114, v86
	;;#ASMEND
	;;#ASMSTART
	v_dot2_f32_f16 v86, v111, v115, v86
	;;#ASMEND
	s_waitcnt lgkmcnt(5)
	;;#ASMSTART
	v_dot2_f32_f16 v87, v108, v116, v87
	;;#ASMEND
	;;#ASMSTART
	v_dot2_f32_f16 v87, v109, v117, v87
	;;#ASMEND
	;;#ASMSTART
	v_dot2_f32_f16 v87, v110, v118, v87
	;;#ASMEND
	;;#ASMSTART
	v_dot2_f32_f16 v87, v111, v119, v87
	;;#ASMEND
	;; [unrolled: 13-line block ×5, first 2 shown]
	;;#ASMSTART
	v_dot2_f32_f16 v91, v128, v116, v91
	;;#ASMEND
	;;#ASMSTART
	v_dot2_f32_f16 v91, v129, v117, v91
	;;#ASMEND
	;; [unrolled: 3-line block ×12, first 2 shown]
	s_waitcnt lgkmcnt(1)
	;;#ASMSTART
	v_dot2_f32_f16 v94, v132, v112, v94
	;;#ASMEND
	;;#ASMSTART
	v_dot2_f32_f16 v94, v133, v113, v94
	;;#ASMEND
	;; [unrolled: 3-line block ×16, first 2 shown]
	s_waitcnt lgkmcnt(0)
	;;#ASMSTART
	v_dot2_f32_f16 v98, v136, v112, v98
	;;#ASMEND
	;;#ASMSTART
	v_dot2_f32_f16 v98, v137, v113, v98
	;;#ASMEND
	;; [unrolled: 3-line block ×16, first 2 shown]
	ds_read_b128 v[108:111], v68 offset:112
	ds_read_b128 v[112:115], v52 offset:112
	;; [unrolled: 1-line block ×8, first 2 shown]
	s_waitcnt lgkmcnt(6)
	;;#ASMSTART
	v_dot2_f32_f16 v86, v108, v112, v86
	;;#ASMEND
	;;#ASMSTART
	v_dot2_f32_f16 v86, v109, v113, v86
	;;#ASMEND
	;;#ASMSTART
	v_dot2_f32_f16 v86, v110, v114, v86
	;;#ASMEND
	;;#ASMSTART
	v_dot2_f32_f16 v86, v111, v115, v86
	;;#ASMEND
	s_waitcnt lgkmcnt(5)
	;;#ASMSTART
	v_dot2_f32_f16 v87, v108, v116, v87
	;;#ASMEND
	;;#ASMSTART
	v_dot2_f32_f16 v87, v109, v117, v87
	;;#ASMEND
	;;#ASMSTART
	v_dot2_f32_f16 v87, v110, v118, v87
	;;#ASMEND
	;;#ASMSTART
	v_dot2_f32_f16 v87, v111, v119, v87
	;;#ASMEND
	s_waitcnt lgkmcnt(4)
	;;#ASMSTART
	v_dot2_f32_f16 v88, v108, v120, v88
	;;#ASMEND
	;;#ASMSTART
	v_dot2_f32_f16 v88, v109, v121, v88
	;;#ASMEND
	;;#ASMSTART
	v_dot2_f32_f16 v88, v110, v122, v88
	;;#ASMEND
	;;#ASMSTART
	v_dot2_f32_f16 v88, v111, v123, v88
	;;#ASMEND
	s_waitcnt lgkmcnt(3)
	;;#ASMSTART
	v_dot2_f32_f16 v89, v108, v124, v89
	;;#ASMEND
	;;#ASMSTART
	v_dot2_f32_f16 v89, v109, v125, v89
	;;#ASMEND
	;;#ASMSTART
	v_dot2_f32_f16 v89, v110, v126, v89
	;;#ASMEND
	;;#ASMSTART
	v_dot2_f32_f16 v89, v111, v127, v89
	;;#ASMEND
	s_waitcnt lgkmcnt(2)
	;;#ASMSTART
	v_dot2_f32_f16 v90, v128, v112, v90
	;;#ASMEND
	;;#ASMSTART
	v_dot2_f32_f16 v90, v129, v113, v90
	;;#ASMEND
	;;#ASMSTART
	v_dot2_f32_f16 v90, v130, v114, v90
	;;#ASMEND
	;;#ASMSTART
	v_dot2_f32_f16 v90, v131, v115, v90
	;;#ASMEND
	;;#ASMSTART
	v_dot2_f32_f16 v91, v128, v116, v91
	;;#ASMEND
	;;#ASMSTART
	v_dot2_f32_f16 v91, v129, v117, v91
	;;#ASMEND
	;; [unrolled: 3-line block ×12, first 2 shown]
	s_waitcnt lgkmcnt(1)
	;;#ASMSTART
	v_dot2_f32_f16 v94, v132, v112, v94
	;;#ASMEND
	;;#ASMSTART
	v_dot2_f32_f16 v94, v133, v113, v94
	;;#ASMEND
	;; [unrolled: 3-line block ×16, first 2 shown]
	s_waitcnt lgkmcnt(0)
	;;#ASMSTART
	v_dot2_f32_f16 v98, v136, v112, v98
	;;#ASMEND
	;;#ASMSTART
	v_dot2_f32_f16 v98, v137, v113, v98
	;;#ASMEND
	;; [unrolled: 3-line block ×16, first 2 shown]
	s_barrier
	buffer_gl0_inv
	s_clause 0x3
	global_load_dwordx4 v[108:111], v[15:16], off offset:128
	global_load_dwordx4 v[112:115], v[9:10], off offset:128
	;; [unrolled: 1-line block ×4, first 2 shown]
	s_mul_hi_i32 s7, s8, s27
	s_mul_i32 s6, s8, s27
	s_waitcnt vmcnt(3)
	ds_write_b128 v64, v[108:111]
	s_waitcnt vmcnt(2)
	ds_write_b128 v65, v[112:115]
	;; [unrolled: 2-line block ×4, first 2 shown]
	s_waitcnt lgkmcnt(0)
	s_barrier
	buffer_gl0_inv
	ds_read_b128 v[9:12], v68
	ds_read_b128 v[13:16], v52 offset:128
	ds_read_b128 v[108:111], v52 offset:384
	;; [unrolled: 1-line block ×7, first 2 shown]
	s_waitcnt lgkmcnt(6)
	;;#ASMSTART
	v_dot2_f32_f16 v86, v9, v13, v86
	;;#ASMEND
	;;#ASMSTART
	v_dot2_f32_f16 v86, v10, v14, v86
	;;#ASMEND
	;;#ASMSTART
	v_dot2_f32_f16 v86, v11, v15, v86
	;;#ASMEND
	;;#ASMSTART
	v_dot2_f32_f16 v86, v12, v16, v86
	;;#ASMEND
	s_waitcnt lgkmcnt(5)
	;;#ASMSTART
	v_dot2_f32_f16 v87, v9, v108, v87
	;;#ASMEND
	;;#ASMSTART
	v_dot2_f32_f16 v87, v10, v109, v87
	;;#ASMEND
	;;#ASMSTART
	v_dot2_f32_f16 v87, v11, v110, v87
	;;#ASMEND
	;;#ASMSTART
	v_dot2_f32_f16 v87, v12, v111, v87
	;;#ASMEND
	;; [unrolled: 13-line block ×5, first 2 shown]
	;;#ASMSTART
	v_dot2_f32_f16 v91, v120, v108, v91
	;;#ASMEND
	;;#ASMSTART
	v_dot2_f32_f16 v91, v121, v109, v91
	;;#ASMEND
	;; [unrolled: 3-line block ×12, first 2 shown]
	s_waitcnt lgkmcnt(1)
	;;#ASMSTART
	v_dot2_f32_f16 v94, v124, v13, v94
	;;#ASMEND
	;;#ASMSTART
	v_dot2_f32_f16 v94, v125, v14, v94
	;;#ASMEND
	;; [unrolled: 3-line block ×16, first 2 shown]
	s_waitcnt lgkmcnt(0)
	;;#ASMSTART
	v_dot2_f32_f16 v98, v128, v13, v98
	;;#ASMEND
	;;#ASMSTART
	v_dot2_f32_f16 v98, v129, v14, v98
	;;#ASMEND
	;; [unrolled: 3-line block ×16, first 2 shown]
	ds_read_b128 v[9:12], v68 offset:16
	ds_read_b128 v[13:16], v52 offset:144
	ds_read_b128 v[108:111], v52 offset:400
	ds_read_b128 v[112:115], v52 offset:656
	ds_read_b128 v[116:119], v52 offset:912
	ds_read_b128 v[120:123], v68 offset:4624
	ds_read_b128 v[124:127], v68 offset:9232
	ds_read_b128 v[128:131], v68 offset:13840
	s_waitcnt lgkmcnt(6)
	;;#ASMSTART
	v_dot2_f32_f16 v86, v9, v13, v86
	;;#ASMEND
	;;#ASMSTART
	v_dot2_f32_f16 v86, v10, v14, v86
	;;#ASMEND
	;;#ASMSTART
	v_dot2_f32_f16 v86, v11, v15, v86
	;;#ASMEND
	;;#ASMSTART
	v_dot2_f32_f16 v86, v12, v16, v86
	;;#ASMEND
	s_waitcnt lgkmcnt(5)
	;;#ASMSTART
	v_dot2_f32_f16 v87, v9, v108, v87
	;;#ASMEND
	;;#ASMSTART
	v_dot2_f32_f16 v87, v10, v109, v87
	;;#ASMEND
	;;#ASMSTART
	v_dot2_f32_f16 v87, v11, v110, v87
	;;#ASMEND
	;;#ASMSTART
	v_dot2_f32_f16 v87, v12, v111, v87
	;;#ASMEND
	;; [unrolled: 13-line block ×5, first 2 shown]
	;;#ASMSTART
	v_dot2_f32_f16 v91, v120, v108, v91
	;;#ASMEND
	;;#ASMSTART
	v_dot2_f32_f16 v91, v121, v109, v91
	;;#ASMEND
	;; [unrolled: 3-line block ×12, first 2 shown]
	s_waitcnt lgkmcnt(1)
	;;#ASMSTART
	v_dot2_f32_f16 v94, v124, v13, v94
	;;#ASMEND
	;;#ASMSTART
	v_dot2_f32_f16 v94, v125, v14, v94
	;;#ASMEND
	;; [unrolled: 3-line block ×16, first 2 shown]
	s_waitcnt lgkmcnt(0)
	;;#ASMSTART
	v_dot2_f32_f16 v98, v128, v13, v98
	;;#ASMEND
	;;#ASMSTART
	v_dot2_f32_f16 v98, v129, v14, v98
	;;#ASMEND
	;; [unrolled: 3-line block ×16, first 2 shown]
	ds_read_b128 v[9:12], v68 offset:32
	ds_read_b128 v[13:16], v52 offset:160
	;; [unrolled: 1-line block ×8, first 2 shown]
	s_waitcnt lgkmcnt(6)
	;;#ASMSTART
	v_dot2_f32_f16 v86, v9, v13, v86
	;;#ASMEND
	;;#ASMSTART
	v_dot2_f32_f16 v86, v10, v14, v86
	;;#ASMEND
	;;#ASMSTART
	v_dot2_f32_f16 v86, v11, v15, v86
	;;#ASMEND
	;;#ASMSTART
	v_dot2_f32_f16 v86, v12, v16, v86
	;;#ASMEND
	s_waitcnt lgkmcnt(5)
	;;#ASMSTART
	v_dot2_f32_f16 v87, v9, v108, v87
	;;#ASMEND
	;;#ASMSTART
	v_dot2_f32_f16 v87, v10, v109, v87
	;;#ASMEND
	;;#ASMSTART
	v_dot2_f32_f16 v87, v11, v110, v87
	;;#ASMEND
	;;#ASMSTART
	v_dot2_f32_f16 v87, v12, v111, v87
	;;#ASMEND
	;; [unrolled: 13-line block ×5, first 2 shown]
	;;#ASMSTART
	v_dot2_f32_f16 v91, v120, v108, v91
	;;#ASMEND
	;;#ASMSTART
	v_dot2_f32_f16 v91, v121, v109, v91
	;;#ASMEND
	;; [unrolled: 3-line block ×12, first 2 shown]
	s_waitcnt lgkmcnt(1)
	;;#ASMSTART
	v_dot2_f32_f16 v94, v124, v13, v94
	;;#ASMEND
	;;#ASMSTART
	v_dot2_f32_f16 v94, v125, v14, v94
	;;#ASMEND
	;; [unrolled: 3-line block ×16, first 2 shown]
	s_waitcnt lgkmcnt(0)
	;;#ASMSTART
	v_dot2_f32_f16 v98, v128, v13, v98
	;;#ASMEND
	;;#ASMSTART
	v_dot2_f32_f16 v98, v129, v14, v98
	;;#ASMEND
	;;#ASMSTART
	v_dot2_f32_f16 v98, v130, v15, v98
	;;#ASMEND
	;;#ASMSTART
	v_dot2_f32_f16 v98, v131, v16, v98
	;;#ASMEND
	;;#ASMSTART
	v_dot2_f32_f16 v99, v128, v108, v99
	;;#ASMEND
	;;#ASMSTART
	v_dot2_f32_f16 v99, v129, v109, v99
	;;#ASMEND
	;;#ASMSTART
	v_dot2_f32_f16 v99, v130, v110, v99
	;;#ASMEND
	;;#ASMSTART
	v_dot2_f32_f16 v99, v131, v111, v99
	;;#ASMEND
	;;#ASMSTART
	v_dot2_f32_f16 v100, v128, v112, v100
	;;#ASMEND
	;;#ASMSTART
	v_dot2_f32_f16 v100, v129, v113, v100
	;;#ASMEND
	;;#ASMSTART
	v_dot2_f32_f16 v100, v130, v114, v100
	;;#ASMEND
	;;#ASMSTART
	v_dot2_f32_f16 v100, v131, v115, v100
	;;#ASMEND
	;;#ASMSTART
	v_dot2_f32_f16 v101, v128, v116, v101
	;;#ASMEND
	;;#ASMSTART
	v_dot2_f32_f16 v101, v129, v117, v101
	;;#ASMEND
	;;#ASMSTART
	v_dot2_f32_f16 v101, v130, v118, v101
	;;#ASMEND
	;;#ASMSTART
	v_dot2_f32_f16 v101, v131, v119, v101
	;;#ASMEND
	ds_read_b128 v[9:12], v68 offset:48
	ds_read_b128 v[13:16], v52 offset:176
	;; [unrolled: 1-line block ×8, first 2 shown]
	s_waitcnt lgkmcnt(6)
	;;#ASMSTART
	v_dot2_f32_f16 v86, v9, v13, v86
	;;#ASMEND
	;;#ASMSTART
	v_dot2_f32_f16 v86, v10, v14, v86
	;;#ASMEND
	;;#ASMSTART
	v_dot2_f32_f16 v86, v11, v15, v86
	;;#ASMEND
	;;#ASMSTART
	v_dot2_f32_f16 v86, v12, v16, v86
	;;#ASMEND
	s_waitcnt lgkmcnt(5)
	;;#ASMSTART
	v_dot2_f32_f16 v87, v9, v108, v87
	;;#ASMEND
	;;#ASMSTART
	v_dot2_f32_f16 v87, v10, v109, v87
	;;#ASMEND
	;;#ASMSTART
	v_dot2_f32_f16 v87, v11, v110, v87
	;;#ASMEND
	;;#ASMSTART
	v_dot2_f32_f16 v87, v12, v111, v87
	;;#ASMEND
	;; [unrolled: 13-line block ×5, first 2 shown]
	;;#ASMSTART
	v_dot2_f32_f16 v91, v120, v108, v91
	;;#ASMEND
	;;#ASMSTART
	v_dot2_f32_f16 v91, v121, v109, v91
	;;#ASMEND
	;; [unrolled: 3-line block ×12, first 2 shown]
	s_waitcnt lgkmcnt(1)
	;;#ASMSTART
	v_dot2_f32_f16 v94, v124, v13, v94
	;;#ASMEND
	;;#ASMSTART
	v_dot2_f32_f16 v94, v125, v14, v94
	;;#ASMEND
	;; [unrolled: 3-line block ×16, first 2 shown]
	s_waitcnt lgkmcnt(0)
	;;#ASMSTART
	v_dot2_f32_f16 v98, v128, v13, v98
	;;#ASMEND
	;;#ASMSTART
	v_dot2_f32_f16 v98, v129, v14, v98
	;;#ASMEND
	;; [unrolled: 3-line block ×16, first 2 shown]
	ds_read_b128 v[9:12], v68 offset:64
	ds_read_b128 v[13:16], v52 offset:192
	;; [unrolled: 1-line block ×8, first 2 shown]
	s_waitcnt lgkmcnt(6)
	;;#ASMSTART
	v_dot2_f32_f16 v86, v9, v13, v86
	;;#ASMEND
	;;#ASMSTART
	v_dot2_f32_f16 v86, v10, v14, v86
	;;#ASMEND
	;;#ASMSTART
	v_dot2_f32_f16 v86, v11, v15, v86
	;;#ASMEND
	;;#ASMSTART
	v_dot2_f32_f16 v86, v12, v16, v86
	;;#ASMEND
	s_waitcnt lgkmcnt(5)
	;;#ASMSTART
	v_dot2_f32_f16 v87, v9, v108, v87
	;;#ASMEND
	;;#ASMSTART
	v_dot2_f32_f16 v87, v10, v109, v87
	;;#ASMEND
	;;#ASMSTART
	v_dot2_f32_f16 v87, v11, v110, v87
	;;#ASMEND
	;;#ASMSTART
	v_dot2_f32_f16 v87, v12, v111, v87
	;;#ASMEND
	;; [unrolled: 13-line block ×5, first 2 shown]
	;;#ASMSTART
	v_dot2_f32_f16 v91, v120, v108, v91
	;;#ASMEND
	;;#ASMSTART
	v_dot2_f32_f16 v91, v121, v109, v91
	;;#ASMEND
	;; [unrolled: 3-line block ×12, first 2 shown]
	s_waitcnt lgkmcnt(1)
	;;#ASMSTART
	v_dot2_f32_f16 v94, v124, v13, v94
	;;#ASMEND
	;;#ASMSTART
	v_dot2_f32_f16 v94, v125, v14, v94
	;;#ASMEND
	;; [unrolled: 3-line block ×16, first 2 shown]
	s_waitcnt lgkmcnt(0)
	;;#ASMSTART
	v_dot2_f32_f16 v98, v128, v13, v98
	;;#ASMEND
	;;#ASMSTART
	v_dot2_f32_f16 v98, v129, v14, v98
	;;#ASMEND
	;; [unrolled: 3-line block ×16, first 2 shown]
	ds_read_b128 v[9:12], v68 offset:80
	ds_read_b128 v[13:16], v52 offset:208
	;; [unrolled: 1-line block ×8, first 2 shown]
	s_waitcnt lgkmcnt(6)
	;;#ASMSTART
	v_dot2_f32_f16 v86, v9, v13, v86
	;;#ASMEND
	;;#ASMSTART
	v_dot2_f32_f16 v86, v10, v14, v86
	;;#ASMEND
	;;#ASMSTART
	v_dot2_f32_f16 v86, v11, v15, v86
	;;#ASMEND
	;;#ASMSTART
	v_dot2_f32_f16 v86, v12, v16, v86
	;;#ASMEND
	s_waitcnt lgkmcnt(5)
	;;#ASMSTART
	v_dot2_f32_f16 v87, v9, v108, v87
	;;#ASMEND
	;;#ASMSTART
	v_dot2_f32_f16 v87, v10, v109, v87
	;;#ASMEND
	;;#ASMSTART
	v_dot2_f32_f16 v87, v11, v110, v87
	;;#ASMEND
	;;#ASMSTART
	v_dot2_f32_f16 v87, v12, v111, v87
	;;#ASMEND
	;; [unrolled: 13-line block ×5, first 2 shown]
	;;#ASMSTART
	v_dot2_f32_f16 v91, v120, v108, v91
	;;#ASMEND
	;;#ASMSTART
	v_dot2_f32_f16 v91, v121, v109, v91
	;;#ASMEND
	;; [unrolled: 3-line block ×12, first 2 shown]
	s_waitcnt lgkmcnt(1)
	;;#ASMSTART
	v_dot2_f32_f16 v94, v124, v13, v94
	;;#ASMEND
	;;#ASMSTART
	v_dot2_f32_f16 v94, v125, v14, v94
	;;#ASMEND
	;; [unrolled: 3-line block ×16, first 2 shown]
	s_waitcnt lgkmcnt(0)
	;;#ASMSTART
	v_dot2_f32_f16 v98, v128, v13, v98
	;;#ASMEND
	;;#ASMSTART
	v_dot2_f32_f16 v98, v129, v14, v98
	;;#ASMEND
	;; [unrolled: 3-line block ×16, first 2 shown]
	ds_read_b128 v[9:12], v68 offset:96
	ds_read_b128 v[13:16], v52 offset:224
	;; [unrolled: 1-line block ×8, first 2 shown]
	s_waitcnt lgkmcnt(6)
	;;#ASMSTART
	v_dot2_f32_f16 v86, v9, v13, v86
	;;#ASMEND
	;;#ASMSTART
	v_dot2_f32_f16 v86, v10, v14, v86
	;;#ASMEND
	;;#ASMSTART
	v_dot2_f32_f16 v86, v11, v15, v86
	;;#ASMEND
	;;#ASMSTART
	v_dot2_f32_f16 v86, v12, v16, v86
	;;#ASMEND
	s_waitcnt lgkmcnt(5)
	;;#ASMSTART
	v_dot2_f32_f16 v87, v9, v108, v87
	;;#ASMEND
	;;#ASMSTART
	v_dot2_f32_f16 v87, v10, v109, v87
	;;#ASMEND
	;;#ASMSTART
	v_dot2_f32_f16 v87, v11, v110, v87
	;;#ASMEND
	;;#ASMSTART
	v_dot2_f32_f16 v87, v12, v111, v87
	;;#ASMEND
	;; [unrolled: 13-line block ×5, first 2 shown]
	;;#ASMSTART
	v_dot2_f32_f16 v91, v120, v108, v91
	;;#ASMEND
	;;#ASMSTART
	v_dot2_f32_f16 v91, v121, v109, v91
	;;#ASMEND
	;; [unrolled: 3-line block ×12, first 2 shown]
	s_waitcnt lgkmcnt(1)
	;;#ASMSTART
	v_dot2_f32_f16 v94, v124, v13, v94
	;;#ASMEND
	;;#ASMSTART
	v_dot2_f32_f16 v94, v125, v14, v94
	;;#ASMEND
	;; [unrolled: 3-line block ×16, first 2 shown]
	s_waitcnt lgkmcnt(0)
	;;#ASMSTART
	v_dot2_f32_f16 v98, v128, v13, v98
	;;#ASMEND
	;;#ASMSTART
	v_dot2_f32_f16 v98, v129, v14, v98
	;;#ASMEND
	;; [unrolled: 3-line block ×16, first 2 shown]
	ds_read_b128 v[9:12], v68 offset:112
	ds_read_b128 v[13:16], v52 offset:240
	;; [unrolled: 1-line block ×8, first 2 shown]
	s_waitcnt lgkmcnt(6)
	;;#ASMSTART
	v_dot2_f32_f16 v86, v9, v13, v86
	;;#ASMEND
	;;#ASMSTART
	v_dot2_f32_f16 v86, v10, v14, v86
	;;#ASMEND
	;;#ASMSTART
	v_dot2_f32_f16 v86, v11, v15, v86
	;;#ASMEND
	;;#ASMSTART
	v_dot2_f32_f16 v86, v12, v16, v86
	;;#ASMEND
	s_waitcnt lgkmcnt(5)
	;;#ASMSTART
	v_dot2_f32_f16 v87, v9, v108, v87
	;;#ASMEND
	;;#ASMSTART
	v_dot2_f32_f16 v87, v10, v109, v87
	;;#ASMEND
	;;#ASMSTART
	v_dot2_f32_f16 v87, v11, v110, v87
	;;#ASMEND
	;;#ASMSTART
	v_dot2_f32_f16 v87, v12, v111, v87
	;;#ASMEND
	;; [unrolled: 13-line block ×5, first 2 shown]
	;;#ASMSTART
	v_dot2_f32_f16 v91, v120, v108, v91
	;;#ASMEND
	;;#ASMSTART
	v_dot2_f32_f16 v91, v121, v109, v91
	;;#ASMEND
	;; [unrolled: 3-line block ×12, first 2 shown]
	s_waitcnt lgkmcnt(1)
	;;#ASMSTART
	v_dot2_f32_f16 v94, v124, v13, v94
	;;#ASMEND
	;;#ASMSTART
	v_dot2_f32_f16 v94, v125, v14, v94
	;;#ASMEND
	;; [unrolled: 3-line block ×16, first 2 shown]
	s_waitcnt lgkmcnt(0)
	;;#ASMSTART
	v_dot2_f32_f16 v98, v128, v13, v98
	;;#ASMEND
	;;#ASMSTART
	v_dot2_f32_f16 v98, v129, v14, v98
	;;#ASMEND
	;; [unrolled: 3-line block ×16, first 2 shown]
	s_clause 0x3
	global_load_ushort v108, v[7:8], off
	global_load_ushort v109, v[7:8], off offset:64
	global_load_ushort v110, v[7:8], off offset:128
	;; [unrolled: 1-line block ×3, first 2 shown]
	s_waitcnt vmcnt(0)
	s_barrier
	buffer_gl0_inv
	s_clause 0x3
	global_load_dwordx4 v[5:8], v[5:6], off
	global_load_dwordx4 v[9:12], v[1:2], off
	global_load_dwordx4 v[13:16], v[3:4], off
	global_load_dwordx4 v[17:20], v[17:18], off
	s_lshl_b64 s[6:7], s[6:7], 2
	s_add_u32 s47, s41, s6
	s_addc_u32 s46, s43, s7
	v_add_co_u32 v102, vcc_lo, s47, v42
	v_cvt_f32_f16_e32 v1, v108
	v_cvt_f32_f16_e32 v2, v109
	;; [unrolled: 1-line block ×4, first 2 shown]
	v_add_f32_e32 v86, v86, v1
	v_add_f32_e32 v90, v90, v2
	;; [unrolled: 1-line block ×32, first 2 shown]
	v_max3_f32 v1, v85, v1, v2
	v_max3_f32 v2, v31, v108, v109
	;; [unrolled: 1-line block ×8, first 2 shown]
	ds_bpermute_b32 v108, v107, v1
	ds_bpermute_b32 v109, v107, v2
	ds_bpermute_b32 v110, v107, v3
	ds_bpermute_b32 v107, v107, v4
	s_waitcnt lgkmcnt(3)
	v_max_f32_e32 v108, v108, v108
	s_waitcnt lgkmcnt(2)
	v_max_f32_e32 v109, v109, v109
	s_waitcnt lgkmcnt(1)
	v_max_f32_e32 v110, v110, v110
	s_waitcnt lgkmcnt(0)
	v_max_f32_e32 v107, v107, v107
	v_max_f32_e32 v1, v1, v108
	v_max_f32_e32 v2, v2, v109
	v_max_f32_e32 v3, v3, v110
	v_max_f32_e32 v4, v4, v107
	ds_bpermute_b32 v107, v106, v1
	ds_bpermute_b32 v108, v106, v2
	ds_bpermute_b32 v109, v106, v3
	ds_bpermute_b32 v106, v106, v4
	s_waitcnt lgkmcnt(3)
	v_max_f32_e32 v107, v107, v107
	s_waitcnt lgkmcnt(2)
	v_max_f32_e32 v108, v108, v108
	s_waitcnt lgkmcnt(1)
	v_max_f32_e32 v109, v109, v109
	s_waitcnt lgkmcnt(0)
	v_max_f32_e32 v106, v106, v106
	v_max_f32_e32 v1, v1, v107
	v_max_f32_e32 v2, v2, v108
	v_max_f32_e32 v3, v3, v109
	v_max_f32_e32 v4, v4, v106
	;; [unrolled: 16-line block ×5, first 2 shown]
	v_sub_f32_e32 v85, v85, v1
	v_sub_f32_e32 v86, v86, v1
	;; [unrolled: 1-line block ×20, first 2 shown]
	v_mul_f32_e32 v103, 0x3fb8aa3b, v86
	v_mul_f32_e32 v104, 0x3fb8aa3b, v90
	;; [unrolled: 1-line block ×20, first 2 shown]
	v_fma_f32 v123, 0x3fb8aa3b, v86, -v103
	v_rndne_f32_e32 v124, v103
	v_fma_f32 v125, 0x3fb8aa3b, v90, -v104
	v_rndne_f32_e32 v126, v104
	;; [unrolled: 2-line block ×20, first 2 shown]
	v_fmac_f32_e32 v123, 0x32a5705f, v86
	v_fmac_f32_e32 v125, 0x32a5705f, v90
	;; [unrolled: 1-line block ×10, first 2 shown]
	v_sub_f32_e32 v103, v103, v124
	v_sub_f32_e32 v104, v104, v126
	;; [unrolled: 1-line block ×10, first 2 shown]
	v_fmac_f32_e32 v151, 0x32a5705f, v30
	v_sub_f32_e32 v117, v117, v152
	v_fmac_f32_e32 v153, 0x32a5705f, v89
	v_sub_f32_e32 v118, v118, v154
	;; [unrolled: 2-line block ×3, first 2 shown]
	v_fmac_f32_e32 v137, 0x32a5705f, v95
	v_fmac_f32_e32 v139, 0x32a5705f, v99
	;; [unrolled: 1-line block ×4, first 2 shown]
	v_sub_f32_e32 v110, v110, v138
	v_sub_f32_e32 v111, v111, v140
	;; [unrolled: 1-line block ×4, first 2 shown]
	v_fmac_f32_e32 v157, 0x32a5705f, v97
	v_sub_f32_e32 v120, v120, v158
	v_fmac_f32_e32 v159, 0x32a5705f, v101
	v_sub_f32_e32 v121, v121, v160
	;; [unrolled: 2-line block ×3, first 2 shown]
	v_add_f32_e32 v103, v103, v123
	v_add_f32_e32 v104, v104, v125
	;; [unrolled: 1-line block ×20, first 2 shown]
	v_exp_f32_e32 v103, v103
	v_exp_f32_e32 v104, v104
	;; [unrolled: 1-line block ×19, first 2 shown]
	v_cvt_i32_f32_e32 v124, v124
	v_cvt_i32_f32_e32 v126, v126
	;; [unrolled: 1-line block ×13, first 2 shown]
	v_exp_f32_e32 v122, v122
	v_cvt_i32_f32_e32 v138, v138
	v_cvt_i32_f32_e32 v140, v140
	;; [unrolled: 1-line block ×7, first 2 shown]
	v_ldexp_f32 v105, v105, v128
	v_cmp_ngt_f32_e64 s0, 0xc2ce8ed0, v94
	v_ldexp_f32 v106, v106, v130
	v_cmp_ngt_f32_e64 s1, 0xc2ce8ed0, v98
	;; [unrolled: 2-line block ×11, first 2 shown]
	v_ldexp_f32 v104, v104, v126
	v_ldexp_f32 v103, v103, v124
	v_cmp_ngt_f32_e64 s20, 0xc2ce8ed0, v86
	v_cmp_ngt_f32_e64 s21, 0xc2ce8ed0, v90
	v_ldexp_f32 v110, v110, v138
	v_cmp_ngt_f32_e64 s7, 0xc2ce8ed0, v95
	v_ldexp_f32 v111, v111, v140
	;; [unrolled: 2-line block ×7, first 2 shown]
	v_cmp_ngt_f32_e64 s19, 0xc2ce8ed0, v29
	v_cndmask_b32_e64 v104, 0, v104, s21
	v_cmp_nlt_f32_e64 s21, 0x42b17218, v90
	v_cndmask_b32_e64 v90, 0, v105, s0
	v_cmp_nlt_f32_e64 s0, 0x42b17218, v94
	;; [unrolled: 2-line block ×20, first 2 shown]
	v_cndmask_b32_e64 v92, 0x7f800000, v92, s20
	v_cndmask_b32_e64 v99, 0x7f800000, v104, s21
	;; [unrolled: 1-line block ×20, first 2 shown]
	v_cvt_f16_f32_e32 v29, v92
	v_cvt_f16_f32_e32 v31, v99
	;; [unrolled: 1-line block ×20, first 2 shown]
	v_pack_b32_f16 v30, v30, v115
	v_pack_b32_f16 v29, v29, v106
	v_pack_b32_f16 v107, v107, v117
	v_pack_b32_f16 v106, v31, v109
	v_pack_b32_f16 v109, v114, v118
	v_pack_b32_f16 v108, v108, v111
	v_pack_b32_f16 v111, v116, v119
	v_pack_b32_f16 v110, v110, v113
	v_mul_u32_u24_sdwa v31, v112, v77 dst_sel:DWORD dst_unused:UNUSED_PAD src0_sel:WORD_0 src1_sel:DWORD
	v_mul_u32_u24_sdwa v141, v120, v77 dst_sel:DWORD dst_unused:UNUSED_PAD src0_sel:WORD_0 src1_sel:DWORD
	;; [unrolled: 1-line block ×4, first 2 shown]
	ds_write2_b64 v75, v[29:30], v[106:107] offset1:32
	ds_write2_b64 v75, v[108:109], v[110:111] offset0:64 offset1:96
	s_waitcnt vmcnt(3)
	ds_write_b128 v69, v[5:8]
	s_waitcnt vmcnt(2)
	ds_write_b128 v71, v[9:12]
	;; [unrolled: 2-line block ×4, first 2 shown]
	s_waitcnt lgkmcnt(0)
	s_barrier
	buffer_gl0_inv
	ds_read_b128 v[5:8], v70
	ds_read_b128 v[9:12], v70 offset:16
	ds_read_b128 v[13:16], v70 offset:32
	;; [unrolled: 1-line block ×11, first 2 shown]
	v_add_f32_e32 v92, v92, v99
	v_add_f32_e32 v86, v86, v89
	v_mov_b32_e32 v99, v63
	v_add_f32_e32 v87, v87, v97
	v_add_f32_e32 v92, v100, v92
	;; [unrolled: 1-line block ×3, first 2 shown]
	s_waitcnt lgkmcnt(11)
	v_mul_u32_u24_sdwa v144, v5, v77 dst_sel:DWORD dst_unused:UNUSED_PAD src0_sel:WORD_0 src1_sel:DWORD
	v_mul_u32_u24_sdwa v145, v5, v77 dst_sel:DWORD dst_unused:UNUSED_PAD src0_sel:WORD_1 src1_sel:DWORD
	v_mul_u32_u24_sdwa v146, v6, v77 dst_sel:DWORD dst_unused:UNUSED_PAD src0_sel:WORD_0 src1_sel:DWORD
	v_mul_u32_u24_sdwa v147, v6, v77 dst_sel:DWORD dst_unused:UNUSED_PAD src0_sel:WORD_1 src1_sel:DWORD
	;; [unrolled: 2-line block ×4, first 2 shown]
	ds_read2_b64 v[5:8], v51 offset1:32
	s_waitcnt lgkmcnt(11)
	v_mul_u32_u24_sdwa v152, v9, v77 dst_sel:DWORD dst_unused:UNUSED_PAD src0_sel:WORD_0 src1_sel:DWORD
	v_mul_u32_u24_sdwa v153, v9, v77 dst_sel:DWORD dst_unused:UNUSED_PAD src0_sel:WORD_1 src1_sel:DWORD
	v_mul_u32_u24_sdwa v154, v10, v77 dst_sel:DWORD dst_unused:UNUSED_PAD src0_sel:WORD_0 src1_sel:DWORD
	v_mul_u32_u24_sdwa v155, v10, v77 dst_sel:DWORD dst_unused:UNUSED_PAD src0_sel:WORD_1 src1_sel:DWORD
	;; [unrolled: 2-line block ×4, first 2 shown]
	v_pk_mul_f16 v9, v28, v31
	v_pk_mul_f16 v10, v22, v141
	;; [unrolled: 1-line block ×3, first 2 shown]
	s_waitcnt lgkmcnt(10)
	v_mul_u32_u24_sdwa v164, v13, v77 dst_sel:DWORD dst_unused:UNUSED_PAD src0_sel:WORD_0 src1_sel:DWORD
	v_mul_u32_u24_sdwa v166, v13, v77 dst_sel:DWORD dst_unused:UNUSED_PAD src0_sel:WORD_1 src1_sel:DWORD
	v_pk_mul_f16 v13, v25, v142
	v_mul_u32_u24_sdwa v167, v14, v77 dst_sel:DWORD dst_unused:UNUSED_PAD src0_sel:WORD_0 src1_sel:DWORD
	v_mul_u32_u24_sdwa v168, v14, v77 dst_sel:DWORD dst_unused:UNUSED_PAD src0_sel:WORD_1 src1_sel:DWORD
	v_pk_mul_f16 v14, v23, v143
	v_mul_u32_u24_sdwa v169, v15, v77 dst_sel:DWORD dst_unused:UNUSED_PAD src0_sel:WORD_0 src1_sel:DWORD
	v_mul_u32_u24_sdwa v170, v15, v77 dst_sel:DWORD dst_unused:UNUSED_PAD src0_sel:WORD_1 src1_sel:DWORD
	s_waitcnt lgkmcnt(0)
	v_pk_mul_f16 v12, v5, v144
	v_pk_fma_f16 v21, v6, v144, v9
	v_pk_fma_f16 v22, v5, v147, v10
	;; [unrolled: 1-line block ×5, first 2 shown]
	ds_read_b128 v[9:12], v70 offset:192
	v_pk_mul_f16 v13, v5, v145
	v_pk_mul_f16 v5, v5, v146
	v_pk_fma_f16 v6, v6, v146, v14
	v_mul_u32_u24_sdwa v172, v16, v77 dst_sel:DWORD dst_unused:UNUSED_PAD src0_sel:WORD_0 src1_sel:DWORD
	v_mul_u32_u24_sdwa v171, v16, v77 dst_sel:DWORD dst_unused:UNUSED_PAD src0_sel:WORD_1 src1_sel:DWORD
	v_pk_fma_f16 v25, v26, v142, v13
	v_pk_fma_f16 v5, v24, v143, v5
	ds_read_b128 v[13:16], v70 offset:208
	v_pk_fma_f16 v22, v7, v151, v22
	v_pk_fma_f16 v24, v8, v151, v28
	;; [unrolled: 1-line block ×5, first 2 shown]
	v_mul_u32_u24_sdwa v184, v108, v77 dst_sel:DWORD dst_unused:UNUSED_PAD src0_sel:WORD_0 src1_sel:DWORD
	v_mul_u32_u24_sdwa v185, v108, v77 dst_sel:DWORD dst_unused:UNUSED_PAD src0_sel:WORD_1 src1_sel:DWORD
	v_mul_u32_u24_sdwa v201, v120, v77 dst_sel:DWORD dst_unused:UNUSED_PAD src0_sel:WORD_0 src1_sel:DWORD
	v_mul_u32_u24_sdwa v202, v120, v77 dst_sel:DWORD dst_unused:UNUSED_PAD src0_sel:WORD_1 src1_sel:DWORD
	;; [unrolled: 2-line block ×3, first 2 shown]
	s_waitcnt lgkmcnt(1)
	v_mul_u32_u24_sdwa v157, v9, v77 dst_sel:DWORD dst_unused:UNUSED_PAD src0_sel:WORD_0 src1_sel:DWORD
	v_mul_u32_u24_sdwa v158, v9, v77 dst_sel:DWORD dst_unused:UNUSED_PAD src0_sel:WORD_1 src1_sel:DWORD
	v_pk_fma_f16 v9, v8, v149, v23
	v_pk_fma_f16 v23, v7, v149, v25
	;; [unrolled: 1-line block ×3, first 2 shown]
	ds_read2_b64 v[5:8], v51 offset0:64 offset1:96
	v_mul_u32_u24_sdwa v215, v127, v77 dst_sel:DWORD dst_unused:UNUSED_PAD src0_sel:WORD_0 src1_sel:DWORD
	v_mul_u32_u24_sdwa v216, v127, v77 dst_sel:DWORD dst_unused:UNUSED_PAD src0_sel:WORD_1 src1_sel:DWORD
	v_mul_u32_u24_sdwa v125, v136, v77 dst_sel:DWORD dst_unused:UNUSED_PAD src0_sel:WORD_0 src1_sel:DWORD
	v_mul_u32_u24_sdwa v127, v136, v77 dst_sel:DWORD dst_unused:UNUSED_PAD src0_sel:WORD_1 src1_sel:DWORD
	;; [unrolled: 2-line block ×8, first 2 shown]
	s_waitcnt lgkmcnt(1)
	v_mul_u32_u24_sdwa v137, v13, v77 dst_sel:DWORD dst_unused:UNUSED_PAD src0_sel:WORD_0 src1_sel:DWORD
	v_mul_u32_u24_sdwa v145, v13, v77 dst_sel:DWORD dst_unused:UNUSED_PAD src0_sel:WORD_1 src1_sel:DWORD
	v_mul_u32_u24_sdwa v193, v116, v77 dst_sel:DWORD dst_unused:UNUSED_PAD src0_sel:WORD_0 src1_sel:DWORD
	s_waitcnt lgkmcnt(0)
	v_pk_fma_f16 v22, v5, v155, v22
	v_pk_fma_f16 v21, v6, v152, v21
	;; [unrolled: 1-line block ×8, first 2 shown]
	ds_read2_b64 v[9:12], v51 offset0:128 offset1:160
	v_pk_fma_f16 v22, v7, v163, v22
	v_pk_fma_f16 v26, v8, v163, v6
	;; [unrolled: 1-line block ×8, first 2 shown]
	ds_read_b128 v[5:8], v70 offset:224
	v_mul_u32_u24_sdwa v194, v116, v77 dst_sel:DWORD dst_unused:UNUSED_PAD src0_sel:WORD_1 src1_sel:DWORD
	v_mul_u32_u24_sdwa v203, v121, v77 dst_sel:DWORD dst_unused:UNUSED_PAD src0_sel:WORD_0 src1_sel:DWORD
	v_mul_u32_u24_sdwa v204, v121, v77 dst_sel:DWORD dst_unused:UNUSED_PAD src0_sel:WORD_1 src1_sel:DWORD
	v_mul_u32_u24_sdwa v205, v122, v77 dst_sel:DWORD dst_unused:UNUSED_PAD src0_sel:WORD_0 src1_sel:DWORD
	;; [unrolled: 2-line block ×5, first 2 shown]
	s_waitcnt lgkmcnt(1)
	v_pk_fma_f16 v22, v9, v168, v22
	v_pk_fma_f16 v21, v10, v164, v21
	;; [unrolled: 1-line block ×5, first 2 shown]
	v_mul_u32_u24_sdwa v165, v14, v77 dst_sel:DWORD dst_unused:UNUSED_PAD src0_sel:WORD_1 src1_sel:DWORD
	v_mul_u32_u24_sdwa v149, v15, v77 dst_sel:DWORD dst_unused:UNUSED_PAD src0_sel:WORD_0 src1_sel:DWORD
	v_mul_u32_u24_sdwa v142, v15, v77 dst_sel:DWORD dst_unused:UNUSED_PAD src0_sel:WORD_1 src1_sel:DWORD
	v_mul_u32_u24_sdwa v121, v16, v77 dst_sel:DWORD dst_unused:UNUSED_PAD src0_sel:WORD_0 src1_sel:DWORD
	v_mul_u32_u24_sdwa v161, v16, v77 dst_sel:DWORD dst_unused:UNUSED_PAD src0_sel:WORD_1 src1_sel:DWORD
	ds_read_b128 v[13:16], v70 offset:240
	v_pk_fma_f16 v22, v11, v171, v22
	v_pk_fma_f16 v10, v12, v171, v10
	s_waitcnt lgkmcnt(1)
	v_mul_u32_u24_sdwa v171, v5, v77 dst_sel:DWORD dst_unused:UNUSED_PAD src0_sel:WORD_0 src1_sel:DWORD
	v_mul_u32_u24_sdwa v174, v5, v77 dst_sel:DWORD dst_unused:UNUSED_PAD src0_sel:WORD_1 src1_sel:DWORD
	v_mul_u32_u24_sdwa v177, v6, v77 dst_sel:DWORD dst_unused:UNUSED_PAD src0_sel:WORD_0 src1_sel:DWORD
	v_mul_u32_u24_sdwa v179, v6, v77 dst_sel:DWORD dst_unused:UNUSED_PAD src0_sel:WORD_1 src1_sel:DWORD
	;; [unrolled: 2-line block ×4, first 2 shown]
	ds_read2_b64 v[5:8], v51 offset0:192 offset1:224
	v_pk_fma_f16 v24, v9, v164, v24
	v_pk_fma_f16 v23, v9, v166, v23
	;; [unrolled: 1-line block ×3, first 2 shown]
	v_mul_u32_u24_sdwa v173, v17, v77 dst_sel:DWORD dst_unused:UNUSED_PAD src0_sel:WORD_0 src1_sel:DWORD
	v_mul_u32_u24_sdwa v17, v17, v77 dst_sel:DWORD dst_unused:UNUSED_PAD src0_sel:WORD_1 src1_sel:DWORD
	v_mul_u32_u24_sdwa v175, v18, v77 dst_sel:DWORD dst_unused:UNUSED_PAD src0_sel:WORD_0 src1_sel:DWORD
	v_mul_u32_u24_sdwa v18, v18, v77 dst_sel:DWORD dst_unused:UNUSED_PAD src0_sel:WORD_1 src1_sel:DWORD
	v_pk_fma_f16 v21, v12, v169, v21
	v_pk_fma_f16 v24, v11, v169, v24
	;; [unrolled: 1-line block ×6, first 2 shown]
	v_mul_u32_u24_sdwa v176, v19, v77 dst_sel:DWORD dst_unused:UNUSED_PAD src0_sel:WORD_0 src1_sel:DWORD
	v_mul_u32_u24_sdwa v19, v19, v77 dst_sel:DWORD dst_unused:UNUSED_PAD src0_sel:WORD_1 src1_sel:DWORD
	v_mul_u32_u24_sdwa v178, v20, v77 dst_sel:DWORD dst_unused:UNUSED_PAD src0_sel:WORD_0 src1_sel:DWORD
	v_mul_u32_u24_sdwa v20, v20, v77 dst_sel:DWORD dst_unused:UNUSED_PAD src0_sel:WORD_1 src1_sel:DWORD
	;; [unrolled: 2-line block ×3, first 2 shown]
	s_waitcnt lgkmcnt(0)
	v_pk_fma_f16 v22, v5, v18, v22
	v_pk_fma_f16 v21, v6, v173, v21
	;; [unrolled: 1-line block ×8, first 2 shown]
	v_mul_u32_u24_sdwa v199, v119, v77 dst_sel:DWORD dst_unused:UNUSED_PAD src0_sel:WORD_0 src1_sel:DWORD
	v_mul_u32_u24_sdwa v200, v119, v77 dst_sel:DWORD dst_unused:UNUSED_PAD src0_sel:WORD_1 src1_sel:DWORD
	v_mul_u32_u24_sdwa v119, v139, v77 dst_sel:DWORD dst_unused:UNUSED_PAD src0_sel:WORD_0 src1_sel:DWORD
	v_mul_u32_u24_sdwa v107, v139, v77 dst_sel:DWORD dst_unused:UNUSED_PAD src0_sel:WORD_1 src1_sel:DWORD
	ds_read2_b64 v[9:12], v78 offset1:32
	v_pk_fma_f16 v22, v7, v20, v22
	v_pk_fma_f16 v20, v8, v20, v6
	v_mul_u32_u24_sdwa v139, v13, v77 dst_sel:DWORD dst_unused:UNUSED_PAD src0_sel:WORD_0 src1_sel:DWORD
	v_pk_fma_f16 v21, v8, v176, v21
	v_pk_fma_f16 v18, v7, v176, v18
	v_mul_u32_u24_sdwa v146, v13, v77 dst_sel:DWORD dst_unused:UNUSED_PAD src0_sel:WORD_1 src1_sel:DWORD
	v_pk_fma_f16 v13, v8, v19, v25
	v_pk_fma_f16 v17, v7, v19, v17
	;; [unrolled: 1-line block ×4, first 2 shown]
	ds_read_b128 v[5:8], v70 offset:256
	v_mul_u32_u24_sdwa v180, v106, v77 dst_sel:DWORD dst_unused:UNUSED_PAD src0_sel:WORD_0 src1_sel:DWORD
	v_mul_u32_u24_sdwa v181, v106, v77 dst_sel:DWORD dst_unused:UNUSED_PAD src0_sel:WORD_1 src1_sel:DWORD
	v_mul_u32_u24_sdwa v195, v117, v77 dst_sel:DWORD dst_unused:UNUSED_PAD src0_sel:WORD_0 src1_sel:DWORD
	v_mul_u32_u24_sdwa v196, v117, v77 dst_sel:DWORD dst_unused:UNUSED_PAD src0_sel:WORD_1 src1_sel:DWORD
	v_mul_u32_u24_sdwa v207, v123, v77 dst_sel:DWORD dst_unused:UNUSED_PAD src0_sel:WORD_0 src1_sel:DWORD
	v_mul_u32_u24_sdwa v208, v123, v77 dst_sel:DWORD dst_unused:UNUSED_PAD src0_sel:WORD_1 src1_sel:DWORD
	v_mul_u32_u24_sdwa v209, v124, v77 dst_sel:DWORD dst_unused:UNUSED_PAD src0_sel:WORD_0 src1_sel:DWORD
	v_mul_u32_u24_sdwa v210, v124, v77 dst_sel:DWORD dst_unused:UNUSED_PAD src0_sel:WORD_1 src1_sel:DWORD
	v_mul_u32_u24_sdwa v219, v129, v77 dst_sel:DWORD dst_unused:UNUSED_PAD src0_sel:WORD_0 src1_sel:DWORD
	v_mul_u32_u24_sdwa v220, v129, v77 dst_sel:DWORD dst_unused:UNUSED_PAD src0_sel:WORD_1 src1_sel:DWORD
	v_mul_u32_u24_sdwa v106, v140, v77 dst_sel:DWORD dst_unused:UNUSED_PAD src0_sel:WORD_0 src1_sel:DWORD
	v_mul_u32_u24_sdwa v129, v140, v77 dst_sel:DWORD dst_unused:UNUSED_PAD src0_sel:WORD_1 src1_sel:DWORD
	v_mul_u32_u24_sdwa v155, v14, v77 dst_sel:DWORD dst_unused:UNUSED_PAD src0_sel:WORD_0 src1_sel:DWORD
	v_mul_u32_u24_sdwa v166, v14, v77 dst_sel:DWORD dst_unused:UNUSED_PAD src0_sel:WORD_1 src1_sel:DWORD
	v_mul_u32_u24_sdwa v151, v15, v77 dst_sel:DWORD dst_unused:UNUSED_PAD src0_sel:WORD_0 src1_sel:DWORD
	v_mul_u32_u24_sdwa v143, v15, v77 dst_sel:DWORD dst_unused:UNUSED_PAD src0_sel:WORD_1 src1_sel:DWORD
	v_mul_u32_u24_sdwa v123, v16, v77 dst_sel:DWORD dst_unused:UNUSED_PAD src0_sel:WORD_0 src1_sel:DWORD
	v_mul_u32_u24_sdwa v162, v16, v77 dst_sel:DWORD dst_unused:UNUSED_PAD src0_sel:WORD_1 src1_sel:DWORD
	s_waitcnt lgkmcnt(1)
	v_pk_fma_f16 v21, v10, v180, v21
	v_pk_fma_f16 v24, v10, v181, v13
	;; [unrolled: 1-line block ×3, first 2 shown]
	ds_read_b128 v[13:16], v70 offset:272
	s_waitcnt lgkmcnt(1)
	v_mul_u32_u24_sdwa v172, v5, v77 dst_sel:DWORD dst_unused:UNUSED_PAD src0_sel:WORD_0 src1_sel:DWORD
	v_mul_u32_u24_sdwa v175, v5, v77 dst_sel:DWORD dst_unused:UNUSED_PAD src0_sel:WORD_1 src1_sel:DWORD
	v_mul_u32_u24_sdwa v178, v6, v77 dst_sel:DWORD dst_unused:UNUSED_PAD src0_sel:WORD_0 src1_sel:DWORD
	v_mul_u32_u24_sdwa v180, v6, v77 dst_sel:DWORD dst_unused:UNUSED_PAD src0_sel:WORD_1 src1_sel:DWORD
	;; [unrolled: 2-line block ×4, first 2 shown]
	ds_read2_b64 v[5:8], v78 offset0:64 offset1:96
	v_mul_u32_u24_sdwa v186, v109, v77 dst_sel:DWORD dst_unused:UNUSED_PAD src0_sel:WORD_0 src1_sel:DWORD
	v_mul_u32_u24_sdwa v109, v109, v77 dst_sel:DWORD dst_unused:UNUSED_PAD src0_sel:WORD_1 src1_sel:DWORD
	v_pk_fma_f16 v22, v9, v183, v22
	v_pk_fma_f16 v19, v10, v182, v19
	;; [unrolled: 1-line block ×5, first 2 shown]
	v_mul_u32_u24_sdwa v187, v110, v77 dst_sel:DWORD dst_unused:UNUSED_PAD src0_sel:WORD_0 src1_sel:DWORD
	v_mul_u32_u24_sdwa v110, v110, v77 dst_sel:DWORD dst_unused:UNUSED_PAD src0_sel:WORD_1 src1_sel:DWORD
	v_mul_u32_u24_sdwa v188, v111, v77 dst_sel:DWORD dst_unused:UNUSED_PAD src0_sel:WORD_0 src1_sel:DWORD
	v_mul_u32_u24_sdwa v111, v111, v77 dst_sel:DWORD dst_unused:UNUSED_PAD src0_sel:WORD_1 src1_sel:DWORD
	v_pk_fma_f16 v20, v11, v109, v22
	v_pk_fma_f16 v10, v12, v109, v10
	;; [unrolled: 1-line block ×8, first 2 shown]
	v_mul_u32_u24_sdwa v189, v112, v77 dst_sel:DWORD dst_unused:UNUSED_PAD src0_sel:WORD_0 src1_sel:DWORD
	v_mul_u32_u24_sdwa v112, v112, v77 dst_sel:DWORD dst_unused:UNUSED_PAD src0_sel:WORD_1 src1_sel:DWORD
	v_mul_u32_u24_sdwa v190, v113, v77 dst_sel:DWORD dst_unused:UNUSED_PAD src0_sel:WORD_0 src1_sel:DWORD
	v_mul_u32_u24_sdwa v113, v113, v77 dst_sel:DWORD dst_unused:UNUSED_PAD src0_sel:WORD_1 src1_sel:DWORD
	s_waitcnt lgkmcnt(0)
	v_pk_fma_f16 v19, v5, v111, v20
	v_pk_fma_f16 v20, v6, v187, v21
	v_pk_fma_f16 v21, v6, v110, v22
	v_pk_fma_f16 v22, v6, v188, v12
	v_pk_fma_f16 v6, v6, v111, v10
	v_pk_fma_f16 v18, v5, v187, v18
	v_pk_fma_f16 v17, v5, v110, v17
	v_pk_fma_f16 v5, v5, v188, v9
	ds_read2_b64 v[9:12], v78 offset0:128 offset1:160
	v_pk_fma_f16 v19, v7, v113, v19
	v_pk_fma_f16 v23, v8, v113, v6
	v_mul_u32_u24_sdwa v141, v13, v77 dst_sel:DWORD dst_unused:UNUSED_PAD src0_sel:WORD_0 src1_sel:DWORD
	v_pk_fma_f16 v20, v8, v189, v20
	v_pk_fma_f16 v18, v7, v189, v18
	v_mul_u32_u24_sdwa v147, v13, v77 dst_sel:DWORD dst_unused:UNUSED_PAD src0_sel:WORD_1 src1_sel:DWORD
	v_pk_fma_f16 v13, v8, v112, v21
	v_pk_fma_f16 v17, v7, v112, v17
	v_pk_fma_f16 v21, v8, v190, v22
	v_pk_fma_f16 v22, v7, v190, v5
	ds_read_b128 v[5:8], v70 offset:288
	v_mul_u32_u24_sdwa v191, v114, v77 dst_sel:DWORD dst_unused:UNUSED_PAD src0_sel:WORD_0 src1_sel:DWORD
	v_mul_u32_u24_sdwa v114, v114, v77 dst_sel:DWORD dst_unused:UNUSED_PAD src0_sel:WORD_1 src1_sel:DWORD
	v_mul_u32_u24_sdwa v192, v115, v77 dst_sel:DWORD dst_unused:UNUSED_PAD src0_sel:WORD_0 src1_sel:DWORD
	v_mul_u32_u24_sdwa v115, v115, v77 dst_sel:DWORD dst_unused:UNUSED_PAD src0_sel:WORD_1 src1_sel:DWORD
	;; [unrolled: 2-line block ×6, first 2 shown]
	s_waitcnt lgkmcnt(1)
	v_pk_fma_f16 v20, v10, v191, v20
	v_pk_fma_f16 v24, v10, v114, v13
	;; [unrolled: 1-line block ×4, first 2 shown]
	ds_read_b128 v[13:16], v70 offset:304
	v_pk_fma_f16 v19, v9, v115, v19
	v_pk_fma_f16 v18, v9, v191, v18
	s_waitcnt lgkmcnt(1)
	v_mul_u32_u24_sdwa v164, v5, v77 dst_sel:DWORD dst_unused:UNUSED_PAD src0_sel:WORD_0 src1_sel:DWORD
	v_mul_u32_u24_sdwa v168, v5, v77 dst_sel:DWORD dst_unused:UNUSED_PAD src0_sel:WORD_1 src1_sel:DWORD
	v_mul_u32_u24_sdwa v170, v6, v77 dst_sel:DWORD dst_unused:UNUSED_PAD src0_sel:WORD_0 src1_sel:DWORD
	v_mul_u32_u24_sdwa v176, v6, v77 dst_sel:DWORD dst_unused:UNUSED_PAD src0_sel:WORD_1 src1_sel:DWORD
	;; [unrolled: 2-line block ×4, first 2 shown]
	ds_read2_b64 v[5:8], v78 offset0:192 offset1:224
	v_pk_fma_f16 v17, v9, v114, v17
	v_pk_fma_f16 v9, v9, v192, v22
	;; [unrolled: 1-line block ×10, first 2 shown]
	s_waitcnt lgkmcnt(1)
	v_mul_u32_u24_sdwa v109, v13, v77 dst_sel:DWORD dst_unused:UNUSED_PAD src0_sel:WORD_0 src1_sel:DWORD
	v_mul_u32_u24_sdwa v110, v13, v77 dst_sel:DWORD dst_unused:UNUSED_PAD src0_sel:WORD_1 src1_sel:DWORD
	v_mul_u32_u24_sdwa v111, v14, v77 dst_sel:DWORD dst_unused:UNUSED_PAD src0_sel:WORD_0 src1_sel:DWORD
	v_mul_u32_u24_sdwa v115, v14, v77 dst_sel:DWORD dst_unused:UNUSED_PAD src0_sel:WORD_1 src1_sel:DWORD
	v_mul_u32_u24_sdwa v114, v16, v77 dst_sel:DWORD dst_unused:UNUSED_PAD src0_sel:WORD_1 src1_sel:DWORD
	ds_read_b128 v[181:184], v70 offset:320
	ds_read_b128 v[185:188], v70 offset:336
	v_mul_u32_u24_sdwa v112, v15, v77 dst_sel:DWORD dst_unused:UNUSED_PAD src0_sel:WORD_0 src1_sel:DWORD
	v_mul_u32_u24_sdwa v131, v133, v77 dst_sel:DWORD dst_unused:UNUSED_PAD src0_sel:WORD_0 src1_sel:DWORD
	s_waitcnt lgkmcnt(2)
	v_pk_fma_f16 v11, v5, v200, v19
	v_pk_fma_f16 v21, v6, v197, v20
	;; [unrolled: 1-line block ×7, first 2 shown]
	ds_read2_b64 v[17:20], v79 offset1:32
	v_pk_fma_f16 v5, v5, v199, v9
	v_pk_fma_f16 v9, v7, v204, v11
	;; [unrolled: 1-line block ×9, first 2 shown]
	v_mul_u32_u24_sdwa v5, v16, v77 dst_sel:DWORD dst_unused:UNUSED_PAD src0_sel:WORD_0 src1_sel:DWORD
	v_mul_u32_u24_sdwa v6, v15, v77 dst_sel:DWORD dst_unused:UNUSED_PAD src0_sel:WORD_1 src1_sel:DWORD
	s_waitcnt lgkmcnt(2)
	v_mul_u32_u24_sdwa v15, v182, v77 dst_sel:DWORD dst_unused:UNUSED_PAD src0_sel:WORD_1 src1_sel:DWORD
	v_mul_u32_u24_sdwa v132, v133, v77 dst_sel:DWORD dst_unused:UNUSED_PAD src0_sel:WORD_1 src1_sel:DWORD
	v_mul_u32_u24_sdwa v133, v134, v77 dst_sel:DWORD dst_unused:UNUSED_PAD src0_sel:WORD_0 src1_sel:DWORD
	v_mul_u32_u24_sdwa v134, v134, v77 dst_sel:DWORD dst_unused:UNUSED_PAD src0_sel:WORD_1 src1_sel:DWORD
	v_add_f32_e32 v63, v93, v92
	v_add_f32_e32 v92, v95, v101
	v_add_f32_e32 v87, v98, v87
	v_add_f32_e32 v86, v91, v86
	s_waitcnt lgkmcnt(0)
	v_pk_fma_f16 v9, v17, v208, v9
	v_pk_fma_f16 v12, v18, v205, v21
	;; [unrolled: 1-line block ×16, first 2 shown]
	ds_read2_b64 v[17:20], v79 offset0:64 offset1:96
	v_mul_u32_u24_sdwa v8, v181, v77 dst_sel:DWORD dst_unused:UNUSED_PAD src0_sel:WORD_0 src1_sel:DWORD
	v_mul_u32_u24_sdwa v9, v181, v77 dst_sel:DWORD dst_unused:UNUSED_PAD src0_sel:WORD_1 src1_sel:DWORD
	v_mul_u32_u24_sdwa v12, v182, v77 dst_sel:DWORD dst_unused:UNUSED_PAD src0_sel:WORD_0 src1_sel:DWORD
	v_mul_u32_u24_sdwa v10, v183, v77 dst_sel:DWORD dst_unused:UNUSED_PAD src0_sel:WORD_0 src1_sel:DWORD
	v_mul_u32_u24_sdwa v11, v183, v77 dst_sel:DWORD dst_unused:UNUSED_PAD src0_sel:WORD_1 src1_sel:DWORD
	v_mul_u32_u24_sdwa v7, v184, v77 dst_sel:DWORD dst_unused:UNUSED_PAD src0_sel:WORD_0 src1_sel:DWORD
	v_mul_u32_u24_sdwa v13, v184, v77 dst_sel:DWORD dst_unused:UNUSED_PAD src0_sel:WORD_1 src1_sel:DWORD
	ds_read2_b64 v[181:184], v79 offset0:128 offset1:160
	v_add_f32_e32 v92, v103, v92
	v_mov_b32_e32 v93, v62
	v_fmac_f32_e32 v63, v99, v94
	v_add_f32_e32 v62, v96, v92
	v_mov_b32_e32 v92, v61
	v_add_f32_e32 v61, v88, v87
	v_mov_b32_e32 v87, v60
	v_mov_b32_e32 v60, v86
	v_fmac_f32_e32 v62, v93, v105
	s_waitcnt lgkmcnt(1)
	v_pk_fma_f16 v16, v17, v216, v16
	v_pk_fma_f16 v22, v18, v213, v22
	;; [unrolled: 1-line block ×10, first 2 shown]
	v_mul_u32_u24_sdwa v14, v185, v77 dst_sel:DWORD dst_unused:UNUSED_PAD src0_sel:WORD_0 src1_sel:DWORD
	v_pk_fma_f16 v28, v20, v217, v22
	v_pk_fma_f16 v173, v19, v217, v18
	v_mul_u32_u24_sdwa v16, v185, v77 dst_sel:DWORD dst_unused:UNUSED_PAD src0_sel:WORD_1 src1_sel:DWORD
	v_pk_fma_f16 v25, v20, v218, v25
	v_pk_fma_f16 v189, v19, v218, v21
	v_mul_u32_u24_sdwa v18, v186, v77 dst_sel:DWORD dst_unused:UNUSED_PAD src0_sel:WORD_0 src1_sel:DWORD
	v_pk_fma_f16 v169, v20, v219, v169
	v_pk_fma_f16 v190, v19, v219, v17
	v_mul_u32_u24_sdwa v22, v186, v77 dst_sel:DWORD dst_unused:UNUSED_PAD src0_sel:WORD_1 src1_sel:DWORD
	v_mul_u32_u24_sdwa v19, v187, v77 dst_sel:DWORD dst_unused:UNUSED_PAD src0_sel:WORD_0 src1_sel:DWORD
	v_mul_u32_u24_sdwa v20, v187, v77 dst_sel:DWORD dst_unused:UNUSED_PAD src0_sel:WORD_1 src1_sel:DWORD
	v_mul_u32_u24_sdwa v17, v188, v77 dst_sel:DWORD dst_unused:UNUSED_PAD src0_sel:WORD_0 src1_sel:DWORD
	v_mul_u32_u24_sdwa v21, v188, v77 dst_sel:DWORD dst_unused:UNUSED_PAD src0_sel:WORD_1 src1_sel:DWORD
	ds_read_b128 v[185:188], v70 offset:352
	s_waitcnt lgkmcnt(1)
	v_pk_fma_f16 v24, v181, v134, v24
	v_pk_fma_f16 v28, v182, v131, v28
	;; [unrolled: 1-line block ×8, first 2 shown]
	ds_read_b128 v[189:192], v70 offset:368
	v_pk_fma_f16 v173, v183, v127, v24
	v_pk_fma_f16 v181, v184, v127, v25
	;; [unrolled: 1-line block ×5, first 2 shown]
	v_fmac_f32_e32 v60, v87, v85
	v_fmac_f32_e32 v61, v92, v104
	s_waitcnt lgkmcnt(1)
	v_mul_u32_u24_sdwa v25, v185, v77 dst_sel:DWORD dst_unused:UNUSED_PAD src0_sel:WORD_0 src1_sel:DWORD
	v_mul_u32_u24_sdwa v29, v185, v77 dst_sel:DWORD dst_unused:UNUSED_PAD src0_sel:WORD_1 src1_sel:DWORD
	v_pk_fma_f16 v185, v184, v30, v193
	v_pk_fma_f16 v193, v183, v30, v131
	;; [unrolled: 1-line block ×3, first 2 shown]
	ds_read2_b64 v[131:134], v79 offset0:192 offset1:224
	v_mul_u32_u24_sdwa v30, v186, v77 dst_sel:DWORD dst_unused:UNUSED_PAD src0_sel:WORD_0 src1_sel:DWORD
	v_mul_u32_u24_sdwa v127, v186, v77 dst_sel:DWORD dst_unused:UNUSED_PAD src0_sel:WORD_1 src1_sel:DWORD
	v_mul_u32_u24_sdwa v27, v187, v77 dst_sel:DWORD dst_unused:UNUSED_PAD src0_sel:WORD_0 src1_sel:DWORD
	v_mul_u32_u24_sdwa v28, v187, v77 dst_sel:DWORD dst_unused:UNUSED_PAD src0_sel:WORD_1 src1_sel:DWORD
	;; [unrolled: 2-line block ×3, first 2 shown]
	s_waitcnt lgkmcnt(0)
	v_pk_fma_f16 v173, v131, v130, v173
	v_pk_fma_f16 v186, v132, v118, v182
	;; [unrolled: 1-line block ×8, first 2 shown]
	ds_read2_b64 v[181:184], v80 offset1:32
	v_pk_fma_f16 v173, v133, v129, v173
	v_pk_fma_f16 v193, v134, v129, v130
	;; [unrolled: 1-line block ×8, first 2 shown]
	ds_read_b128 v[185:188], v70 offset:384
	v_mul_u32_u24_sdwa v126, v189, v77 dst_sel:DWORD dst_unused:UNUSED_PAD src0_sel:WORD_0 src1_sel:DWORD
	v_mul_u32_u24_sdwa v128, v189, v77 dst_sel:DWORD dst_unused:UNUSED_PAD src0_sel:WORD_1 src1_sel:DWORD
	v_mul_u32_u24_sdwa v130, v190, v77 dst_sel:DWORD dst_unused:UNUSED_PAD src0_sel:WORD_0 src1_sel:DWORD
	v_mul_u32_u24_sdwa v134, v190, v77 dst_sel:DWORD dst_unused:UNUSED_PAD src0_sel:WORD_1 src1_sel:DWORD
	;; [unrolled: 2-line block ×4, first 2 shown]
	ds_read_b128 v[189:192], v70 offset:400
	s_waitcnt lgkmcnt(2)
	v_pk_fma_f16 v173, v181, v160, v173
	v_pk_fma_f16 v194, v182, v157, v194
	;; [unrolled: 1-line block ×16, first 2 shown]
	ds_read2_b64 v[181:184], v80 offset0:64 offset1:96
	s_waitcnt lgkmcnt(2)
	v_mul_u32_u24_sdwa v148, v185, v77 dst_sel:DWORD dst_unused:UNUSED_PAD src0_sel:WORD_0 src1_sel:DWORD
	v_mul_u32_u24_sdwa v159, v185, v77 dst_sel:DWORD dst_unused:UNUSED_PAD src0_sel:WORD_1 src1_sel:DWORD
	v_mul_u32_u24_sdwa v160, v186, v77 dst_sel:DWORD dst_unused:UNUSED_PAD src0_sel:WORD_0 src1_sel:DWORD
	v_mul_u32_u24_sdwa v173, v186, v77 dst_sel:DWORD dst_unused:UNUSED_PAD src0_sel:WORD_1 src1_sel:DWORD
	;; [unrolled: 2-line block ×4, first 2 shown]
	ds_read2_b64 v[185:188], v80 offset0:128 offset1:160
	s_waitcnt lgkmcnt(1)
	v_pk_fma_f16 v108, v181, v165, v193
	v_pk_fma_f16 v193, v182, v137, v194
	;; [unrolled: 1-line block ×8, first 2 shown]
	v_mul_u32_u24_sdwa v137, v189, v77 dst_sel:DWORD dst_unused:UNUSED_PAD src0_sel:WORD_0 src1_sel:DWORD
	v_pk_fma_f16 v182, v184, v161, v165
	v_pk_fma_f16 v193, v184, v149, v193
	;; [unrolled: 1-line block ×3, first 2 shown]
	v_mul_u32_u24_sdwa v145, v189, v77 dst_sel:DWORD dst_unused:UNUSED_PAD src0_sel:WORD_1 src1_sel:DWORD
	v_pk_fma_f16 v189, v184, v142, v119
	v_pk_fma_f16 v184, v184, v121, v120
	;; [unrolled: 1-line block ×3, first 2 shown]
	ds_read_b128 v[118:121], v70 offset:416
	v_pk_fma_f16 v107, v183, v142, v107
	v_pk_fma_f16 v108, v183, v161, v108
	v_mul_u32_u24_sdwa v142, v190, v77 dst_sel:DWORD dst_unused:UNUSED_PAD src0_sel:WORD_0 src1_sel:DWORD
	v_mul_u32_u24_sdwa v181, v190, v77 dst_sel:DWORD dst_unused:UNUSED_PAD src0_sel:WORD_1 src1_sel:DWORD
	v_mul_u32_u24_sdwa v149, v191, v77 dst_sel:DWORD dst_unused:UNUSED_PAD src0_sel:WORD_0 src1_sel:DWORD
	v_mul_u32_u24_sdwa v154, v191, v77 dst_sel:DWORD dst_unused:UNUSED_PAD src0_sel:WORD_1 src1_sel:DWORD
	s_waitcnt lgkmcnt(1)
	v_pk_fma_f16 v190, v186, v171, v193
	v_pk_fma_f16 v189, v186, v174, v189
	;; [unrolled: 1-line block ×5, first 2 shown]
	v_mul_u32_u24_sdwa v161, v192, v77 dst_sel:DWORD dst_unused:UNUSED_PAD src0_sel:WORD_0 src1_sel:DWORD
	v_mul_u32_u24_sdwa v165, v192, v77 dst_sel:DWORD dst_unused:UNUSED_PAD src0_sel:WORD_1 src1_sel:DWORD
	v_pk_fma_f16 v108, v185, v179, v108
	v_pk_fma_f16 v179, v186, v179, v182
	;; [unrolled: 1-line block ×3, first 2 shown]
	ds_read_b128 v[182:185], v70 offset:432
	v_pk_fma_f16 v174, v188, v138, v190
	v_pk_fma_f16 v138, v187, v138, v171
	s_waitcnt lgkmcnt(1)
	v_mul_u32_u24_sdwa v192, v118, v77 dst_sel:DWORD dst_unused:UNUSED_PAD src0_sel:WORD_0 src1_sel:DWORD
	v_mul_u32_u24_sdwa v171, v118, v77 dst_sel:DWORD dst_unused:UNUSED_PAD src0_sel:WORD_1 src1_sel:DWORD
	v_pk_fma_f16 v177, v188, v122, v189
	v_pk_fma_f16 v107, v187, v122, v107
	v_mul_u32_u24_sdwa v190, v119, v77 dst_sel:DWORD dst_unused:UNUSED_PAD src0_sel:WORD_0 src1_sel:DWORD
	v_pk_fma_f16 v122, v188, v116, v191
	v_mul_u32_u24_sdwa v191, v119, v77 dst_sel:DWORD dst_unused:UNUSED_PAD src0_sel:WORD_1 src1_sel:DWORD
	v_mul_u32_u24_sdwa v193, v120, v77 dst_sel:DWORD dst_unused:UNUSED_PAD src0_sel:WORD_0 src1_sel:DWORD
	v_mul_u32_u24_sdwa v194, v120, v77 dst_sel:DWORD dst_unused:UNUSED_PAD src0_sel:WORD_1 src1_sel:DWORD
	v_mul_u32_u24_sdwa v195, v121, v77 dst_sel:DWORD dst_unused:UNUSED_PAD src0_sel:WORD_0 src1_sel:DWORD
	v_mul_u32_u24_sdwa v196, v121, v77 dst_sel:DWORD dst_unused:UNUSED_PAD src0_sel:WORD_1 src1_sel:DWORD
	ds_read2_b64 v[118:121], v80 offset0:192 offset1:224
	v_pk_fma_f16 v108, v187, v150, v108
	v_pk_fma_f16 v150, v188, v150, v179
	;; [unrolled: 1-line block ×3, first 2 shown]
	ds_read2_b64 v[186:189], v81 offset1:32
	s_waitcnt lgkmcnt(2)
	v_mul_u32_u24_sdwa v197, v182, v77 dst_sel:DWORD dst_unused:UNUSED_PAD src0_sel:WORD_0 src1_sel:DWORD
	v_mul_u32_u24_sdwa v198, v182, v77 dst_sel:DWORD dst_unused:UNUSED_PAD src0_sel:WORD_1 src1_sel:DWORD
	v_mul_u32_u24_sdwa v199, v183, v77 dst_sel:DWORD dst_unused:UNUSED_PAD src0_sel:WORD_0 src1_sel:DWORD
	v_mul_u32_u24_sdwa v200, v183, v77 dst_sel:DWORD dst_unused:UNUSED_PAD src0_sel:WORD_1 src1_sel:DWORD
	;; [unrolled: 2-line block ×4, first 2 shown]
	ds_read2_b64 v[182:185], v83 offset0:128 offset1:160
	s_waitcnt lgkmcnt(2)
	v_pk_fma_f16 v108, v118, v166, v108
	v_pk_fma_f16 v116, v119, v139, v174
	;; [unrolled: 1-line block ×16, first 2 shown]
	ds_read_b128 v[118:121], v70 offset:448
	s_waitcnt lgkmcnt(2)
	v_pk_fma_f16 v108, v186, v180, v108
	v_pk_fma_f16 v116, v187, v172, v116
	;; [unrolled: 1-line block ×8, first 2 shown]
	ds_read_b128 v[177:180], v70 offset:464
	v_pk_fma_f16 v108, v188, v152, v108
	v_pk_fma_f16 v143, v189, v140, v116
	;; [unrolled: 1-line block ×8, first 2 shown]
	v_add_co_u32 v155, s1, s47, v46
	s_waitcnt lgkmcnt(1)
	v_mul_u32_u24_sdwa v172, v118, v77 dst_sel:DWORD dst_unused:UNUSED_PAD src0_sel:WORD_0 src1_sel:DWORD
	v_mul_u32_u24_sdwa v186, v118, v77 dst_sel:DWORD dst_unused:UNUSED_PAD src0_sel:WORD_1 src1_sel:DWORD
	v_mul_u32_u24_sdwa v187, v119, v77 dst_sel:DWORD dst_unused:UNUSED_PAD src0_sel:WORD_0 src1_sel:DWORD
	v_mul_u32_u24_sdwa v188, v119, v77 dst_sel:DWORD dst_unused:UNUSED_PAD src0_sel:WORD_1 src1_sel:DWORD
	ds_read2_b64 v[116:119], v81 offset0:64 offset1:96
	v_mul_u32_u24_sdwa v189, v120, v77 dst_sel:DWORD dst_unused:UNUSED_PAD src0_sel:WORD_0 src1_sel:DWORD
	v_mul_u32_u24_sdwa v205, v120, v77 dst_sel:DWORD dst_unused:UNUSED_PAD src0_sel:WORD_1 src1_sel:DWORD
	v_mul_u32_u24_sdwa v206, v121, v77 dst_sel:DWORD dst_unused:UNUSED_PAD src0_sel:WORD_0 src1_sel:DWORD
	v_mul_u32_u24_sdwa v207, v121, v77 dst_sel:DWORD dst_unused:UNUSED_PAD src0_sel:WORD_1 src1_sel:DWORD
	v_add_co_u32 v162, s2, s47, v48
	s_waitcnt lgkmcnt(1)
	v_mul_u32_u24_sdwa v208, v177, v77 dst_sel:DWORD dst_unused:UNUSED_PAD src0_sel:WORD_0 src1_sel:DWORD
	v_mul_u32_u24_sdwa v209, v177, v77 dst_sel:DWORD dst_unused:UNUSED_PAD src0_sel:WORD_1 src1_sel:DWORD
	v_mul_u32_u24_sdwa v210, v178, v77 dst_sel:DWORD dst_unused:UNUSED_PAD src0_sel:WORD_0 src1_sel:DWORD
	s_waitcnt lgkmcnt(0)
	v_pk_fma_f16 v120, v117, v141, v143
	v_pk_fma_f16 v140, v117, v147, v123
	;; [unrolled: 1-line block ×4, first 2 shown]
	ds_read2_b64 v[121:124], v81 offset0:128 offset1:160
	v_pk_fma_f16 v117, v117, v167, v139
	v_pk_fma_f16 v107, v116, v147, v107
	;; [unrolled: 1-line block ×4, first 2 shown]
	ds_read_b128 v[138:141], v70 offset:480
	v_pk_fma_f16 v108, v116, v167, v108
	v_pk_fma_f16 v106, v116, v156, v106
	;; [unrolled: 1-line block ×8, first 2 shown]
	ds_read_b128 v[150:153], v70 offset:496
	v_mul_u32_u24_sdwa v135, v178, v77 dst_sel:DWORD dst_unused:UNUSED_PAD src0_sel:WORD_1 src1_sel:DWORD
	v_mul_u32_u24_sdwa v106, v179, v77 dst_sel:DWORD dst_unused:UNUSED_PAD src0_sel:WORD_0 src1_sel:DWORD
	v_mul_u32_u24_sdwa v107, v179, v77 dst_sel:DWORD dst_unused:UNUSED_PAD src0_sel:WORD_1 src1_sel:DWORD
	v_mul_u32_u24_sdwa v108, v180, v77 dst_sel:DWORD dst_unused:UNUSED_PAD src0_sel:WORD_0 src1_sel:DWORD
	v_mul_u32_u24_sdwa v178, v180, v77 dst_sel:DWORD dst_unused:UNUSED_PAD src0_sel:WORD_1 src1_sel:DWORD
	s_waitcnt lgkmcnt(2)
	v_pk_fma_f16 v116, v121, v176, v116
	v_pk_fma_f16 v120, v122, v164, v120
	;; [unrolled: 1-line block ×10, first 2 shown]
	s_waitcnt lgkmcnt(1)
	v_mul_u32_u24_sdwa v116, v138, v77 dst_sel:DWORD dst_unused:UNUSED_PAD src0_sel:WORD_0 src1_sel:DWORD
	v_pk_fma_f16 v146, v124, v31, v120
	v_pk_fma_f16 v31, v123, v31, v122
	v_mul_u32_u24_sdwa v117, v138, v77 dst_sel:DWORD dst_unused:UNUSED_PAD src0_sel:WORD_1 src1_sel:DWORD
	v_pk_fma_f16 v143, v124, v26, v143
	v_pk_fma_f16 v26, v123, v26, v144
	v_mul_u32_u24_sdwa v122, v139, v77 dst_sel:DWORD dst_unused:UNUSED_PAD src0_sel:WORD_0 src1_sel:DWORD
	v_pk_fma_f16 v144, v124, v23, v119
	v_pk_fma_f16 v23, v123, v23, v118
	v_mul_u32_u24_sdwa v124, v139, v77 dst_sel:DWORD dst_unused:UNUSED_PAD src0_sel:WORD_1 src1_sel:DWORD
	v_mul_u32_u24_sdwa v118, v140, v77 dst_sel:DWORD dst_unused:UNUSED_PAD src0_sel:WORD_0 src1_sel:DWORD
	v_mul_u32_u24_sdwa v119, v140, v77 dst_sel:DWORD dst_unused:UNUSED_PAD src0_sel:WORD_1 src1_sel:DWORD
	v_mul_u32_u24_sdwa v120, v141, v77 dst_sel:DWORD dst_unused:UNUSED_PAD src0_sel:WORD_0 src1_sel:DWORD
	v_mul_u32_u24_sdwa v123, v141, v77 dst_sel:DWORD dst_unused:UNUSED_PAD src0_sel:WORD_1 src1_sel:DWORD
	ds_read2_b64 v[138:141], v81 offset0:192 offset1:224
	v_add_co_u32 v147, s0, s47, v44
	v_add_co_ci_u32_e64 v156, null, s46, v45, s0
	ds_read2_b64 v[174:177], v83 offset0:64 offset1:96
	s_waitcnt lgkmcnt(1)
	v_pk_fma_f16 v121, v138, v115, v121
	v_pk_fma_f16 v113, v139, v115, v113
	;; [unrolled: 1-line block ×8, first 2 shown]
	v_add_co_ci_u32_e64 v138, null, s46, v43, vcc_lo
	v_add_co_u32 v143, vcc_lo, v102, v76
	v_pk_fma_f16 v168, v141, v6, v109
	v_pk_fma_f16 v6, v140, v6, v26
	;; [unrolled: 1-line block ×4, first 2 shown]
	v_add_co_ci_u32_e64 v23, null, s46, v47, s1
	v_add_co_ci_u32_e64 v144, null, 0, v138, vcc_lo
	v_add_co_u32 v146, vcc_lo, v147, v76
	v_add_co_ci_u32_e64 v139, null, s46, v49, s2
	v_add_co_ci_u32_e64 v147, null, 0, v156, vcc_lo
	v_add_co_u32 v155, vcc_lo, v155, v76
	v_add_co_ci_u32_e64 v156, null, 0, v23, vcc_lo
	v_add_co_u32 v162, vcc_lo, v162, v76
	v_pk_fma_f16 v164, v140, v114, v121
	v_pk_fma_f16 v166, v141, v114, v113
	;; [unrolled: 1-line block ×4, first 2 shown]
	v_add_co_ci_u32_e64 v163, null, 0, v139, vcc_lo
	ds_read2_b64 v[138:141], v82 offset1:32
	v_mul_u32_u24_sdwa v110, v150, v77 dst_sel:DWORD dst_unused:UNUSED_PAD src0_sel:WORD_0 src1_sel:DWORD
	v_mul_u32_u24_sdwa v111, v150, v77 dst_sel:DWORD dst_unused:UNUSED_PAD src0_sel:WORD_1 src1_sel:DWORD
	v_mul_u32_u24_sdwa v114, v151, v77 dst_sel:DWORD dst_unused:UNUSED_PAD src0_sel:WORD_0 src1_sel:DWORD
	v_mul_u32_u24_sdwa v121, v151, v77 dst_sel:DWORD dst_unused:UNUSED_PAD src0_sel:WORD_1 src1_sel:DWORD
	;; [unrolled: 2-line block ×4, first 2 shown]
	ds_read2_b64 v[150:153], v82 offset0:192 offset1:224
	s_waitcnt lgkmcnt(1)
	v_pk_fma_f16 v23, v138, v15, v164
	v_pk_fma_f16 v15, v139, v15, v166
	;; [unrolled: 1-line block ×14, first 2 shown]
	ds_read2_b64 v[8:11], v82 offset0:64 offset1:96
	v_pk_fma_f16 v26, v141, v7, v26
	v_pk_fma_f16 v5, v140, v7, v5
	ds_read2_b64 v[138:141], v82 offset0:128 offset1:160
	s_waitcnt lgkmcnt(1)
	v_pk_fma_f16 v7, v8, v22, v12
	v_pk_fma_f16 v12, v9, v22, v13
	;; [unrolled: 1-line block ×14, first 2 shown]
	ds_read2_b64 v[18:21], v83 offset1:32
	v_pk_fma_f16 v9, v11, v17, v9
	s_waitcnt lgkmcnt(1)
	v_pk_fma_f16 v7, v138, v127, v7
	v_pk_fma_f16 v8, v139, v127, v8
	;; [unrolled: 1-line block ×32, first 2 shown]
	s_waitcnt lgkmcnt(0)
	v_pk_fma_f16 v22, v18, v173, v22
	v_pk_fma_f16 v23, v19, v173, v23
	;; [unrolled: 1-line block ×6, first 2 shown]
	ds_read2_b64 v[25:28], v83 offset0:192 offset1:224
	ds_read2_b64 v[138:141], v84 offset1:32
	ds_read2_b64 v[13:16], v84 offset0:64 offset1:96
	ds_read2_b64 v[9:12], v84 offset0:128 offset1:160
	v_pk_fma_f16 v102, v152, v129, v5
	ds_read2_b64 v[5:8], v84 offset0:192 offset1:224
	s_waitcnt lgkmcnt(0)
	s_barrier
	buffer_gl0_inv
	s_clause 0x1
	global_load_dwordx4 v[130:133], v[143:144], off
	global_load_dwordx4 v[150:153], v[146:147], off
	v_pk_fma_f16 v17, v19, v160, v17
	v_pk_fma_f16 v19, v20, v169, v22
	;; [unrolled: 1-line block ×3, first 2 shown]
	global_load_dwordx4 v[166:169], v[155:156], off
	v_pk_fma_f16 v23, v21, v157, v24
	v_pk_fma_f16 v24, v21, v158, v29
	;; [unrolled: 1-line block ×4, first 2 shown]
	global_load_dwordx4 v[155:158], v[162:163], off
	v_pk_fma_f16 v18, v18, v160, v102
	v_pk_fma_f16 v17, v21, v136, v17
	;; [unrolled: 1-line block ×89, first 2 shown]
	s_waitcnt vmcnt(3)
	ds_write_b128 v69, v[130:133]
	s_waitcnt vmcnt(2)
	ds_write_b128 v71, v[150:153]
	;; [unrolled: 2-line block ×4, first 2 shown]
	s_waitcnt lgkmcnt(0)
	s_barrier
	buffer_gl0_inv
	ds_read_b128 v[28:31], v70 offset:512
	ds_read_b128 v[24:27], v70 offset:528
	;; [unrolled: 1-line block ×12, first 2 shown]
	v_pk_fma_f16 v102, v9, v117, v102
	v_pk_fma_f16 v9, v9, v122, v13
	;; [unrolled: 1-line block ×13, first 2 shown]
	s_waitcnt lgkmcnt(9)
	v_mul_u32_u24_sdwa v207, v22, v77 dst_sel:DWORD dst_unused:UNUSED_PAD src0_sel:WORD_0 src1_sel:DWORD
	v_mul_u32_u24_sdwa v208, v22, v77 dst_sel:DWORD dst_unused:UNUSED_PAD src0_sel:WORD_1 src1_sel:DWORD
	v_pk_fma_f16 v13, v6, v110, v116
	v_pk_fma_f16 v22, v6, v111, v117
	;; [unrolled: 1-line block ×8, first 2 shown]
	ds_read_b128 v[9:12], v70 offset:704
	v_mul_u32_u24_sdwa v124, v28, v77 dst_sel:DWORD dst_unused:UNUSED_PAD src0_sel:WORD_0 src1_sel:DWORD
	v_mul_u32_u24_sdwa v125, v28, v77 dst_sel:DWORD dst_unused:UNUSED_PAD src0_sel:WORD_1 src1_sel:DWORD
	v_mul_u32_u24_sdwa v147, v24, v77 dst_sel:DWORD dst_unused:UNUSED_PAD src0_sel:WORD_0 src1_sel:DWORD
	v_mul_u32_u24_sdwa v196, v24, v77 dst_sel:DWORD dst_unused:UNUSED_PAD src0_sel:WORD_1 src1_sel:DWORD
	;; [unrolled: 2-line block ×3, first 2 shown]
	s_waitcnt lgkmcnt(8)
	v_mul_u32_u24_sdwa v14, v133, v77 dst_sel:DWORD dst_unused:UNUSED_PAD src0_sel:WORD_0 src1_sel:DWORD
	v_mul_u32_u24_sdwa v20, v133, v77 dst_sel:DWORD dst_unused:UNUSED_PAD src0_sel:WORD_1 src1_sel:DWORD
	s_waitcnt lgkmcnt(7)
	v_mul_u32_u24_sdwa v122, v136, v77 dst_sel:DWORD dst_unused:UNUSED_PAD src0_sel:WORD_0 src1_sel:DWORD
	v_mul_u32_u24_sdwa v133, v136, v77 dst_sel:DWORD dst_unused:UNUSED_PAD src0_sel:WORD_1 src1_sel:DWORD
	;; [unrolled: 3-line block ×3, first 2 shown]
	v_mul_u32_u24_sdwa v24, v144, v77 dst_sel:DWORD dst_unused:UNUSED_PAD src0_sel:WORD_0 src1_sel:DWORD
	v_mul_u32_u24_sdwa v107, v144, v77 dst_sel:DWORD dst_unused:UNUSED_PAD src0_sel:WORD_1 src1_sel:DWORD
	v_pk_fma_f16 v13, v8, v112, v13
	v_pk_fma_f16 v22, v8, v113, v22
	;; [unrolled: 1-line block ×5, first 2 shown]
	ds_read_b128 v[5:8], v70 offset:720
	s_waitcnt lgkmcnt(1)
	v_mul_u32_u24_sdwa v136, v9, v77 dst_sel:DWORD dst_unused:UNUSED_PAD src0_sel:WORD_0 src1_sel:DWORD
	v_mul_u32_u24_sdwa v129, v9, v77 dst_sel:DWORD dst_unused:UNUSED_PAD src0_sel:WORD_1 src1_sel:DWORD
	v_mul_u32_u24_sdwa v123, v10, v77 dst_sel:DWORD dst_unused:UNUSED_PAD src0_sel:WORD_0 src1_sel:DWORD
	v_mul_u32_u24_sdwa v144, v10, v77 dst_sel:DWORD dst_unused:UNUSED_PAD src0_sel:WORD_1 src1_sel:DWORD
	;; [unrolled: 2-line block ×4, first 2 shown]
	ds_read2_b64 v[9:12], v51 offset1:32
	v_mul_u32_u24_sdwa v138, v29, v77 dst_sel:DWORD dst_unused:UNUSED_PAD src0_sel:WORD_1 src1_sel:DWORD
	v_mul_u32_u24_sdwa v126, v29, v77 dst_sel:DWORD dst_unused:UNUSED_PAD src0_sel:WORD_0 src1_sel:DWORD
	v_mul_u32_u24_sdwa v139, v30, v77 dst_sel:DWORD dst_unused:UNUSED_PAD src0_sel:WORD_0 src1_sel:DWORD
	v_mul_u32_u24_sdwa v145, v30, v77 dst_sel:DWORD dst_unused:UNUSED_PAD src0_sel:WORD_1 src1_sel:DWORD
	v_mul_u32_u24_sdwa v146, v31, v77 dst_sel:DWORD dst_unused:UNUSED_PAD src0_sel:WORD_0 src1_sel:DWORD
	v_mul_u32_u24_sdwa v31, v31, v77 dst_sel:DWORD dst_unused:UNUSED_PAD src0_sel:WORD_1 src1_sel:DWORD
	;; [unrolled: 2-line block ×7, first 2 shown]
	s_waitcnt lgkmcnt(1)
	v_mul_u32_u24_sdwa v130, v5, v77 dst_sel:DWORD dst_unused:UNUSED_PAD src0_sel:WORD_1 src1_sel:DWORD
	v_mul_u32_u24_sdwa v137, v8, v77 dst_sel:DWORD dst_unused:UNUSED_PAD src0_sel:WORD_1 src1_sel:DWORD
	;; [unrolled: 1-line block ×3, first 2 shown]
	s_waitcnt lgkmcnt(0)
	v_pk_fma_f16 v110, v9, v138, v110
	v_pk_fma_f16 v111, v10, v138, v111
	v_pk_fma_f16 v114, v9, v124, v114
	v_pk_fma_f16 v22, v10, v125, v22
	v_pk_fma_f16 v102, v9, v125, v102
	v_pk_fma_f16 v13, v10, v124, v13
	v_pk_fma_f16 v10, v10, v126, v113
	v_pk_fma_f16 v9, v9, v126, v109
	v_pk_fma_f16 v109, v11, v31, v110
	v_pk_fma_f16 v110, v12, v31, v111
	v_pk_fma_f16 v111, v11, v139, v114
	v_pk_fma_f16 v115, v12, v145, v22
	v_pk_fma_f16 v102, v11, v145, v102
	v_mul_u32_u24_sdwa v31, v5, v77 dst_sel:DWORD dst_unused:UNUSED_PAD src0_sel:WORD_0 src1_sel:DWORD
	v_mul_u32_u24_sdwa v124, v6, v77 dst_sel:DWORD dst_unused:UNUSED_PAD src0_sel:WORD_0 src1_sel:DWORD
	v_mul_u32_u24_sdwa v145, v6, v77 dst_sel:DWORD dst_unused:UNUSED_PAD src0_sel:WORD_1 src1_sel:DWORD
	v_mul_u32_u24_sdwa v113, v7, v77 dst_sel:DWORD dst_unused:UNUSED_PAD src0_sel:WORD_0 src1_sel:DWORD
	v_mul_u32_u24_sdwa v114, v7, v77 dst_sel:DWORD dst_unused:UNUSED_PAD src0_sel:WORD_1 src1_sel:DWORD
	v_mul_u32_u24_sdwa v22, v8, v77 dst_sel:DWORD dst_unused:UNUSED_PAD src0_sel:WORD_0 src1_sel:DWORD
	ds_read2_b64 v[5:8], v51 offset0:64 offset1:96
	v_pk_fma_f16 v13, v12, v139, v13
	v_pk_fma_f16 v10, v12, v146, v10
	;; [unrolled: 1-line block ×3, first 2 shown]
	v_mul_u32_u24_sdwa v199, v26, v77 dst_sel:DWORD dst_unused:UNUSED_PAD src0_sel:WORD_0 src1_sel:DWORD
	v_mul_u32_u24_sdwa v200, v26, v77 dst_sel:DWORD dst_unused:UNUSED_PAD src0_sel:WORD_1 src1_sel:DWORD
	v_mul_u32_u24_sdwa v201, v27, v77 dst_sel:DWORD dst_unused:UNUSED_PAD src0_sel:WORD_0 src1_sel:DWORD
	v_mul_u32_u24_sdwa v205, v21, v77 dst_sel:DWORD dst_unused:UNUSED_PAD src0_sel:WORD_0 src1_sel:DWORD
	v_mul_u32_u24_sdwa v206, v21, v77 dst_sel:DWORD dst_unused:UNUSED_PAD src0_sel:WORD_1 src1_sel:DWORD
	v_mul_u32_u24_sdwa v211, v16, v77 dst_sel:DWORD dst_unused:UNUSED_PAD src0_sel:WORD_0 src1_sel:DWORD
	v_mul_u32_u24_sdwa v212, v16, v77 dst_sel:DWORD dst_unused:UNUSED_PAD src0_sel:WORD_1 src1_sel:DWORD
	v_mul_u32_u24_sdwa v213, v17, v77 dst_sel:DWORD dst_unused:UNUSED_PAD src0_sel:WORD_0 src1_sel:DWORD
	v_mul_u32_u24_sdwa v214, v17, v77 dst_sel:DWORD dst_unused:UNUSED_PAD src0_sel:WORD_1 src1_sel:DWORD
	v_mul_u32_u24_sdwa v17, v131, v77 dst_sel:DWORD dst_unused:UNUSED_PAD src0_sel:WORD_0 src1_sel:DWORD
	v_mul_u32_u24_sdwa v21, v131, v77 dst_sel:DWORD dst_unused:UNUSED_PAD src0_sel:WORD_1 src1_sel:DWORD
	v_mul_u32_u24_sdwa v16, v132, v77 dst_sel:DWORD dst_unused:UNUSED_PAD src0_sel:WORD_0 src1_sel:DWORD
	v_mul_u32_u24_sdwa v15, v132, v77 dst_sel:DWORD dst_unused:UNUSED_PAD src0_sel:WORD_1 src1_sel:DWORD
	v_mul_u32_u24_sdwa v27, v143, v77 dst_sel:DWORD dst_unused:UNUSED_PAD src0_sel:WORD_0 src1_sel:DWORD
	v_mul_u32_u24_sdwa v26, v143, v77 dst_sel:DWORD dst_unused:UNUSED_PAD src0_sel:WORD_1 src1_sel:DWORD
	v_mul_u32_u24_sdwa v209, v23, v77 dst_sel:DWORD dst_unused:UNUSED_PAD src0_sel:WORD_0 src1_sel:DWORD
	s_waitcnt lgkmcnt(0)
	v_pk_fma_f16 v11, v5, v198, v109
	v_pk_fma_f16 v12, v6, v198, v110
	;; [unrolled: 1-line block ×10, first 2 shown]
	ds_read_b128 v[9:12], v70 offset:736
	v_pk_fma_f16 v13, v8, v199, v13
	v_pk_fma_f16 v110, v8, v200, v110
	;; [unrolled: 1-line block ×6, first 2 shown]
	ds_read_b128 v[5:8], v70 offset:752
	v_mul_u32_u24_sdwa v210, v23, v77 dst_sel:DWORD dst_unused:UNUSED_PAD src0_sel:WORD_1 src1_sel:DWORD
	v_mul_u32_u24_sdwa v179, v184, v77 dst_sel:DWORD dst_unused:UNUSED_PAD src0_sel:WORD_0 src1_sel:DWORD
	v_mul_u32_u24_sdwa v178, v184, v77 dst_sel:DWORD dst_unused:UNUSED_PAD src0_sel:WORD_1 src1_sel:DWORD
	v_mul_u32_u24_sdwa v177, v185, v77 dst_sel:DWORD dst_unused:UNUSED_PAD src0_sel:WORD_0 src1_sel:DWORD
	;; [unrolled: 2-line block ×6, first 2 shown]
	s_waitcnt lgkmcnt(1)
	v_mul_u32_u24_sdwa v138, v9, v77 dst_sel:DWORD dst_unused:UNUSED_PAD src0_sel:WORD_0 src1_sel:DWORD
	v_mul_u32_u24_sdwa v131, v9, v77 dst_sel:DWORD dst_unused:UNUSED_PAD src0_sel:WORD_1 src1_sel:DWORD
	v_mul_u32_u24_sdwa v125, v10, v77 dst_sel:DWORD dst_unused:UNUSED_PAD src0_sel:WORD_0 src1_sel:DWORD
	v_mul_u32_u24_sdwa v146, v10, v77 dst_sel:DWORD dst_unused:UNUSED_PAD src0_sel:WORD_1 src1_sel:DWORD
	;; [unrolled: 2-line block ×4, first 2 shown]
	ds_read2_b64 v[9:12], v51 offset0:128 offset1:160
	s_waitcnt lgkmcnt(1)
	v_mul_u32_u24_sdwa v147, v6, v77 dst_sel:DWORD dst_unused:UNUSED_PAD src0_sel:WORD_1 src1_sel:DWORD
	v_mul_u32_u24_sdwa v139, v8, v77 dst_sel:DWORD dst_unused:UNUSED_PAD src0_sel:WORD_1 src1_sel:DWORD
	;; [unrolled: 1-line block ×3, first 2 shown]
	v_mul_u32_u24_sdwa v23, v195, v77 dst_sel:DWORD dst_unused:UNUSED_PAD src0_sel:WORD_0 src1_sel:DWORD
	v_mul_u32_u24_sdwa v141, v195, v77 dst_sel:DWORD dst_unused:UNUSED_PAD src0_sel:WORD_1 src1_sel:DWORD
	v_mul_u32_u24_sdwa v148, v134, v77 dst_sel:DWORD dst_unused:UNUSED_PAD src0_sel:WORD_0 src1_sel:DWORD
	v_mul_u32_u24_sdwa v140, v134, v77 dst_sel:DWORD dst_unused:UNUSED_PAD src0_sel:WORD_1 src1_sel:DWORD
	;; [unrolled: 2-line block ×8, first 2 shown]
	s_waitcnt lgkmcnt(0)
	v_pk_fma_f16 v111, v9, v206, v111
	v_pk_fma_f16 v116, v10, v206, v116
	;; [unrolled: 1-line block ×13, first 2 shown]
	v_mul_u32_u24_sdwa v102, v5, v77 dst_sel:DWORD dst_unused:UNUSED_PAD src0_sel:WORD_0 src1_sel:DWORD
	v_mul_u32_u24_sdwa v132, v5, v77 dst_sel:DWORD dst_unused:UNUSED_PAD src0_sel:WORD_1 src1_sel:DWORD
	v_mul_u32_u24_sdwa v126, v6, v77 dst_sel:DWORD dst_unused:UNUSED_PAD src0_sel:WORD_0 src1_sel:DWORD
	v_mul_u32_u24_sdwa v116, v7, v77 dst_sel:DWORD dst_unused:UNUSED_PAD src0_sel:WORD_0 src1_sel:DWORD
	v_mul_u32_u24_sdwa v117, v7, v77 dst_sel:DWORD dst_unused:UNUSED_PAD src0_sel:WORD_1 src1_sel:DWORD
	v_mul_u32_u24_sdwa v5, v8, v77 dst_sel:DWORD dst_unused:UNUSED_PAD src0_sel:WORD_0 src1_sel:DWORD
	ds_read2_b64 v[6:9], v51 offset0:192 offset1:224
	v_pk_fma_f16 v13, v12, v207, v13
	v_pk_fma_f16 v110, v12, v208, v110
	;; [unrolled: 1-line block ×3, first 2 shown]
	v_mul_u32_u24_sdwa v161, v154, v77 dst_sel:DWORD dst_unused:UNUSED_PAD src0_sel:WORD_0 src1_sel:DWORD
	v_mul_u32_u24_sdwa v173, v154, v77 dst_sel:DWORD dst_unused:UNUSED_PAD src0_sel:WORD_1 src1_sel:DWORD
	v_mul_u32_u24_sdwa v160, v155, v77 dst_sel:DWORD dst_unused:UNUSED_PAD src0_sel:WORD_0 src1_sel:DWORD
	v_mul_u32_u24_sdwa v159, v155, v77 dst_sel:DWORD dst_unused:UNUSED_PAD src0_sel:WORD_1 src1_sel:DWORD
	;; [unrolled: 2-line block ×8, first 2 shown]
	s_waitcnt lgkmcnt(0)
	v_pk_fma_f16 v12, v6, v214, v111
	v_pk_fma_f16 v111, v7, v214, v184
	;; [unrolled: 1-line block ×9, first 2 shown]
	ds_read_b128 v[184:187], v70 offset:768
	ds_read_b128 v[188:191], v70 offset:784
	v_pk_fma_f16 v6, v6, v213, v11
	v_mul_u32_u24_sdwa v128, v193, v77 dst_sel:DWORD dst_unused:UNUSED_PAD src0_sel:WORD_0 src1_sel:DWORD
	v_mul_u32_u24_sdwa v149, v193, v77 dst_sel:DWORD dst_unused:UNUSED_PAD src0_sel:WORD_1 src1_sel:DWORD
	v_pk_fma_f16 v192, v8, v218, v12
	v_pk_fma_f16 v193, v9, v215, v13
	;; [unrolled: 1-line block ×6, first 2 shown]
	s_waitcnt lgkmcnt(1)
	v_mul_u32_u24_sdwa v11, v184, v77 dst_sel:DWORD dst_unused:UNUSED_PAD src0_sel:WORD_0 src1_sel:DWORD
	v_mul_u32_u24_sdwa v10, v184, v77 dst_sel:DWORD dst_unused:UNUSED_PAD src0_sel:WORD_1 src1_sel:DWORD
	v_mul_u32_u24_sdwa v9, v185, v77 dst_sel:DWORD dst_unused:UNUSED_PAD src0_sel:WORD_0 src1_sel:DWORD
	v_mul_u32_u24_sdwa v13, v185, v77 dst_sel:DWORD dst_unused:UNUSED_PAD src0_sel:WORD_1 src1_sel:DWORD
	;; [unrolled: 2-line block ×4, first 2 shown]
	ds_read2_b64 v[184:187], v78 offset1:32
	s_waitcnt lgkmcnt(0)
	v_pk_fma_f16 v192, v184, v21, v192
	v_pk_fma_f16 v21, v185, v21, v111
	;; [unrolled: 1-line block ×16, first 2 shown]
	ds_read2_b64 v[184:187], v78 offset0:64 offset1:96
	v_mul_u32_u24_sdwa v14, v188, v77 dst_sel:DWORD dst_unused:UNUSED_PAD src0_sel:WORD_0 src1_sel:DWORD
	v_mul_u32_u24_sdwa v19, v188, v77 dst_sel:DWORD dst_unused:UNUSED_PAD src0_sel:WORD_1 src1_sel:DWORD
	v_mul_u32_u24_sdwa v18, v189, v77 dst_sel:DWORD dst_unused:UNUSED_PAD src0_sel:WORD_0 src1_sel:DWORD
	v_mul_u32_u24_sdwa v21, v189, v77 dst_sel:DWORD dst_unused:UNUSED_PAD src0_sel:WORD_1 src1_sel:DWORD
	;; [unrolled: 2-line block ×4, first 2 shown]
	s_waitcnt lgkmcnt(0)
	v_pk_fma_f16 v188, v184, v183, v192
	v_pk_fma_f16 v183, v185, v183, v193
	;; [unrolled: 1-line block ×10, first 2 shown]
	ds_read_b128 v[182:185], v70 offset:800
	v_pk_fma_f16 v191, v187, v122, v111
	v_pk_fma_f16 v193, v187, v133, v110
	;; [unrolled: 1-line block ×6, first 2 shown]
	ds_read_b128 v[186:189], v70 offset:816
	s_waitcnt lgkmcnt(1)
	v_mul_u32_u24_sdwa v133, v182, v77 dst_sel:DWORD dst_unused:UNUSED_PAD src0_sel:WORD_0 src1_sel:DWORD
	v_mul_u32_u24_sdwa v134, v182, v77 dst_sel:DWORD dst_unused:UNUSED_PAD src0_sel:WORD_1 src1_sel:DWORD
	v_mul_u32_u24_sdwa v122, v183, v77 dst_sel:DWORD dst_unused:UNUSED_PAD src0_sel:WORD_0 src1_sel:DWORD
	v_mul_u32_u24_sdwa v148, v183, v77 dst_sel:DWORD dst_unused:UNUSED_PAD src0_sel:WORD_1 src1_sel:DWORD
	;; [unrolled: 2-line block ×4, first 2 shown]
	ds_read2_b64 v[182:185], v78 offset0:128 offset1:160
	s_waitcnt lgkmcnt(0)
	v_pk_fma_f16 v190, v182, v127, v190
	v_pk_fma_f16 v127, v183, v127, v192
	;; [unrolled: 1-line block ×16, first 2 shown]
	ds_read2_b64 v[182:185], v78 offset0:192 offset1:224
	v_mul_u32_u24_sdwa v28, v186, v77 dst_sel:DWORD dst_unused:UNUSED_PAD src0_sel:WORD_0 src1_sel:DWORD
	v_mul_u32_u24_sdwa v107, v186, v77 dst_sel:DWORD dst_unused:UNUSED_PAD src0_sel:WORD_1 src1_sel:DWORD
	v_mul_u32_u24_sdwa v29, v187, v77 dst_sel:DWORD dst_unused:UNUSED_PAD src0_sel:WORD_0 src1_sel:DWORD
	v_mul_u32_u24_sdwa v127, v187, v77 dst_sel:DWORD dst_unused:UNUSED_PAD src0_sel:WORD_1 src1_sel:DWORD
	v_mul_u32_u24_sdwa v26, v188, v77 dst_sel:DWORD dst_unused:UNUSED_PAD src0_sel:WORD_0 src1_sel:DWORD
	v_mul_u32_u24_sdwa v27, v188, v77 dst_sel:DWORD dst_unused:UNUSED_PAD src0_sel:WORD_1 src1_sel:DWORD
	v_mul_u32_u24_sdwa v24, v189, v77 dst_sel:DWORD dst_unused:UNUSED_PAD src0_sel:WORD_0 src1_sel:DWORD
	v_mul_u32_u24_sdwa v30, v189, v77 dst_sel:DWORD dst_unused:UNUSED_PAD src0_sel:WORD_1 src1_sel:DWORD
	s_waitcnt lgkmcnt(0)
	v_pk_fma_f16 v186, v182, v174, v190
	v_pk_fma_f16 v187, v183, v170, v191
	;; [unrolled: 1-line block ×8, first 2 shown]
	ds_read_b128 v[186:189], v70 offset:832
	v_pk_fma_f16 v168, v182, v168, v195
	v_pk_fma_f16 v183, v183, v167, v196
	;; [unrolled: 1-line block ×8, first 2 shown]
	ds_read_b128 v[182:185], v70 offset:848
	s_waitcnt lgkmcnt(1)
	v_mul_u32_u24_sdwa v170, v186, v77 dst_sel:DWORD dst_unused:UNUSED_PAD src0_sel:WORD_0 src1_sel:DWORD
	v_mul_u32_u24_sdwa v171, v186, v77 dst_sel:DWORD dst_unused:UNUSED_PAD src0_sel:WORD_1 src1_sel:DWORD
	v_mul_u32_u24_sdwa v167, v187, v77 dst_sel:DWORD dst_unused:UNUSED_PAD src0_sel:WORD_0 src1_sel:DWORD
	v_mul_u32_u24_sdwa v174, v187, v77 dst_sel:DWORD dst_unused:UNUSED_PAD src0_sel:WORD_1 src1_sel:DWORD
	;; [unrolled: 2-line block ×4, first 2 shown]
	ds_read2_b64 v[186:189], v79 offset1:32
	s_waitcnt lgkmcnt(0)
	v_pk_fma_f16 v190, v186, v173, v190
	v_pk_fma_f16 v173, v187, v173, v192
	;; [unrolled: 1-line block ×16, first 2 shown]
	v_mul_u32_u24_sdwa v166, v182, v77 dst_sel:DWORD dst_unused:UNUSED_PAD src0_sel:WORD_0 src1_sel:DWORD
	v_mul_u32_u24_sdwa v169, v182, v77 dst_sel:DWORD dst_unused:UNUSED_PAD src0_sel:WORD_1 src1_sel:DWORD
	v_mul_u32_u24_sdwa v161, v183, v77 dst_sel:DWORD dst_unused:UNUSED_PAD src0_sel:WORD_0 src1_sel:DWORD
	v_mul_u32_u24_sdwa v173, v183, v77 dst_sel:DWORD dst_unused:UNUSED_PAD src0_sel:WORD_1 src1_sel:DWORD
	;; [unrolled: 2-line block ×4, first 2 shown]
	ds_read2_b64 v[182:185], v79 offset0:64 offset1:96
	s_waitcnt lgkmcnt(0)
	v_pk_fma_f16 v186, v182, v181, v186
	v_pk_fma_f16 v181, v183, v181, v190
	v_pk_fma_f16 v189, v183, v179, v191
	v_pk_fma_f16 v190, v183, v178, v192
	v_pk_fma_f16 v179, v182, v179, v193
	v_pk_fma_f16 v178, v182, v178, v194
	v_pk_fma_f16 v187, v183, v177, v187
	v_pk_fma_f16 v177, v182, v177, v188
	v_pk_fma_f16 v192, v184, v180, v186
	v_pk_fma_f16 v193, v185, v175, v189
	v_pk_fma_f16 v194, v185, v180, v181
	v_pk_fma_f16 v195, v185, v176, v190
	ds_read_b128 v[180:183], v70 offset:864
	ds_read2_b64 v[188:191], v79 offset0:128 offset1:160
	v_pk_fma_f16 v196, v184, v175, v179
	v_pk_fma_f16 v197, v184, v176, v178
	;; [unrolled: 1-line block ×4, first 2 shown]
	ds_read_b128 v[184:187], v70 offset:880
	s_waitcnt lgkmcnt(2)
	v_mul_u32_u24_sdwa v177, v180, v77 dst_sel:DWORD dst_unused:UNUSED_PAD src0_sel:WORD_0 src1_sel:DWORD
	v_mul_u32_u24_sdwa v178, v180, v77 dst_sel:DWORD dst_unused:UNUSED_PAD src0_sel:WORD_1 src1_sel:DWORD
	v_mul_u32_u24_sdwa v172, v182, v77 dst_sel:DWORD dst_unused:UNUSED_PAD src0_sel:WORD_0 src1_sel:DWORD
	v_mul_u32_u24_sdwa v175, v182, v77 dst_sel:DWORD dst_unused:UNUSED_PAD src0_sel:WORD_1 src1_sel:DWORD
	;; [unrolled: 2-line block ×3, first 2 shown]
	s_waitcnt lgkmcnt(1)
	v_pk_fma_f16 v182, v188, v157, v192
	v_pk_fma_f16 v157, v189, v157, v194
	;; [unrolled: 1-line block ×15, first 2 shown]
	s_waitcnt lgkmcnt(0)
	v_mul_u32_u24_sdwa v150, v184, v77 dst_sel:DWORD dst_unused:UNUSED_PAD src0_sel:WORD_0 src1_sel:DWORD
	v_mul_u32_u24_sdwa v154, v184, v77 dst_sel:DWORD dst_unused:UNUSED_PAD src0_sel:WORD_1 src1_sel:DWORD
	v_mul_u32_u24_sdwa v155, v185, v77 dst_sel:DWORD dst_unused:UNUSED_PAD src0_sel:WORD_0 src1_sel:DWORD
	v_mul_u32_u24_sdwa v157, v185, v77 dst_sel:DWORD dst_unused:UNUSED_PAD src0_sel:WORD_1 src1_sel:DWORD
	ds_read2_b64 v[182:185], v79 offset0:192 offset1:224
	v_pk_fma_f16 v192, v191, v151, v192
	v_mul_u32_u24_sdwa v151, v186, v77 dst_sel:DWORD dst_unused:UNUSED_PAD src0_sel:WORD_0 src1_sel:DWORD
	v_mul_u32_u24_sdwa v152, v186, v77 dst_sel:DWORD dst_unused:UNUSED_PAD src0_sel:WORD_1 src1_sel:DWORD
	v_mul_u32_u24_sdwa v153, v187, v77 dst_sel:DWORD dst_unused:UNUSED_PAD src0_sel:WORD_0 src1_sel:DWORD
	v_mul_u32_u24_sdwa v156, v187, v77 dst_sel:DWORD dst_unused:UNUSED_PAD src0_sel:WORD_1 src1_sel:DWORD
	;; [unrolled: 2-line block ×3, first 2 shown]
	s_waitcnt lgkmcnt(0)
	v_pk_fma_f16 v186, v182, v149, v188
	v_pk_fma_f16 v187, v183, v106, v194
	;; [unrolled: 1-line block ×9, first 2 shown]
	ds_read_b128 v[186:189], v70 offset:896
	v_pk_fma_f16 v106, v182, v106, v195
	v_pk_fma_f16 v135, v182, v135, v196
	;; [unrolled: 1-line block ×7, first 2 shown]
	ds_read_b128 v[182:185], v70 offset:912
	s_waitcnt lgkmcnt(1)
	v_mul_u32_u24_sdwa v119, v186, v77 dst_sel:DWORD dst_unused:UNUSED_PAD src0_sel:WORD_0 src1_sel:DWORD
	v_mul_u32_u24_sdwa v128, v186, v77 dst_sel:DWORD dst_unused:UNUSED_PAD src0_sel:WORD_1 src1_sel:DWORD
	v_mul_u32_u24_sdwa v135, v187, v77 dst_sel:DWORD dst_unused:UNUSED_PAD src0_sel:WORD_0 src1_sel:DWORD
	v_mul_u32_u24_sdwa v149, v187, v77 dst_sel:DWORD dst_unused:UNUSED_PAD src0_sel:WORD_1 src1_sel:DWORD
	;; [unrolled: 2-line block ×4, first 2 shown]
	ds_read2_b64 v[186:189], v80 offset1:32
	s_waitcnt lgkmcnt(0)
	v_pk_fma_f16 v190, v186, v144, v190
	v_pk_fma_f16 v144, v187, v144, v192
	;; [unrolled: 1-line block ×16, first 2 shown]
	v_mul_u32_u24_sdwa v108, v182, v77 dst_sel:DWORD dst_unused:UNUSED_PAD src0_sel:WORD_0 src1_sel:DWORD
	v_mul_u32_u24_sdwa v129, v182, v77 dst_sel:DWORD dst_unused:UNUSED_PAD src0_sel:WORD_1 src1_sel:DWORD
	v_mul_u32_u24_sdwa v136, v183, v77 dst_sel:DWORD dst_unused:UNUSED_PAD src0_sel:WORD_0 src1_sel:DWORD
	v_mul_u32_u24_sdwa v144, v183, v77 dst_sel:DWORD dst_unused:UNUSED_PAD src0_sel:WORD_1 src1_sel:DWORD
	v_mul_u32_u24_sdwa v112, v184, v77 dst_sel:DWORD dst_unused:UNUSED_PAD src0_sel:WORD_0 src1_sel:DWORD
	v_mul_u32_u24_sdwa v120, v184, v77 dst_sel:DWORD dst_unused:UNUSED_PAD src0_sel:WORD_1 src1_sel:DWORD
	v_mul_u32_u24_sdwa v123, v185, v77 dst_sel:DWORD dst_unused:UNUSED_PAD src0_sel:WORD_0 src1_sel:DWORD
	v_mul_u32_u24_sdwa v142, v185, v77 dst_sel:DWORD dst_unused:UNUSED_PAD src0_sel:WORD_1 src1_sel:DWORD
	ds_read2_b64 v[182:185], v80 offset0:64 offset1:96
	s_waitcnt lgkmcnt(0)
	v_pk_fma_f16 v186, v182, v145, v186
	v_pk_fma_f16 v189, v183, v31, v191
	;; [unrolled: 1-line block ×8, first 2 shown]
	ds_read_b128 v[186:189], v70 offset:928
	v_pk_fma_f16 v31, v182, v31, v193
	v_pk_fma_f16 v130, v182, v130, v194
	;; [unrolled: 1-line block ×8, first 2 shown]
	ds_read_b128 v[182:185], v70 offset:944
	s_waitcnt lgkmcnt(1)
	v_mul_u32_u24_sdwa v114, v186, v77 dst_sel:DWORD dst_unused:UNUSED_PAD src0_sel:WORD_0 src1_sel:DWORD
	v_mul_u32_u24_sdwa v124, v186, v77 dst_sel:DWORD dst_unused:UNUSED_PAD src0_sel:WORD_1 src1_sel:DWORD
	v_mul_u32_u24_sdwa v130, v187, v77 dst_sel:DWORD dst_unused:UNUSED_PAD src0_sel:WORD_0 src1_sel:DWORD
	v_mul_u32_u24_sdwa v145, v187, v77 dst_sel:DWORD dst_unused:UNUSED_PAD src0_sel:WORD_1 src1_sel:DWORD
	;; [unrolled: 2-line block ×4, first 2 shown]
	ds_read2_b64 v[186:189], v80 offset0:128 offset1:160
	s_waitcnt lgkmcnt(0)
	v_pk_fma_f16 v191, v186, v146, v191
	v_pk_fma_f16 v146, v187, v146, v193
	;; [unrolled: 1-line block ×16, first 2 shown]
	v_mul_u32_u24_sdwa v109, v182, v77 dst_sel:DWORD dst_unused:UNUSED_PAD src0_sel:WORD_0 src1_sel:DWORD
	v_mul_u32_u24_sdwa v131, v182, v77 dst_sel:DWORD dst_unused:UNUSED_PAD src0_sel:WORD_1 src1_sel:DWORD
	v_mul_u32_u24_sdwa v138, v183, v77 dst_sel:DWORD dst_unused:UNUSED_PAD src0_sel:WORD_0 src1_sel:DWORD
	v_mul_u32_u24_sdwa v146, v183, v77 dst_sel:DWORD dst_unused:UNUSED_PAD src0_sel:WORD_1 src1_sel:DWORD
	;; [unrolled: 2-line block ×4, first 2 shown]
	ds_read2_b64 v[182:185], v80 offset0:192 offset1:224
	s_waitcnt lgkmcnt(0)
	v_pk_fma_f16 v186, v182, v147, v186
	v_pk_fma_f16 v147, v183, v147, v191
	v_pk_fma_f16 v189, v183, v102, v192
	v_pk_fma_f16 v102, v182, v102, v193
	v_pk_fma_f16 v190, v183, v132, v190
	v_pk_fma_f16 v132, v182, v132, v194
	v_pk_fma_f16 v183, v183, v126, v187
	v_pk_fma_f16 v126, v182, v126, v188
	v_pk_fma_f16 v191, v184, v139, v186
	v_pk_fma_f16 v192, v185, v116, v189
	v_pk_fma_f16 v139, v185, v139, v147
	v_pk_fma_f16 v147, v185, v117, v190
	v_pk_fma_f16 v102, v184, v116, v102
	v_pk_fma_f16 v116, v184, v117, v132
	ds_read_b128 v[186:189], v70 offset:960
	v_pk_fma_f16 v117, v185, v5, v183
	v_pk_fma_f16 v5, v184, v5, v126
	ds_read_b128 v[182:185], v70 offset:976
	s_waitcnt lgkmcnt(1)
	v_mul_u32_u24_sdwa v126, v186, v77 dst_sel:DWORD dst_unused:UNUSED_PAD src0_sel:WORD_0 src1_sel:DWORD
	v_mul_u32_u24_sdwa v132, v186, v77 dst_sel:DWORD dst_unused:UNUSED_PAD src0_sel:WORD_1 src1_sel:DWORD
	v_mul_u32_u24_sdwa v190, v187, v77 dst_sel:DWORD dst_unused:UNUSED_PAD src0_sel:WORD_0 src1_sel:DWORD
	v_mul_u32_u24_sdwa v193, v187, v77 dst_sel:DWORD dst_unused:UNUSED_PAD src0_sel:WORD_1 src1_sel:DWORD
	v_mul_u32_u24_sdwa v194, v188, v77 dst_sel:DWORD dst_unused:UNUSED_PAD src0_sel:WORD_0 src1_sel:DWORD
	v_mul_u32_u24_sdwa v195, v188, v77 dst_sel:DWORD dst_unused:UNUSED_PAD src0_sel:WORD_1 src1_sel:DWORD
	v_mul_u32_u24_sdwa v196, v189, v77 dst_sel:DWORD dst_unused:UNUSED_PAD src0_sel:WORD_0 src1_sel:DWORD
	v_mul_u32_u24_sdwa v197, v189, v77 dst_sel:DWORD dst_unused:UNUSED_PAD src0_sel:WORD_1 src1_sel:DWORD
	s_waitcnt lgkmcnt(0)
	v_mul_u32_u24_sdwa v198, v182, v77 dst_sel:DWORD dst_unused:UNUSED_PAD src0_sel:WORD_0 src1_sel:DWORD
	v_mul_u32_u24_sdwa v199, v182, v77 dst_sel:DWORD dst_unused:UNUSED_PAD src0_sel:WORD_1 src1_sel:DWORD
	v_mul_u32_u24_sdwa v200, v183, v77 dst_sel:DWORD dst_unused:UNUSED_PAD src0_sel:WORD_0 src1_sel:DWORD
	v_mul_u32_u24_sdwa v201, v183, v77 dst_sel:DWORD dst_unused:UNUSED_PAD src0_sel:WORD_1 src1_sel:DWORD
	v_mul_u32_u24_sdwa v202, v184, v77 dst_sel:DWORD dst_unused:UNUSED_PAD src0_sel:WORD_0 src1_sel:DWORD
	v_mul_u32_u24_sdwa v203, v184, v77 dst_sel:DWORD dst_unused:UNUSED_PAD src0_sel:WORD_1 src1_sel:DWORD
	v_mul_u32_u24_sdwa v204, v185, v77 dst_sel:DWORD dst_unused:UNUSED_PAD src0_sel:WORD_0 src1_sel:DWORD
	v_mul_u32_u24_sdwa v205, v185, v77 dst_sel:DWORD dst_unused:UNUSED_PAD src0_sel:WORD_1 src1_sel:DWORD
	ds_read_b128 v[182:185], v70 offset:992
	ds_read_b128 v[186:189], v70 offset:1008
	ds_read2_b64 v[85:88], v81 offset1:32
	s_waitcnt lgkmcnt(2)
	v_mul_u32_u24_sdwa v206, v182, v77 dst_sel:DWORD dst_unused:UNUSED_PAD src0_sel:WORD_0 src1_sel:DWORD
	v_mul_u32_u24_sdwa v182, v182, v77 dst_sel:DWORD dst_unused:UNUSED_PAD src0_sel:WORD_1 src1_sel:DWORD
	s_waitcnt lgkmcnt(0)
	v_pk_fma_f16 v89, v85, v13, v191
	v_pk_fma_f16 v13, v86, v13, v139
	;; [unrolled: 1-line block ×16, first 2 shown]
	ds_read2_b64 v[5:8], v81 offset0:64 offset1:96
	v_mul_u32_u24_sdwa v207, v183, v77 dst_sel:DWORD dst_unused:UNUSED_PAD src0_sel:WORD_0 src1_sel:DWORD
	v_mul_u32_u24_sdwa v183, v183, v77 dst_sel:DWORD dst_unused:UNUSED_PAD src0_sel:WORD_1 src1_sel:DWORD
	v_mul_u32_u24_sdwa v208, v184, v77 dst_sel:DWORD dst_unused:UNUSED_PAD src0_sel:WORD_0 src1_sel:DWORD
	v_mul_u32_u24_sdwa v184, v184, v77 dst_sel:DWORD dst_unused:UNUSED_PAD src0_sel:WORD_1 src1_sel:DWORD
	;; [unrolled: 2-line block ×7, first 2 shown]
	s_waitcnt lgkmcnt(0)
	v_pk_fma_f16 v88, v5, v21, v9
	v_pk_fma_f16 v21, v6, v21, v12
	v_pk_fma_f16 v13, v6, v14, v13
	v_pk_fma_f16 v85, v6, v19, v85
	v_pk_fma_f16 v14, v5, v14, v11
	v_pk_fma_f16 v19, v5, v19, v10
	ds_read2_b64 v[9:12], v81 offset0:128 offset1:160
	v_pk_fma_f16 v6, v6, v18, v86
	v_pk_fma_f16 v5, v5, v18, v87
	;; [unrolled: 1-line block ×8, first 2 shown]
	ds_read2_b64 v[16:19], v81 offset0:192 offset1:224
	v_pk_fma_f16 v89, v8, v15, v6
	v_pk_fma_f16 v15, v7, v15, v5
	ds_read2_b64 v[5:8], v82 offset1:32
	s_waitcnt lgkmcnt(2)
	v_pk_fma_f16 v90, v9, v148, v86
	v_pk_fma_f16 v20, v10, v148, v20
	v_pk_fma_f16 v13, v10, v133, v13
	v_pk_fma_f16 v21, v10, v134, v21
	v_pk_fma_f16 v14, v9, v133, v14
	v_pk_fma_f16 v91, v9, v134, v85
	v_pk_fma_f16 v10, v10, v122, v89
	v_pk_fma_f16 v9, v9, v122, v15
	v_pk_fma_f16 v15, v11, v140, v90
	v_pk_fma_f16 v20, v12, v140, v20
	v_pk_fma_f16 v13, v12, v110, v13
	v_pk_fma_f16 v21, v12, v111, v21
	v_pk_fma_f16 v14, v11, v110, v14
	v_pk_fma_f16 v93, v11, v111, v91
	v_pk_fma_f16 v97, v12, v25, v10
	v_pk_fma_f16 v25, v11, v25, v9
	ds_read2_b64 v[85:88], v82 offset0:64 offset1:96
	s_waitcnt lgkmcnt(2)
	v_pk_fma_f16 v15, v16, v127, v15
	v_pk_fma_f16 v20, v17, v127, v20
	v_pk_fma_f16 v13, v17, v28, v13
	v_pk_fma_f16 v21, v17, v107, v21
	v_pk_fma_f16 v14, v16, v28, v14
	v_pk_fma_f16 v28, v16, v107, v93
	v_pk_fma_f16 v17, v17, v29, v97
	v_pk_fma_f16 v25, v16, v29, v25
	v_pk_fma_f16 v29, v18, v30, v15
	v_pk_fma_f16 v97, v19, v26, v13
	v_pk_fma_f16 v30, v19, v30, v20
	v_pk_fma_f16 v21, v19, v27, v21
	v_pk_fma_f16 v26, v18, v26, v14
	v_pk_fma_f16 v27, v18, v27, v28
	v_pk_fma_f16 v28, v19, v24, v17
	v_pk_fma_f16 v98, v18, v24, v25
	ds_read2_b64 v[89:92], v82 offset0:128 offset1:160
	;; [unrolled: 18-line block ×3, first 2 shown]
	s_waitcnt lgkmcnt(2)
	v_pk_fma_f16 v28, v85, v173, v28
	v_pk_fma_f16 v29, v86, v173, v29
	;; [unrolled: 1-line block ×16, first 2 shown]
	ds_read2_b64 v[93:96], v83 offset1:32
	s_waitcnt lgkmcnt(2)
	v_pk_fma_f16 v28, v89, v181, v28
	v_pk_fma_f16 v30, v90, v177, v30
	v_pk_fma_f16 v29, v90, v181, v29
	v_pk_fma_f16 v21, v90, v178, v21
	v_pk_fma_f16 v86, v90, v179, v86
	v_pk_fma_f16 v87, v89, v177, v105
	v_pk_fma_f16 v88, v89, v178, v107
	v_pk_fma_f16 v85, v89, v179, v85
	v_pk_fma_f16 v28, v91, v180, v28
	v_pk_fma_f16 v30, v92, v172, v30
	v_pk_fma_f16 v29, v92, v180, v29
	v_pk_fma_f16 v21, v92, v175, v21
	v_pk_fma_f16 v86, v92, v176, v86
	v_pk_fma_f16 v87, v91, v172, v87
	v_pk_fma_f16 v88, v91, v175, v88
	v_pk_fma_f16 v85, v91, v176, v85
	ds_read2_b64 v[13:16], v83 offset0:64 offset1:96
	s_waitcnt lgkmcnt(2)
	v_pk_fma_f16 v28, v9, v157, v28
	v_pk_fma_f16 v30, v10, v150, v30
	v_pk_fma_f16 v29, v10, v157, v29
	v_pk_fma_f16 v21, v10, v154, v21
	v_pk_fma_f16 v10, v10, v155, v86
	v_pk_fma_f16 v86, v9, v150, v87
	v_pk_fma_f16 v87, v9, v154, v88
	v_pk_fma_f16 v9, v9, v155, v85
	v_pk_fma_f16 v28, v11, v156, v28
	v_pk_fma_f16 v30, v12, v151, v30
	v_pk_fma_f16 v29, v12, v156, v29
	v_pk_fma_f16 v21, v12, v152, v21
	v_pk_fma_f16 v10, v12, v153, v10
	v_pk_fma_f16 v12, v11, v151, v86
	v_pk_fma_f16 v85, v11, v152, v87
	v_pk_fma_f16 v9, v11, v153, v9
	ds_read2_b64 v[17:20], v83 offset0:128 offset1:160
	;; [unrolled: 18-line block ×3, first 2 shown]
	s_waitcnt lgkmcnt(2)
	v_pk_fma_f16 v11, v13, v144, v11
	v_pk_fma_f16 v28, v14, v108, v28
	;; [unrolled: 1-line block ×16, first 2 shown]
	ds_read2_b64 v[97:100], v84 offset1:32
	s_waitcnt lgkmcnt(2)
	v_pk_fma_f16 v11, v17, v145, v11
	v_pk_fma_f16 v13, v18, v114, v13
	v_pk_fma_f16 v15, v18, v124, v21
	v_pk_fma_f16 v10, v18, v130, v10
	v_pk_fma_f16 v14, v18, v145, v14
	v_pk_fma_f16 v12, v17, v114, v12
	v_pk_fma_f16 v16, v17, v124, v16
	v_pk_fma_f16 v9, v17, v130, v9
	v_pk_fma_f16 v11, v19, v137, v11
	v_pk_fma_f16 v13, v20, v22, v13
	v_pk_fma_f16 v15, v20, v31, v15
	v_pk_fma_f16 v10, v20, v113, v10
	v_pk_fma_f16 v14, v20, v137, v14
	v_pk_fma_f16 v12, v19, v22, v12
	v_pk_fma_f16 v16, v19, v31, v16
	v_pk_fma_f16 v9, v19, v113, v9
	ds_read2_b64 v[5:8], v84 offset0:64 offset1:96
	s_waitcnt lgkmcnt(2)
	v_pk_fma_f16 v11, v24, v146, v11
	v_pk_fma_f16 v13, v25, v109, v13
	v_pk_fma_f16 v15, v25, v131, v15
	v_pk_fma_f16 v10, v25, v138, v10
	v_pk_fma_f16 v14, v25, v146, v14
	v_pk_fma_f16 v12, v24, v109, v12
	v_pk_fma_f16 v16, v24, v131, v16
	v_pk_fma_f16 v9, v24, v138, v9
	v_pk_fma_f16 v11, v26, v143, v11
	v_pk_fma_f16 v13, v27, v115, v13
	v_pk_fma_f16 v15, v27, v121, v15
	v_pk_fma_f16 v10, v27, v125, v10
	v_pk_fma_f16 v14, v27, v143, v14
	v_pk_fma_f16 v12, v26, v115, v12
	v_pk_fma_f16 v16, v26, v121, v16
	v_pk_fma_f16 v9, v26, v125, v9
	ds_read2_b64 v[101:104], v84 offset0:128 offset1:160
	;; [unrolled: 18-line block ×3, first 2 shown]
	s_waitcnt lgkmcnt(2)
	v_pk_fma_f16 v11, v5, v201, v11
	v_pk_fma_f16 v13, v6, v198, v13
	;; [unrolled: 1-line block ×8, first 2 shown]
	s_waitcnt lgkmcnt(0)
	s_barrier
	buffer_gl0_inv
	s_load_dword s0, s[22:23], 0x4
	v_pk_fma_f16 v9, v7, v205, v11
	v_pk_fma_f16 v11, v8, v202, v13
	;; [unrolled: 1-line block ×32, first 2 shown]
	s_waitcnt lgkmcnt(0)
	s_lshl_b32 s0, s0, 7
	v_pk_fma_f16 v22, v161, v189, v7
	v_pk_fma_f16 v28, v162, v212, v9
	;; [unrolled: 1-line block ×8, first 2 shown]
	s_add_i32 s26, s0, s26
	s_cmp_ge_i32 s26, s42
	s_cbranch_scc0 .LBB21_9
; %bb.10:
	v_mov_b32_e32 v5, v53
.LBB21_11:
	v_cmp_lt_i32_e32 vcc_lo, v59, v54
	s_cmp_lg_u64 s[24:25], 0
	s_cselect_b32 s0, -1, 0
	s_cmp_eq_u32 s34, 0
	v_cndmask_b32_e32 v6, v5, v59, vcc_lo
	v_cmp_lt_i32_e32 vcc_lo, v58, v54
	s_cselect_b32 s1, -1, 0
	s_and_b32 s0, s1, s0
	v_lshlrev_b32_e32 v6, 2, v6
	v_cndmask_b32_e32 v10, v5, v58, vcc_lo
	v_cmp_lt_i32_e32 vcc_lo, v57, v54
	ds_bpermute_b32 v7, v6, v63
	ds_bpermute_b32 v8, v6, v62
	;; [unrolled: 1-line block ×4, first 2 shown]
	v_lshlrev_b32_e32 v10, 2, v10
	v_cndmask_b32_e32 v14, v5, v57, vcc_lo
	v_cmp_lt_i32_e32 vcc_lo, v56, v54
	v_lshlrev_b32_e32 v14, 2, v14
	s_waitcnt lgkmcnt(3)
	v_add_f32_e32 v7, v63, v7
	s_waitcnt lgkmcnt(2)
	v_add_f32_e32 v8, v62, v8
	;; [unrolled: 2-line block ×4, first 2 shown]
	ds_bpermute_b32 v11, v10, v7
	ds_bpermute_b32 v12, v10, v8
	ds_bpermute_b32 v13, v10, v9
	ds_bpermute_b32 v10, v10, v6
	s_waitcnt lgkmcnt(3)
	v_add_f32_e32 v7, v7, v11
	s_waitcnt lgkmcnt(2)
	v_add_f32_e32 v8, v8, v12
	;; [unrolled: 2-line block ×4, first 2 shown]
	ds_bpermute_b32 v10, v14, v7
	ds_bpermute_b32 v11, v14, v8
	;; [unrolled: 1-line block ×4, first 2 shown]
	v_cndmask_b32_e32 v14, v5, v56, vcc_lo
	v_cmp_lt_i32_e32 vcc_lo, v55, v54
	v_lshlrev_b32_e32 v14, 2, v14
	v_cndmask_b32_e32 v5, v5, v55, vcc_lo
	s_and_b32 vcc_lo, exec_lo, s0
	v_lshlrev_b32_e32 v5, 2, v5
	s_waitcnt lgkmcnt(3)
	v_add_f32_e32 v7, v7, v10
	s_waitcnt lgkmcnt(2)
	v_add_f32_e32 v8, v8, v11
	;; [unrolled: 2-line block ×4, first 2 shown]
	ds_bpermute_b32 v10, v14, v7
	ds_bpermute_b32 v11, v14, v8
	;; [unrolled: 1-line block ×4, first 2 shown]
	s_waitcnt lgkmcnt(3)
	v_add_f32_e32 v7, v7, v10
	s_waitcnt lgkmcnt(2)
	v_add_f32_e32 v8, v8, v11
	;; [unrolled: 2-line block ×4, first 2 shown]
	ds_bpermute_b32 v6, v5, v7
	ds_bpermute_b32 v11, v5, v8
	;; [unrolled: 1-line block ×4, first 2 shown]
	s_waitcnt lgkmcnt(3)
	v_add_f32_e32 v5, v7, v6
	s_waitcnt lgkmcnt(2)
	v_add_f32_e32 v6, v8, v11
	;; [unrolled: 2-line block ×4, first 2 shown]
	s_cbranch_vccz .LBB21_14
; %bb.12:
	s_ashr_i32 s41, s40, 31
	v_mov_b32_e32 v9, 0
	s_lshl_b64 s[0:1], s[40:41], 2
	v_max_f32_e32 v13, v1, v1
	s_add_u32 s0, s24, s0
	s_addc_u32 s1, s25, s1
	v_max_f32_e32 v14, v2, v2
	global_load_dwordx4 v[9:12], v9, s[0:1]
	v_max_f32_e32 v15, v3, v3
	v_max_f32_e32 v17, v4, v4
	v_mov_b32_e32 v29, 0x10001
	s_waitcnt vmcnt(0)
	v_max_f32_e32 v16, v9, v9
	v_max_f32_e32 v18, v10, v10
	;; [unrolled: 1-line block ×8, first 2 shown]
	v_sub_f32_e32 v17, v1, v13
	v_sub_f32_e32 v18, v2, v14
	;; [unrolled: 1-line block ×4, first 2 shown]
	v_mov_b32_e32 v1, v13
	v_sub_f32_e32 v9, v9, v13
	v_mov_b32_e32 v2, v14
	v_mov_b32_e32 v3, v15
	;; [unrolled: 1-line block ×3, first 2 shown]
	v_mul_f32_e32 v13, 0x3fb8aa3b, v17
	v_sub_f32_e32 v10, v10, v14
	v_mul_f32_e32 v14, 0x3fb8aa3b, v9
	v_sub_f32_e32 v11, v11, v15
	v_mul_f32_e32 v15, 0x3fb8aa3b, v18
	v_fma_f32 v35, 0x3fb8aa3b, v17, -v13
	v_rndne_f32_e32 v36, v13
	v_fma_f32 v37, 0x3fb8aa3b, v9, -v14
	v_rndne_f32_e32 v38, v14
	v_sub_f32_e32 v12, v12, v16
	v_fmac_f32_e32 v35, 0x32a5705f, v17
	v_sub_f32_e32 v13, v13, v36
	v_mul_f32_e32 v16, 0x3fb8aa3b, v10
	v_fma_f32 v39, 0x3fb8aa3b, v18, -v15
	v_rndne_f32_e32 v40, v15
	v_fmac_f32_e32 v37, 0x32a5705f, v9
	v_sub_f32_e32 v14, v14, v38
	v_add_f32_e32 v13, v13, v35
	v_mul_f32_e32 v30, 0x3fb8aa3b, v19
	v_fma_f32 v41, 0x3fb8aa3b, v10, -v16
	v_rndne_f32_e32 v42, v16
	v_fmac_f32_e32 v39, 0x32a5705f, v18
	v_sub_f32_e32 v15, v15, v40
	v_add_f32_e32 v14, v14, v37
	v_exp_f32_e32 v13, v13
	v_mul_f32_e32 v31, 0x3fb8aa3b, v11
	v_fma_f32 v43, 0x3fb8aa3b, v19, -v30
	v_rndne_f32_e32 v44, v30
	v_cvt_i32_f32_e32 v36, v36
	v_fmac_f32_e32 v41, 0x32a5705f, v10
	v_sub_f32_e32 v16, v16, v42
	v_add_f32_e32 v15, v15, v39
	v_exp_f32_e32 v14, v14
	v_mul_f32_e32 v33, 0x3fb8aa3b, v20
	v_fma_f32 v45, 0x3fb8aa3b, v11, -v31
	v_rndne_f32_e32 v46, v31
	v_cvt_i32_f32_e32 v38, v38
	v_fmac_f32_e32 v43, 0x32a5705f, v19
	v_sub_f32_e32 v30, v30, v44
	v_add_f32_e32 v16, v16, v41
	v_exp_f32_e32 v15, v15
	v_ldexp_f32 v13, v13, v36
	v_cmp_ngt_f32_e32 vcc_lo, 0xc2ce8ed0, v17
	v_mul_f32_e32 v34, 0x3fb8aa3b, v12
	v_fma_f32 v47, 0x3fb8aa3b, v20, -v33
	v_rndne_f32_e32 v48, v33
	v_cvt_i32_f32_e32 v40, v40
	v_fmac_f32_e32 v45, 0x32a5705f, v11
	v_sub_f32_e32 v31, v31, v46
	v_add_f32_e32 v30, v30, v43
	v_exp_f32_e32 v16, v16
	v_ldexp_f32 v14, v14, v38
	v_cndmask_b32_e32 v13, 0, v13, vcc_lo
	v_cmp_ngt_f32_e32 vcc_lo, 0xc2ce8ed0, v9
	v_fma_f32 v49, 0x3fb8aa3b, v12, -v34
	v_rndne_f32_e32 v51, v34
	v_cvt_i32_f32_e32 v42, v42
	v_fmac_f32_e32 v47, 0x32a5705f, v20
	v_sub_f32_e32 v33, v33, v48
	v_add_f32_e32 v31, v31, v45
	v_exp_f32_e32 v30, v30
	v_ldexp_f32 v15, v15, v40
	v_cndmask_b32_e32 v14, 0, v14, vcc_lo
	v_cmp_ngt_f32_e32 vcc_lo, 0xc2ce8ed0, v18
	v_cvt_i32_f32_e32 v44, v44
	v_fmac_f32_e32 v49, 0x32a5705f, v12
	v_sub_f32_e32 v34, v34, v51
	v_add_f32_e32 v33, v33, v47
	v_exp_f32_e32 v31, v31
	v_ldexp_f32 v16, v16, v42
	v_cndmask_b32_e32 v15, 0, v15, vcc_lo
	v_cmp_ngt_f32_e32 vcc_lo, 0xc2ce8ed0, v10
	v_cvt_i32_f32_e32 v46, v46
	v_add_f32_e32 v34, v34, v49
	v_exp_f32_e32 v33, v33
	v_ldexp_f32 v30, v30, v44
	v_cndmask_b32_e32 v16, 0, v16, vcc_lo
	v_cmp_ngt_f32_e32 vcc_lo, 0xc2ce8ed0, v19
	v_exp_f32_e32 v34, v34
	v_cvt_i32_f32_e32 v35, v48
	v_ldexp_f32 v31, v31, v46
	v_cvt_i32_f32_e32 v37, v51
	v_cndmask_b32_e32 v30, 0, v30, vcc_lo
	v_cmp_ngt_f32_e32 vcc_lo, 0xc2ce8ed0, v11
	v_ldexp_f32 v33, v33, v35
	v_cndmask_b32_e32 v31, 0, v31, vcc_lo
	v_cmp_ngt_f32_e32 vcc_lo, 0xc2ce8ed0, v20
	v_ldexp_f32 v34, v34, v37
	v_cndmask_b32_e32 v33, 0, v33, vcc_lo
	v_cmp_ngt_f32_e32 vcc_lo, 0xc2ce8ed0, v12
	v_cndmask_b32_e32 v34, 0, v34, vcc_lo
	v_cmp_nlt_f32_e32 vcc_lo, 0x42b17218, v17
	v_cndmask_b32_e32 v13, 0x7f800000, v13, vcc_lo
	v_cmp_nlt_f32_e32 vcc_lo, 0x42b17218, v9
	;; [unrolled: 2-line block ×3, first 2 shown]
	v_fmac_f32_e32 v9, v5, v13
	v_cndmask_b32_e32 v14, 0x7f800000, v15, vcc_lo
	v_cmp_nlt_f32_e32 vcc_lo, 0x42b17218, v10
	v_cvt_f16_f32_e32 v5, v13
	v_cndmask_b32_e32 v10, 0x7f800000, v16, vcc_lo
	v_cmp_nlt_f32_e32 vcc_lo, 0x42b17218, v19
	v_fmac_f32_e32 v10, v6, v14
	v_cndmask_b32_e32 v15, 0x7f800000, v30, vcc_lo
	v_cmp_nlt_f32_e32 vcc_lo, 0x42b17218, v11
	v_cvt_f16_f32_e32 v6, v14
	v_cndmask_b32_e32 v11, 0x7f800000, v31, vcc_lo
	v_cmp_nlt_f32_e32 vcc_lo, 0x42b17218, v20
	v_mul_u32_u24_sdwa v14, v6, v29 dst_sel:DWORD dst_unused:UNUSED_PAD src0_sel:WORD_0 src1_sel:DWORD
	v_mov_b32_e32 v6, v10
	v_fmac_f32_e32 v11, v7, v15
	v_cndmask_b32_e32 v16, 0x7f800000, v33, vcc_lo
	v_cmp_nlt_f32_e32 vcc_lo, 0x42b17218, v12
	v_cvt_f16_f32_e32 v7, v15
	v_pk_mul_f16 v26, v26, v14
	v_pk_mul_f16 v25, v25, v14
	v_cvt_f16_f32_e32 v13, v16
	v_cndmask_b32_e32 v12, 0x7f800000, v34, vcc_lo
	v_mul_u32_u24_sdwa v15, v7, v29 dst_sel:DWORD dst_unused:UNUSED_PAD src0_sel:WORD_0 src1_sel:DWORD
	v_mov_b32_e32 v7, v11
	v_mul_u32_u24_sdwa v13, v13, v29 dst_sel:DWORD dst_unused:UNUSED_PAD src0_sel:WORD_0 src1_sel:DWORD
	v_fmac_f32_e32 v12, v8, v16
	v_mul_u32_u24_sdwa v8, v5, v29 dst_sel:DWORD dst_unused:UNUSED_PAD src0_sel:WORD_0 src1_sel:DWORD
	v_mov_b32_e32 v5, v9
	v_pk_mul_f16 v24, v24, v15
	v_pk_mul_f16 v23, v23, v15
	;; [unrolled: 1-line block ×6, first 2 shown]
	v_mov_b32_e32 v8, v12
	s_mov_b32 s0, exec_lo
	v_cmpx_gt_i32_e64 s38, v32
	s_cbranch_execnz .LBB21_15
.LBB21_13:
	s_endpgm
.LBB21_14:
	v_mov_b32_e32 v12, v8
	v_mov_b32_e32 v11, v7
	;; [unrolled: 1-line block ×4, first 2 shown]
	s_mov_b32 s0, exec_lo
	v_cmpx_gt_i32_e64 s38, v32
	s_cbranch_execz .LBB21_13
.LBB21_15:
	s_load_dword s1, s[4:5], 0xd4
	v_mov_b32_e32 v15, 1.0
	s_waitcnt lgkmcnt(0)
	s_cmp_lg_u32 s1, 1
	s_cselect_b32 s3, -1, 0
	s_cmp_eq_u32 s1, 1
	s_cselect_b32 s2, -1, 0
	s_and_b32 vcc_lo, exec_lo, s3
	s_cbranch_vccnz .LBB21_17
; %bb.16:
	v_div_scale_f32 v13, null, v5, v5, 1.0
	v_rcp_f32_e32 v14, v13
	v_fma_f32 v15, -v13, v14, 1.0
	v_fmac_f32_e32 v14, v15, v14
	v_div_scale_f32 v15, vcc_lo, 1.0, v5, 1.0
	v_mul_f32_e32 v16, v15, v14
	v_fma_f32 v17, -v13, v16, v15
	v_fmac_f32_e32 v16, v17, v14
	v_fma_f32 v13, -v13, v16, v15
	v_div_fmas_f32 v13, v13, v14, v16
	v_div_fixup_f32 v15, v13, v5, 1.0
.LBB21_17:
	v_mad_u64_u32 v[13:14], null, s33, s38, v[32:33]
	v_mov_b32_e32 v17, 0
	v_cmp_eq_u32_e32 vcc_lo, 0, v0
	v_cvt_f32_f16_e32 v0, v27
	v_cvt_f32_f16_sdwa v5, v27 dst_sel:DWORD dst_unused:UNUSED_PAD src0_sel:WORD_1
	v_cvt_f32_f16_sdwa v19, v28 dst_sel:DWORD dst_unused:UNUSED_PAD src0_sel:WORD_1
	v_mad_u64_u32 v[13:14], null, v13, s39, s[40:41]
	v_mul_f32_e32 v19, v15, v19
	v_mad_u64_u32 v[13:14], null, s1, v13, s[34:35]
	v_cvt_f32_f16_e32 v14, v28
	v_mul_f32_e32 v18, v15, v14
	v_lshl_add_u32 v16, v13, 7, v50
	v_lshlrev_b64 v[27:28], 2, v[16:17]
	v_mul_f32_e32 v16, v15, v0
	v_mul_f32_e32 v17, v15, v5
	v_add_co_u32 v14, s0, s28, v27
	v_add_co_ci_u32_e64 v15, null, s29, v28, s0
	s_and_b32 s0, vcc_lo, s3
	global_store_dwordx4 v[14:15], v[16:19], off
	s_and_saveexec_b32 s3, s0
	s_cbranch_execz .LBB21_19
; %bb.18:
	v_ashrrev_i32_e32 v14, 31, v13
	v_mov_b32_e32 v0, v1
	v_mov_b32_e32 v1, v9
	v_lshlrev_b64 v[14:15], 3, v[13:14]
	v_add_co_u32 v14, vcc_lo, s30, v14
	v_add_co_ci_u32_e64 v15, null, s31, v15, vcc_lo
	global_store_dwordx2 v[14:15], v[0:1], off
.LBB21_19:
	s_or_b32 exec_lo, exec_lo, s3
	v_cndmask_b32_e64 v5, 0, 1, s2
	v_mov_b32_e32 v1, 1.0
	s_andn2_b32 vcc_lo, exec_lo, s2
	s_cbranch_vccnz .LBB21_21
; %bb.20:
	v_div_scale_f32 v0, null, v6, v6, 1.0
	v_rcp_f32_e32 v1, v0
	v_fma_f32 v9, -v0, v1, 1.0
	v_fmac_f32_e32 v1, v9, v1
	v_div_scale_f32 v9, vcc_lo, 1.0, v6, 1.0
	v_mul_f32_e32 v14, v9, v1
	v_fma_f32 v15, -v0, v14, v9
	v_fmac_f32_e32 v14, v15, v1
	v_fma_f32 v0, -v0, v14, v9
	v_div_fmas_f32 v0, v0, v1, v14
	v_div_fixup_f32 v1, v0, v6, 1.0
.LBB21_21:
	v_add_nc_u32_e32 v0, s1, v13
	v_mov_b32_e32 v14, 0
	v_cvt_f32_f16_e32 v6, v26
	v_cvt_f32_f16_sdwa v9, v26 dst_sel:DWORD dst_unused:UNUSED_PAD src0_sel:WORD_1
	v_cvt_f32_f16_e32 v15, v25
	v_lshl_add_u32 v13, v0, 7, v50
	v_cvt_f32_f16_sdwa v16, v25 dst_sel:DWORD dst_unused:UNUSED_PAD src0_sel:WORD_1
	v_mul_f32_e32 v15, v1, v15
	v_lshlrev_b64 v[17:18], 2, v[13:14]
	v_mul_f32_e32 v13, v1, v6
	v_mul_f32_e32 v14, v1, v9
	;; [unrolled: 1-line block ×3, first 2 shown]
	v_add_co_u32 v17, vcc_lo, s28, v17
	v_add_co_ci_u32_e64 v18, null, s29, v18, vcc_lo
	global_store_dwordx4 v[17:18], v[13:16], off
	s_and_saveexec_b32 s2, s0
	s_cbranch_execz .LBB21_23
; %bb.22:
	v_ashrrev_i32_e32 v1, 31, v0
	v_mov_b32_e32 v9, v2
	v_lshlrev_b64 v[13:14], 3, v[0:1]
	v_add_co_u32 v13, vcc_lo, s30, v13
	v_add_co_ci_u32_e64 v14, null, s31, v14, vcc_lo
	global_store_dwordx2 v[13:14], v[9:10], off
.LBB21_23:
	s_or_b32 exec_lo, exec_lo, s2
	v_cmp_ne_u32_e32 vcc_lo, 1, v5
	v_mov_b32_e32 v1, 1.0
	s_cbranch_vccnz .LBB21_25
; %bb.24:
	v_div_scale_f32 v1, null, v7, v7, 1.0
	v_rcp_f32_e32 v2, v1
	v_fma_f32 v6, -v1, v2, 1.0
	v_fmac_f32_e32 v2, v6, v2
	v_div_scale_f32 v6, vcc_lo, 1.0, v7, 1.0
	v_mul_f32_e32 v9, v6, v2
	v_fma_f32 v10, -v1, v9, v6
	v_fmac_f32_e32 v9, v10, v2
	v_fma_f32 v1, -v1, v9, v6
	v_div_fmas_f32 v1, v1, v2, v9
	v_div_fixup_f32 v1, v1, v7, 1.0
.LBB21_25:
	v_add_nc_u32_e32 v0, s1, v0
	v_mov_b32_e32 v7, 0
	v_cvt_f32_f16_e32 v2, v24
	v_cvt_f32_f16_sdwa v9, v24 dst_sel:DWORD dst_unused:UNUSED_PAD src0_sel:WORD_1
	v_cvt_f32_f16_e32 v10, v23
	v_lshl_add_u32 v6, v0, 7, v50
	v_cvt_f32_f16_sdwa v16, v23 dst_sel:DWORD dst_unused:UNUSED_PAD src0_sel:WORD_1
	v_mul_f32_e32 v13, v1, v2
	v_mul_f32_e32 v14, v1, v9
	;; [unrolled: 1-line block ×3, first 2 shown]
	v_lshlrev_b64 v[6:7], 2, v[6:7]
	v_mul_f32_e32 v16, v1, v16
	v_add_co_u32 v1, vcc_lo, s28, v6
	v_add_co_ci_u32_e64 v2, null, s29, v7, vcc_lo
	global_store_dwordx4 v[1:2], v[13:16], off
	s_and_saveexec_b32 s2, s0
	s_cbranch_execz .LBB21_27
; %bb.26:
	v_ashrrev_i32_e32 v1, 31, v0
	v_mov_b32_e32 v10, v3
	v_lshlrev_b64 v[1:2], 3, v[0:1]
	v_add_co_u32 v1, vcc_lo, s30, v1
	v_add_co_ci_u32_e64 v2, null, s31, v2, vcc_lo
	global_store_dwordx2 v[1:2], v[10:11], off
.LBB21_27:
	s_or_b32 exec_lo, exec_lo, s2
	v_cmp_ne_u32_e32 vcc_lo, 1, v5
	v_mov_b32_e32 v1, 1.0
	s_cbranch_vccnz .LBB21_29
; %bb.28:
	v_div_scale_f32 v1, null, v8, v8, 1.0
	v_rcp_f32_e32 v2, v1
	v_fma_f32 v3, -v1, v2, 1.0
	v_fmac_f32_e32 v2, v3, v2
	v_div_scale_f32 v3, vcc_lo, 1.0, v8, 1.0
	v_mul_f32_e32 v5, v3, v2
	v_fma_f32 v6, -v1, v5, v3
	v_fmac_f32_e32 v5, v6, v2
	v_fma_f32 v1, -v1, v5, v3
	v_div_fmas_f32 v1, v1, v2, v5
	v_div_fixup_f32 v1, v1, v8, 1.0
.LBB21_29:
	v_add_nc_u32_e32 v0, s1, v0
	v_mov_b32_e32 v3, 0
	v_cvt_f32_f16_e32 v5, v22
	v_cvt_f32_f16_sdwa v6, v22 dst_sel:DWORD dst_unused:UNUSED_PAD src0_sel:WORD_1
	v_cvt_f32_f16_e32 v7, v21
	v_lshl_add_u32 v2, v0, 7, v50
	v_cvt_f32_f16_sdwa v8, v21 dst_sel:DWORD dst_unused:UNUSED_PAD src0_sel:WORD_1
	v_mul_f32_e32 v5, v1, v5
	v_mul_f32_e32 v6, v1, v6
	;; [unrolled: 1-line block ×3, first 2 shown]
	v_lshlrev_b64 v[2:3], 2, v[2:3]
	v_mul_f32_e32 v8, v1, v8
	v_add_co_u32 v1, vcc_lo, s28, v2
	v_add_co_ci_u32_e64 v2, null, s29, v3, vcc_lo
	global_store_dwordx4 v[1:2], v[5:8], off
	s_and_b32 exec_lo, exec_lo, s0
	s_cbranch_execz .LBB21_13
; %bb.30:
	v_ashrrev_i32_e32 v1, 31, v0
	v_mov_b32_e32 v11, v4
	v_lshlrev_b64 v[0:1], 3, v[0:1]
	v_add_co_u32 v0, vcc_lo, s30, v0
	v_add_co_ci_u32_e64 v1, null, s31, v1, vcc_lo
	global_store_dwordx2 v[0:1], v[11:12], off
	s_endpgm
	.section	.rodata,"a",@progbits
	.p2align	6, 0x0
	.amdhsa_kernel _ZL15flash_attn_tileILi128ELi128ELi8ELi4ELb0EEvPKcS1_S1_S1_S1_PKiPfP15HIP_vector_typeIfLj2EEffffjfiS5_IjLj3EEiiiiiiiiiiiliiliiiiil
		.amdhsa_group_segment_fixed_size 34816
		.amdhsa_private_segment_fixed_size 0
		.amdhsa_kernarg_size 464
		.amdhsa_user_sgpr_count 6
		.amdhsa_user_sgpr_private_segment_buffer 1
		.amdhsa_user_sgpr_dispatch_ptr 0
		.amdhsa_user_sgpr_queue_ptr 0
		.amdhsa_user_sgpr_kernarg_segment_ptr 1
		.amdhsa_user_sgpr_dispatch_id 0
		.amdhsa_user_sgpr_flat_scratch_init 0
		.amdhsa_user_sgpr_private_segment_size 0
		.amdhsa_wavefront_size32 1
		.amdhsa_uses_dynamic_stack 0
		.amdhsa_system_sgpr_private_segment_wavefront_offset 0
		.amdhsa_system_sgpr_workgroup_id_x 1
		.amdhsa_system_sgpr_workgroup_id_y 1
		.amdhsa_system_sgpr_workgroup_id_z 1
		.amdhsa_system_sgpr_workgroup_info 0
		.amdhsa_system_vgpr_workitem_id 1
		.amdhsa_next_free_vgpr 221
		.amdhsa_next_free_sgpr 48
		.amdhsa_reserve_vcc 1
		.amdhsa_reserve_flat_scratch 0
		.amdhsa_float_round_mode_32 0
		.amdhsa_float_round_mode_16_64 0
		.amdhsa_float_denorm_mode_32 3
		.amdhsa_float_denorm_mode_16_64 3
		.amdhsa_dx10_clamp 1
		.amdhsa_ieee_mode 1
		.amdhsa_fp16_overflow 0
		.amdhsa_workgroup_processor_mode 1
		.amdhsa_memory_ordered 1
		.amdhsa_forward_progress 1
		.amdhsa_shared_vgpr_count 0
		.amdhsa_exception_fp_ieee_invalid_op 0
		.amdhsa_exception_fp_denorm_src 0
		.amdhsa_exception_fp_ieee_div_zero 0
		.amdhsa_exception_fp_ieee_overflow 0
		.amdhsa_exception_fp_ieee_underflow 0
		.amdhsa_exception_fp_ieee_inexact 0
		.amdhsa_exception_int_div_zero 0
	.end_amdhsa_kernel
	.section	.text._ZL15flash_attn_tileILi128ELi128ELi8ELi4ELb0EEvPKcS1_S1_S1_S1_PKiPfP15HIP_vector_typeIfLj2EEffffjfiS5_IjLj3EEiiiiiiiiiiiliiliiiiil,"axG",@progbits,_ZL15flash_attn_tileILi128ELi128ELi8ELi4ELb0EEvPKcS1_S1_S1_S1_PKiPfP15HIP_vector_typeIfLj2EEffffjfiS5_IjLj3EEiiiiiiiiiiiliiliiiiil,comdat
.Lfunc_end21:
	.size	_ZL15flash_attn_tileILi128ELi128ELi8ELi4ELb0EEvPKcS1_S1_S1_S1_PKiPfP15HIP_vector_typeIfLj2EEffffjfiS5_IjLj3EEiiiiiiiiiiiliiliiiiil, .Lfunc_end21-_ZL15flash_attn_tileILi128ELi128ELi8ELi4ELb0EEvPKcS1_S1_S1_S1_PKiPfP15HIP_vector_typeIfLj2EEffffjfiS5_IjLj3EEiiiiiiiiiiiliiliiiiil
                                        ; -- End function
	.set _ZL15flash_attn_tileILi128ELi128ELi8ELi4ELb0EEvPKcS1_S1_S1_S1_PKiPfP15HIP_vector_typeIfLj2EEffffjfiS5_IjLj3EEiiiiiiiiiiiliiliiiiil.num_vgpr, 221
	.set _ZL15flash_attn_tileILi128ELi128ELi8ELi4ELb0EEvPKcS1_S1_S1_S1_PKiPfP15HIP_vector_typeIfLj2EEffffjfiS5_IjLj3EEiiiiiiiiiiiliiliiiiil.num_agpr, 0
	.set _ZL15flash_attn_tileILi128ELi128ELi8ELi4ELb0EEvPKcS1_S1_S1_S1_PKiPfP15HIP_vector_typeIfLj2EEffffjfiS5_IjLj3EEiiiiiiiiiiiliiliiiiil.numbered_sgpr, 48
	.set _ZL15flash_attn_tileILi128ELi128ELi8ELi4ELb0EEvPKcS1_S1_S1_S1_PKiPfP15HIP_vector_typeIfLj2EEffffjfiS5_IjLj3EEiiiiiiiiiiiliiliiiiil.num_named_barrier, 0
	.set _ZL15flash_attn_tileILi128ELi128ELi8ELi4ELb0EEvPKcS1_S1_S1_S1_PKiPfP15HIP_vector_typeIfLj2EEffffjfiS5_IjLj3EEiiiiiiiiiiiliiliiiiil.private_seg_size, 0
	.set _ZL15flash_attn_tileILi128ELi128ELi8ELi4ELb0EEvPKcS1_S1_S1_S1_PKiPfP15HIP_vector_typeIfLj2EEffffjfiS5_IjLj3EEiiiiiiiiiiiliiliiiiil.uses_vcc, 1
	.set _ZL15flash_attn_tileILi128ELi128ELi8ELi4ELb0EEvPKcS1_S1_S1_S1_PKiPfP15HIP_vector_typeIfLj2EEffffjfiS5_IjLj3EEiiiiiiiiiiiliiliiiiil.uses_flat_scratch, 0
	.set _ZL15flash_attn_tileILi128ELi128ELi8ELi4ELb0EEvPKcS1_S1_S1_S1_PKiPfP15HIP_vector_typeIfLj2EEffffjfiS5_IjLj3EEiiiiiiiiiiiliiliiiiil.has_dyn_sized_stack, 0
	.set _ZL15flash_attn_tileILi128ELi128ELi8ELi4ELb0EEvPKcS1_S1_S1_S1_PKiPfP15HIP_vector_typeIfLj2EEffffjfiS5_IjLj3EEiiiiiiiiiiiliiliiiiil.has_recursion, 0
	.set _ZL15flash_attn_tileILi128ELi128ELi8ELi4ELb0EEvPKcS1_S1_S1_S1_PKiPfP15HIP_vector_typeIfLj2EEffffjfiS5_IjLj3EEiiiiiiiiiiiliiliiiiil.has_indirect_call, 0
	.section	.AMDGPU.csdata,"",@progbits
; Kernel info:
; codeLenInByte = 44240
; TotalNumSgprs: 50
; NumVgprs: 221
; ScratchSize: 0
; MemoryBound: 0
; FloatMode: 240
; IeeeMode: 1
; LDSByteSize: 34816 bytes/workgroup (compile time only)
; SGPRBlocks: 0
; VGPRBlocks: 27
; NumSGPRsForWavesPerEU: 50
; NumVGPRsForWavesPerEU: 221
; Occupancy: 4
; WaveLimiterHint : 1
; COMPUTE_PGM_RSRC2:SCRATCH_EN: 0
; COMPUTE_PGM_RSRC2:USER_SGPR: 6
; COMPUTE_PGM_RSRC2:TRAP_HANDLER: 0
; COMPUTE_PGM_RSRC2:TGID_X_EN: 1
; COMPUTE_PGM_RSRC2:TGID_Y_EN: 1
; COMPUTE_PGM_RSRC2:TGID_Z_EN: 1
; COMPUTE_PGM_RSRC2:TIDIG_COMP_CNT: 1
	.section	.text._ZL33flash_attn_stream_k_fixup_uniformILi128ELi8ELi4EEvPfPK15HIP_vector_typeIfLj2EEiiiiiiS1_IjLj3EES5_S5_,"axG",@progbits,_ZL33flash_attn_stream_k_fixup_uniformILi128ELi8ELi4EEvPfPK15HIP_vector_typeIfLj2EEiiiiiiS1_IjLj3EES5_S5_,comdat
	.globl	_ZL33flash_attn_stream_k_fixup_uniformILi128ELi8ELi4EEvPfPK15HIP_vector_typeIfLj2EEiiiiiiS1_IjLj3EES5_S5_ ; -- Begin function _ZL33flash_attn_stream_k_fixup_uniformILi128ELi8ELi4EEvPfPK15HIP_vector_typeIfLj2EEiiiiiiS1_IjLj3EES5_S5_
	.p2align	8
	.type	_ZL33flash_attn_stream_k_fixup_uniformILi128ELi8ELi4EEvPfPK15HIP_vector_typeIfLj2EEiiiiiiS1_IjLj3EES5_S5_,@function
_ZL33flash_attn_stream_k_fixup_uniformILi128ELi8ELi4EEvPfPK15HIP_vector_typeIfLj2EEiiiiiiS1_IjLj3EES5_S5_: ; @_ZL33flash_attn_stream_k_fixup_uniformILi128ELi8ELi4EEvPfPK15HIP_vector_typeIfLj2EEiiiiiiS1_IjLj3EES5_S5_
; %bb.0:
	s_clause 0x2
	s_load_dwordx8 s[12:19], s[4:5], 0x1c
	s_load_dwordx4 s[20:23], s[4:5], 0x3c
	s_load_dwordx2 s[10:11], s[4:5], 0x10
	s_waitcnt lgkmcnt(0)
	s_mul_hi_u32 s0, s15, s6
	s_add_i32 s0, s6, s0
	s_lshr_b32 s0, s0, s16
	s_mul_i32 s1, s0, s17
	s_sub_i32 s2, s6, s1
	s_mul_hi_u32 s1, s2, s18
	s_add_i32 s1, s2, s1
	s_lshr_b32 s1, s1, s19
	s_mul_i32 s3, s1, s20
	s_sub_i32 s2, s2, s3
	s_mul_hi_u32 s3, s2, s21
	s_add_i32 s3, s2, s3
	s_lshr_b32 s3, s3, s22
	s_mul_i32 s9, s3, s23
	s_lshl_b32 s15, s3, 2
	s_sub_i32 s9, s2, s9
	s_lshl_b32 s2, s9, 3
	s_add_i32 s2, s2, s7
	s_cmp_lt_i32 s2, s10
	s_cselect_b32 s2, -1, 0
	s_add_i32 s3, s15, s8
	s_cmp_lt_i32 s3, s13
	s_cselect_b32 s3, -1, 0
	s_and_b32 s2, s2, s3
	s_andn2_b32 vcc_lo, exec_lo, s2
	s_cbranch_vccnz .LBB22_6
; %bb.1:
	s_mul_i32 s0, s0, s10
	s_mul_i32 s10, s1, s13
	s_add_i32 s0, s0, s7
	s_mul_i32 s0, s0, s11
	s_add_i32 s13, s0, s8
	s_load_dwordx4 s[0:3], s[4:5], 0x0
	s_add_i32 s4, s13, s10
	s_mul_i32 s5, s11, s9
	s_add_i32 s4, s4, s15
	s_lshl_b32 s5, s5, 10
	s_lshl_b32 s4, s4, 7
	;; [unrolled: 1-line block ×3, first 2 shown]
	s_add_i32 s5, s5, s4
	s_mul_i32 s4, s14, s6
	v_or_b32_e32 v1, s5, v0
	s_add_i32 s11, s4, s14
	v_ashrrev_i32_e32 v2, 31, v1
	v_lshlrev_b64 v[1:2], 2, v[1:2]
	s_waitcnt lgkmcnt(0)
	v_add_co_u32 v1, vcc_lo, s0, v1
	v_add_co_ci_u32_e64 v2, null, s1, v2, vcc_lo
	s_add_i32 s0, s10, s8
	s_lshl_b32 s1, s11, 5
	s_add_i32 s0, s0, s1
	global_load_dword v5, v[1:2], off
	s_sub_i32 s0, s0, 32
	s_ashr_i32 s1, s0, 31
	s_lshl_b64 s[0:1], s[0:1], 3
	s_add_u32 s0, s2, s0
	s_addc_u32 s1, s3, s1
	s_add_i32 s5, s11, -2
	s_load_dword s13, s[0:1], 0x4
	s_cmp_lt_i32 s5, s4
	s_cbranch_scc1 .LBB22_4
; %bb.2:
	s_lshl_b32 s16, s12, 7
	s_load_dword s15, s[0:1], 0x0
	s_ashr_i32 s17, s16, 31
	s_waitcnt lgkmcnt(0)
	v_mov_b32_e32 v6, s13
	s_lshl_b64 s[0:1], s[16:17], 2
	s_add_u32 s5, s2, s0
	s_addc_u32 s9, s3, s1
	s_add_i32 s6, s6, 1
	s_lshl_b32 s0, s7, 9
	s_lshl_b32 s1, s8, 7
	s_mul_i32 s6, s14, s6
	s_add_i32 s0, s1, s0
	s_lshl_b32 s1, s6, 12
	s_add_i32 s0, s0, s1
	s_lshl_b32 s1, s6, 5
	v_or_b32_e32 v0, s0, v0
	s_lshl_b32 s0, s12, 5
	s_add_i32 s1, s8, s1
	s_add_i32 s6, s11, -1
	s_add_i32 s0, s1, s0
	v_add_nc_u32_e32 v3, 0xffffe000, v0
	v_mov_b32_e32 v0, s15
	s_add_i32 s0, s0, s10
	s_sub_i32 s0, s0, 64
.LBB22_3:                               ; =>This Inner Loop Header: Depth=1
	v_ashrrev_i32_e32 v4, 31, v3
	s_ashr_i32 s1, s0, 31
	s_lshl_b64 s[10:11], s[0:1], 3
	s_add_u32 s10, s2, s10
	v_lshlrev_b64 v[7:8], 2, v[3:4]
	s_addc_u32 s11, s3, s11
	v_add_nc_u32_e32 v3, 0xfffff000, v3
	s_add_i32 s6, s6, -1
	s_sub_i32 s0, s0, 32
	s_cmp_le_i32 s6, s4
	v_add_co_u32 v7, vcc_lo, s5, v7
	v_add_co_ci_u32_e64 v8, null, s9, v8, vcc_lo
	s_load_dwordx2 s[10:11], s[10:11], 0x0
	global_load_dword v4, v[7:8], off
	v_max_f32_e32 v7, v0, v0
	s_waitcnt lgkmcnt(0)
	v_max_f32_e64 v8, s10, s10
	v_max_f32_e32 v7, v7, v8
	v_sub_f32_e32 v8, s10, v7
	v_sub_f32_e32 v0, v0, v7
	v_mul_f32_e32 v9, 0x3fb8aa3b, v8
	v_mul_f32_e32 v12, 0x3fb8aa3b, v0
	v_cmp_ngt_f32_e32 vcc_lo, 0xc2ce8ed0, v8
	v_fma_f32 v10, 0x3fb8aa3b, v8, -v9
	v_rndne_f32_e32 v11, v9
	v_fma_f32 v13, 0x3fb8aa3b, v0, -v12
	v_rndne_f32_e32 v14, v12
	v_fmac_f32_e32 v10, 0x32a5705f, v8
	v_sub_f32_e32 v9, v9, v11
	v_fmac_f32_e32 v13, 0x32a5705f, v0
	v_cvt_i32_f32_e32 v11, v11
	v_add_f32_e32 v9, v9, v10
	v_sub_f32_e32 v10, v12, v14
	v_exp_f32_e32 v9, v9
	v_add_f32_e32 v10, v10, v13
	v_exp_f32_e32 v10, v10
	v_ldexp_f32 v9, v9, v11
	v_cvt_i32_f32_e32 v11, v14
	v_cndmask_b32_e32 v9, 0, v9, vcc_lo
	v_cmp_nlt_f32_e32 vcc_lo, 0x42b17218, v8
	v_ldexp_f32 v10, v10, v11
	v_mov_b32_e32 v11, v6
	v_cndmask_b32_e32 v9, 0x7f800000, v9, vcc_lo
	v_cmp_ngt_f32_e32 vcc_lo, 0xc2ce8ed0, v0
	v_cndmask_b32_e32 v10, 0, v10, vcc_lo
	v_cmp_le_f32_e32 vcc_lo, 0xc1a00000, v8
	v_cndmask_b32_e32 v8, 0, v9, vcc_lo
	v_cmp_nlt_f32_e32 vcc_lo, 0x42b17218, v0
	s_waitcnt vmcnt(1)
	v_mov_b32_e32 v9, v5
	v_cndmask_b32_e32 v5, 0x7f800000, v10, vcc_lo
	v_mul_f32_e32 v10, s11, v8
	v_cmp_le_f32_e32 vcc_lo, 0xc1a00000, v0
	v_mov_b32_e32 v0, v7
	v_mov_b32_e32 v6, v10
	v_cndmask_b32_e32 v12, 0, v5, vcc_lo
	v_fmac_f32_e32 v6, v11, v12
	s_waitcnt vmcnt(0)
	v_mul_f32_e32 v5, v4, v8
	v_fmac_f32_e32 v5, v9, v12
	s_cbranch_scc0 .LBB22_3
	s_branch .LBB22_5
.LBB22_4:
	s_waitcnt lgkmcnt(0)
	v_mov_b32_e32 v6, s13
.LBB22_5:
	s_waitcnt vmcnt(0)
	v_div_scale_f32 v0, null, v6, v6, v5
	v_rcp_f32_e32 v3, v0
	v_fma_f32 v4, -v0, v3, 1.0
	v_fmac_f32_e32 v3, v4, v3
	v_div_scale_f32 v4, vcc_lo, v5, v6, v5
	v_mul_f32_e32 v7, v4, v3
	v_fma_f32 v8, -v0, v7, v4
	v_fmac_f32_e32 v7, v8, v3
	v_fma_f32 v0, -v0, v7, v4
	v_div_fmas_f32 v0, v0, v3, v7
	v_div_fixup_f32 v0, v0, v6, v5
	global_store_dword v[1:2], v0, off
.LBB22_6:
	s_endpgm
	.section	.rodata,"a",@progbits
	.p2align	6, 0x0
	.amdhsa_kernel _ZL33flash_attn_stream_k_fixup_uniformILi128ELi8ELi4EEvPfPK15HIP_vector_typeIfLj2EEiiiiiiS1_IjLj3EES5_S5_
		.amdhsa_group_segment_fixed_size 0
		.amdhsa_private_segment_fixed_size 0
		.amdhsa_kernarg_size 76
		.amdhsa_user_sgpr_count 6
		.amdhsa_user_sgpr_private_segment_buffer 1
		.amdhsa_user_sgpr_dispatch_ptr 0
		.amdhsa_user_sgpr_queue_ptr 0
		.amdhsa_user_sgpr_kernarg_segment_ptr 1
		.amdhsa_user_sgpr_dispatch_id 0
		.amdhsa_user_sgpr_flat_scratch_init 0
		.amdhsa_user_sgpr_private_segment_size 0
		.amdhsa_wavefront_size32 1
		.amdhsa_uses_dynamic_stack 0
		.amdhsa_system_sgpr_private_segment_wavefront_offset 0
		.amdhsa_system_sgpr_workgroup_id_x 1
		.amdhsa_system_sgpr_workgroup_id_y 1
		.amdhsa_system_sgpr_workgroup_id_z 1
		.amdhsa_system_sgpr_workgroup_info 0
		.amdhsa_system_vgpr_workitem_id 0
		.amdhsa_next_free_vgpr 15
		.amdhsa_next_free_sgpr 24
		.amdhsa_reserve_vcc 1
		.amdhsa_reserve_flat_scratch 0
		.amdhsa_float_round_mode_32 0
		.amdhsa_float_round_mode_16_64 0
		.amdhsa_float_denorm_mode_32 3
		.amdhsa_float_denorm_mode_16_64 3
		.amdhsa_dx10_clamp 1
		.amdhsa_ieee_mode 1
		.amdhsa_fp16_overflow 0
		.amdhsa_workgroup_processor_mode 1
		.amdhsa_memory_ordered 1
		.amdhsa_forward_progress 1
		.amdhsa_shared_vgpr_count 0
		.amdhsa_exception_fp_ieee_invalid_op 0
		.amdhsa_exception_fp_denorm_src 0
		.amdhsa_exception_fp_ieee_div_zero 0
		.amdhsa_exception_fp_ieee_overflow 0
		.amdhsa_exception_fp_ieee_underflow 0
		.amdhsa_exception_fp_ieee_inexact 0
		.amdhsa_exception_int_div_zero 0
	.end_amdhsa_kernel
	.section	.text._ZL33flash_attn_stream_k_fixup_uniformILi128ELi8ELi4EEvPfPK15HIP_vector_typeIfLj2EEiiiiiiS1_IjLj3EES5_S5_,"axG",@progbits,_ZL33flash_attn_stream_k_fixup_uniformILi128ELi8ELi4EEvPfPK15HIP_vector_typeIfLj2EEiiiiiiS1_IjLj3EES5_S5_,comdat
.Lfunc_end22:
	.size	_ZL33flash_attn_stream_k_fixup_uniformILi128ELi8ELi4EEvPfPK15HIP_vector_typeIfLj2EEiiiiiiS1_IjLj3EES5_S5_, .Lfunc_end22-_ZL33flash_attn_stream_k_fixup_uniformILi128ELi8ELi4EEvPfPK15HIP_vector_typeIfLj2EEiiiiiiS1_IjLj3EES5_S5_
                                        ; -- End function
	.set _ZL33flash_attn_stream_k_fixup_uniformILi128ELi8ELi4EEvPfPK15HIP_vector_typeIfLj2EEiiiiiiS1_IjLj3EES5_S5_.num_vgpr, 15
	.set _ZL33flash_attn_stream_k_fixup_uniformILi128ELi8ELi4EEvPfPK15HIP_vector_typeIfLj2EEiiiiiiS1_IjLj3EES5_S5_.num_agpr, 0
	.set _ZL33flash_attn_stream_k_fixup_uniformILi128ELi8ELi4EEvPfPK15HIP_vector_typeIfLj2EEiiiiiiS1_IjLj3EES5_S5_.numbered_sgpr, 24
	.set _ZL33flash_attn_stream_k_fixup_uniformILi128ELi8ELi4EEvPfPK15HIP_vector_typeIfLj2EEiiiiiiS1_IjLj3EES5_S5_.num_named_barrier, 0
	.set _ZL33flash_attn_stream_k_fixup_uniformILi128ELi8ELi4EEvPfPK15HIP_vector_typeIfLj2EEiiiiiiS1_IjLj3EES5_S5_.private_seg_size, 0
	.set _ZL33flash_attn_stream_k_fixup_uniformILi128ELi8ELi4EEvPfPK15HIP_vector_typeIfLj2EEiiiiiiS1_IjLj3EES5_S5_.uses_vcc, 1
	.set _ZL33flash_attn_stream_k_fixup_uniformILi128ELi8ELi4EEvPfPK15HIP_vector_typeIfLj2EEiiiiiiS1_IjLj3EES5_S5_.uses_flat_scratch, 0
	.set _ZL33flash_attn_stream_k_fixup_uniformILi128ELi8ELi4EEvPfPK15HIP_vector_typeIfLj2EEiiiiiiS1_IjLj3EES5_S5_.has_dyn_sized_stack, 0
	.set _ZL33flash_attn_stream_k_fixup_uniformILi128ELi8ELi4EEvPfPK15HIP_vector_typeIfLj2EEiiiiiiS1_IjLj3EES5_S5_.has_recursion, 0
	.set _ZL33flash_attn_stream_k_fixup_uniformILi128ELi8ELi4EEvPfPK15HIP_vector_typeIfLj2EEiiiiiiS1_IjLj3EES5_S5_.has_indirect_call, 0
	.section	.AMDGPU.csdata,"",@progbits
; Kernel info:
; codeLenInByte = 848
; TotalNumSgprs: 26
; NumVgprs: 15
; ScratchSize: 0
; MemoryBound: 0
; FloatMode: 240
; IeeeMode: 1
; LDSByteSize: 0 bytes/workgroup (compile time only)
; SGPRBlocks: 0
; VGPRBlocks: 1
; NumSGPRsForWavesPerEU: 26
; NumVGPRsForWavesPerEU: 15
; Occupancy: 16
; WaveLimiterHint : 0
; COMPUTE_PGM_RSRC2:SCRATCH_EN: 0
; COMPUTE_PGM_RSRC2:USER_SGPR: 6
; COMPUTE_PGM_RSRC2:TRAP_HANDLER: 0
; COMPUTE_PGM_RSRC2:TGID_X_EN: 1
; COMPUTE_PGM_RSRC2:TGID_Y_EN: 1
; COMPUTE_PGM_RSRC2:TGID_Z_EN: 1
; COMPUTE_PGM_RSRC2:TIDIG_COMP_CNT: 0
	.section	.text._ZL33flash_attn_stream_k_fixup_generalILi128ELi8ELi4EEvPfPK15HIP_vector_typeIfLj2EEiiiiS1_IjLj3EES5_S5_S5_,"axG",@progbits,_ZL33flash_attn_stream_k_fixup_generalILi128ELi8ELi4EEvPfPK15HIP_vector_typeIfLj2EEiiiiS1_IjLj3EES5_S5_S5_,comdat
	.globl	_ZL33flash_attn_stream_k_fixup_generalILi128ELi8ELi4EEvPfPK15HIP_vector_typeIfLj2EEiiiiS1_IjLj3EES5_S5_S5_ ; -- Begin function _ZL33flash_attn_stream_k_fixup_generalILi128ELi8ELi4EEvPfPK15HIP_vector_typeIfLj2EEiiiiS1_IjLj3EES5_S5_S5_
	.p2align	8
	.type	_ZL33flash_attn_stream_k_fixup_generalILi128ELi8ELi4EEvPfPK15HIP_vector_typeIfLj2EEiiiiS1_IjLj3EES5_S5_S5_,@function
_ZL33flash_attn_stream_k_fixup_generalILi128ELi8ELi4EEvPfPK15HIP_vector_typeIfLj2EEiiiiS1_IjLj3EES5_S5_S5_: ; @_ZL33flash_attn_stream_k_fixup_generalILi128ELi8ELi4EEvPfPK15HIP_vector_typeIfLj2EEiiiiS1_IjLj3EES5_S5_S5_
; %bb.0:
	s_clause 0x1
	s_load_dwordx4 s[0:3], s[4:5], 0x10
	s_load_dword s9, s[4:5], 0x50
	s_mov_b32 s16, 0
	s_waitcnt lgkmcnt(0)
	s_mul_hi_i32 s17, s3, s6
	s_mul_i32 s18, s3, s6
	s_cmp_lg_u64 s[16:17], 0
	s_cbranch_scc0 .LBB23_21
; %bb.1:
	s_add_u32 s10, s9, 0
	s_addc_u32 s11, 0, 0
	s_xor_b64 s[10:11], s[10:11], 0
	v_cvt_f32_u32_e32 v1, s10
	v_cvt_f32_u32_e32 v2, s11
	s_sub_u32 s14, 0, s10
	s_subb_u32 s15, 0, s11
	v_fmamk_f32 v1, v2, 0x4f800000, v1
	v_rcp_f32_e32 v1, v1
	v_mul_f32_e32 v1, 0x5f7ffffc, v1
	v_mul_f32_e32 v2, 0x2f800000, v1
	v_trunc_f32_e32 v2, v2
	v_fmamk_f32 v1, v2, 0xcf800000, v1
	v_cvt_u32_f32_e32 v2, v2
	v_cvt_u32_f32_e32 v1, v1
	v_readfirstlane_b32 s12, v2
	v_readfirstlane_b32 s13, v1
	s_mul_i32 s19, s14, s12
	s_mul_hi_u32 s21, s14, s13
	s_mul_i32 s20, s15, s13
	s_add_i32 s19, s21, s19
	s_mul_i32 s22, s14, s13
	s_add_i32 s19, s19, s20
	s_mul_hi_u32 s21, s13, s22
	s_mul_i32 s24, s13, s19
	s_mul_hi_u32 s23, s12, s22
	s_mul_i32 s20, s12, s22
	s_mul_hi_u32 s22, s13, s19
	s_add_u32 s21, s21, s24
	s_addc_u32 s22, 0, s22
	s_mul_hi_u32 s25, s12, s19
	s_add_u32 s20, s21, s20
	s_mul_i32 s19, s12, s19
	s_addc_u32 s20, s22, s23
	s_addc_u32 s21, s25, 0
	s_add_u32 s19, s20, s19
	s_addc_u32 s20, 0, s21
	s_add_u32 s13, s13, s19
	s_cselect_b32 s19, -1, 0
	s_mul_hi_u32 s21, s14, s13
	s_cmp_lg_u32 s19, 0
	s_mul_i32 s19, s14, s13
	s_addc_u32 s12, s12, s20
	s_mul_i32 s15, s15, s13
	s_mul_i32 s14, s14, s12
	s_mul_hi_u32 s20, s13, s19
	s_add_i32 s14, s21, s14
	s_mul_hi_u32 s21, s12, s19
	s_add_i32 s14, s14, s15
	s_mul_i32 s15, s12, s19
	s_mul_i32 s23, s13, s14
	s_mul_hi_u32 s22, s13, s14
	s_add_u32 s20, s20, s23
	s_addc_u32 s22, 0, s22
	s_mul_hi_u32 s19, s12, s14
	s_add_u32 s15, s20, s15
	s_mul_i32 s14, s12, s14
	s_addc_u32 s15, s22, s21
	s_addc_u32 s19, s19, 0
	s_add_u32 s14, s15, s14
	s_addc_u32 s15, 0, s19
	s_add_u32 s19, s13, s14
	s_cselect_b32 s13, -1, 0
	s_cmp_lg_u32 s13, 0
	s_addc_u32 s20, s12, s15
	s_ashr_i32 s12, s17, 31
	s_add_u32 s14, s18, s12
	s_mov_b32 s13, s12
	s_addc_u32 s15, s17, s12
	s_xor_b64 s[14:15], s[14:15], s[12:13]
	s_mul_i32 s21, s14, s20
	s_mul_hi_u32 s22, s14, s19
	s_mul_hi_u32 s17, s14, s20
	;; [unrolled: 1-line block ×3, first 2 shown]
	s_mul_i32 s19, s15, s19
	s_add_u32 s21, s22, s21
	s_addc_u32 s17, 0, s17
	s_mul_hi_u32 s23, s15, s20
	s_add_u32 s19, s21, s19
	s_mul_i32 s20, s15, s20
	s_addc_u32 s17, s17, s24
	s_addc_u32 s19, s23, 0
	s_add_u32 s17, s17, s20
	s_addc_u32 s19, 0, s19
	s_mul_hi_u32 s20, s10, s17
	s_mul_i32 s21, s10, s19
	s_mul_i32 s22, s11, s17
	s_add_i32 s20, s20, s21
	s_mul_i32 s21, s10, s17
	s_add_i32 s20, s20, s22
	s_sub_i32 s22, s15, s20
	s_sub_u32 s14, s14, s21
	s_cselect_b32 s21, -1, 0
	s_cmp_lg_u32 s21, 0
	s_subb_u32 s22, s22, s11
	s_sub_u32 s23, s14, s10
	s_cselect_b32 s24, -1, 0
	s_cmp_lg_u32 s24, 0
	s_subb_u32 s22, s22, 0
	s_cmp_ge_u32 s22, s11
	s_cselect_b32 s24, -1, 0
	s_cmp_ge_u32 s23, s10
	s_cselect_b32 s23, -1, 0
	s_cmp_eq_u32 s22, s11
	s_cselect_b32 s22, s23, s24
	s_add_u32 s23, s17, 1
	s_addc_u32 s24, s19, 0
	s_add_u32 s25, s17, 2
	s_addc_u32 s26, s19, 0
	s_cmp_lg_u32 s22, 0
	s_cselect_b32 s22, s25, s23
	s_cselect_b32 s23, s26, s24
	s_cmp_lg_u32 s21, 0
	s_subb_u32 s15, s15, s20
	s_cmp_ge_u32 s15, s11
	s_cselect_b32 s20, -1, 0
	s_cmp_ge_u32 s14, s10
	s_cselect_b32 s10, -1, 0
	s_cmp_eq_u32 s15, s11
	s_cselect_b32 s10, s10, s20
	s_cmp_lg_u32 s10, 0
	s_cselect_b32 s11, s23, s19
	s_cselect_b32 s10, s22, s17
	s_xor_b64 s[12:13], s[12:13], 0
	s_xor_b64 s[10:11], s[10:11], s[12:13]
	s_sub_u32 s10, s10, s12
	s_load_dwordx4 s[12:15], s[4:5], 0x44
	s_andn2_b32 vcc_lo, exec_lo, s16
	s_cbranch_vccnz .LBB23_3
.LBB23_2:
	v_cvt_f32_u32_e32 v1, s9
	s_sub_i32 s11, 0, s9
	v_rcp_iflag_f32_e32 v1, v1
	v_mul_f32_e32 v1, 0x4f7ffffe, v1
	v_cvt_u32_f32_e32 v1, v1
	v_readfirstlane_b32 s10, v1
	s_mul_i32 s11, s11, s10
	s_mul_hi_u32 s11, s10, s11
	s_add_i32 s10, s10, s11
	s_mul_hi_u32 s10, s18, s10
	s_mul_i32 s11, s10, s9
	s_waitcnt lgkmcnt(0)
	s_add_i32 s15, s10, 1
	s_sub_i32 s11, s18, s11
	s_sub_i32 s16, s11, s9
	s_cmp_ge_u32 s11, s9
	s_cselect_b32 s10, s15, s10
	s_cselect_b32 s11, s16, s11
	s_add_i32 s15, s10, 1
	s_cmp_ge_u32 s11, s9
	s_cselect_b32 s10, s15, s10
.LBB23_3:
	s_add_i32 s11, s6, 1
	s_mov_b32 s16, 0
	s_mul_hi_i32 s17, s3, s11
	s_mul_i32 s11, s3, s11
	s_cmp_lg_u64 s[16:17], 0
	s_cbranch_scc0 .LBB23_22
; %bb.4:
	s_add_u32 s18, s9, 0
	s_addc_u32 s19, 0, 0
	s_xor_b64 s[18:19], s[18:19], 0
	v_cvt_f32_u32_e32 v1, s18
	v_cvt_f32_u32_e32 v2, s19
	s_sub_u32 s21, 0, s18
	s_subb_u32 s22, 0, s19
	v_fmamk_f32 v1, v2, 0x4f800000, v1
	v_rcp_f32_e32 v1, v1
	v_mul_f32_e32 v1, 0x5f7ffffc, v1
	v_mul_f32_e32 v2, 0x2f800000, v1
	v_trunc_f32_e32 v2, v2
	v_fmamk_f32 v1, v2, 0xcf800000, v1
	v_cvt_u32_f32_e32 v2, v2
	v_cvt_u32_f32_e32 v1, v1
	s_waitcnt lgkmcnt(0)
	v_readfirstlane_b32 s15, v2
	v_readfirstlane_b32 s20, v1
	s_mul_i32 s23, s21, s15
	s_mul_hi_u32 s25, s21, s20
	s_mul_i32 s24, s22, s20
	s_add_i32 s23, s25, s23
	s_mul_i32 s26, s21, s20
	s_add_i32 s23, s23, s24
	s_mul_hi_u32 s25, s20, s26
	s_mul_i32 s28, s20, s23
	s_mul_hi_u32 s27, s15, s26
	s_mul_i32 s24, s15, s26
	s_mul_hi_u32 s26, s20, s23
	s_add_u32 s25, s25, s28
	s_addc_u32 s26, 0, s26
	s_mul_hi_u32 s29, s15, s23
	s_add_u32 s24, s25, s24
	s_mul_i32 s23, s15, s23
	s_addc_u32 s24, s26, s27
	s_addc_u32 s25, s29, 0
	s_add_u32 s23, s24, s23
	s_addc_u32 s24, 0, s25
	s_add_u32 s20, s20, s23
	s_cselect_b32 s23, -1, 0
	s_mul_hi_u32 s25, s21, s20
	s_cmp_lg_u32 s23, 0
	s_mul_i32 s23, s21, s20
	s_addc_u32 s15, s15, s24
	s_mul_i32 s22, s22, s20
	s_mul_i32 s21, s21, s15
	s_mul_hi_u32 s24, s20, s23
	s_add_i32 s21, s25, s21
	s_mul_hi_u32 s25, s15, s23
	s_add_i32 s21, s21, s22
	s_mul_i32 s22, s15, s23
	s_mul_i32 s27, s20, s21
	s_mul_hi_u32 s26, s20, s21
	s_add_u32 s24, s24, s27
	s_addc_u32 s26, 0, s26
	s_mul_hi_u32 s23, s15, s21
	s_add_u32 s22, s24, s22
	s_mul_i32 s21, s15, s21
	s_addc_u32 s22, s26, s25
	s_addc_u32 s23, s23, 0
	s_add_u32 s21, s22, s21
	s_addc_u32 s22, 0, s23
	s_add_u32 s24, s20, s21
	s_cselect_b32 s20, -1, 0
	s_cmp_lg_u32 s20, 0
	s_addc_u32 s15, s15, s22
	s_ashr_i32 s20, s17, 31
	s_add_u32 s22, s11, s20
	s_mov_b32 s21, s20
	s_addc_u32 s23, s17, s20
	s_xor_b64 s[22:23], s[22:23], s[20:21]
	s_mul_i32 s25, s22, s15
	s_mul_hi_u32 s26, s22, s24
	s_mul_hi_u32 s17, s22, s15
	;; [unrolled: 1-line block ×3, first 2 shown]
	s_mul_i32 s24, s23, s24
	s_add_u32 s25, s26, s25
	s_addc_u32 s17, 0, s17
	s_mul_hi_u32 s27, s23, s15
	s_add_u32 s24, s25, s24
	s_mul_i32 s15, s23, s15
	s_addc_u32 s17, s17, s28
	s_addc_u32 s24, s27, 0
	s_add_u32 s15, s17, s15
	s_addc_u32 s17, 0, s24
	s_mul_hi_u32 s24, s18, s15
	s_mul_i32 s25, s18, s17
	s_mul_i32 s26, s19, s15
	s_add_i32 s24, s24, s25
	s_mul_i32 s25, s18, s15
	s_add_i32 s24, s24, s26
	s_sub_i32 s26, s23, s24
	s_sub_u32 s22, s22, s25
	s_cselect_b32 s25, -1, 0
	s_cmp_lg_u32 s25, 0
	s_subb_u32 s26, s26, s19
	s_sub_u32 s27, s22, s18
	s_cselect_b32 s28, -1, 0
	s_cmp_lg_u32 s28, 0
	s_subb_u32 s26, s26, 0
	s_cmp_ge_u32 s26, s19
	s_cselect_b32 s28, -1, 0
	s_cmp_ge_u32 s27, s18
	s_cselect_b32 s27, -1, 0
	s_cmp_eq_u32 s26, s19
	s_cselect_b32 s26, s27, s28
	s_add_u32 s27, s15, 1
	s_addc_u32 s28, s17, 0
	s_add_u32 s29, s15, 2
	s_addc_u32 s30, s17, 0
	s_cmp_lg_u32 s26, 0
	s_cselect_b32 s26, s29, s27
	s_cselect_b32 s27, s30, s28
	s_cmp_lg_u32 s25, 0
	s_subb_u32 s23, s23, s24
	s_cmp_ge_u32 s23, s19
	s_cselect_b32 s24, -1, 0
	s_cmp_ge_u32 s22, s18
	s_cselect_b32 s18, -1, 0
	s_cmp_eq_u32 s23, s19
	s_cselect_b32 s18, s18, s24
	s_cmp_lg_u32 s18, 0
	s_cselect_b32 s19, s27, s17
	s_cselect_b32 s18, s26, s15
	s_xor_b64 s[20:21], s[20:21], 0
	s_xor_b64 s[18:19], s[18:19], s[20:21]
	s_sub_u32 s18, s18, s20
	s_andn2_b32 vcc_lo, exec_lo, s16
	s_cbranch_vccnz .LBB23_6
.LBB23_5:
	v_cvt_f32_u32_e32 v1, s9
	s_sub_i32 s16, 0, s9
	v_rcp_iflag_f32_e32 v1, v1
	v_mul_f32_e32 v1, 0x4f7ffffe, v1
	v_cvt_u32_f32_e32 v1, v1
	s_waitcnt lgkmcnt(0)
	v_readfirstlane_b32 s15, v1
	s_mul_i32 s16, s16, s15
	s_mul_hi_u32 s16, s15, s16
	s_add_i32 s15, s15, s16
	s_mul_hi_u32 s15, s11, s15
	s_mul_i32 s16, s15, s9
	s_sub_i32 s11, s11, s16
	s_add_i32 s16, s15, 1
	s_sub_i32 s17, s11, s9
	s_cmp_ge_u32 s11, s9
	s_cselect_b32 s15, s16, s15
	s_cselect_b32 s11, s17, s11
	s_add_i32 s16, s15, 1
	s_cmp_ge_u32 s11, s9
	s_cselect_b32 s18, s16, s15
.LBB23_6:
	s_cmp_eq_u32 s10, s18
	s_waitcnt lgkmcnt(0)
	s_mul_hi_u32 s11, s10, s12
	s_cselect_b32 s15, -1, 0
	s_add_i32 s11, s11, s10
	s_lshr_b32 s11, s11, s13
	s_mul_i32 s16, s11, s14
	s_cmp_eq_u32 s16, s10
	s_mul_hi_u32 s16, s18, s12
	s_cselect_b32 s17, -1, 0
	s_add_i32 s16, s16, s18
	s_lshr_b32 s16, s16, s13
	s_cmp_eq_u32 s11, s16
	s_mul_i32 s16, s16, s14
	s_cselect_b32 s19, -1, 0
	s_cmp_lg_u32 s16, s18
	s_cselect_b32 s16, -1, 0
	s_or_b32 s15, s15, s17
	s_and_b32 s16, s19, s16
	s_or_b32 s15, s15, s16
	s_and_b32 vcc_lo, exec_lo, s15
	s_cbranch_vccnz .LBB23_24
; %bb.7:
	s_clause 0x1
	s_load_dwordx8 s[20:27], s[4:5], 0x20
	s_load_dword s16, s[4:5], 0x40
	s_waitcnt lgkmcnt(0)
	s_mul_hi_u32 s15, s10, s20
	s_add_i32 s15, s15, s10
	s_lshr_b32 s15, s15, s21
	s_mul_i32 s17, s15, s22
	s_sub_i32 s17, s10, s17
	s_mul_hi_u32 s18, s17, s23
	s_add_i32 s18, s17, s18
	s_lshr_b32 s22, s18, s24
	s_mul_i32 s18, s22, s25
	s_sub_i32 s17, s17, s18
	s_mul_hi_u32 s18, s17, s26
	s_add_i32 s18, s17, s18
	s_lshr_b32 s18, s18, s27
	s_mul_i32 s16, s18, s16
	s_lshl_b32 s24, s18, 2
	s_sub_i32 s16, s17, s16
	s_mul_hi_u32 s17, s16, s12
	s_add_i32 s16, s16, s17
	s_lshr_b32 s23, s16, s13
	s_lshl_b32 s16, s23, 3
	s_add_i32 s16, s16, s7
	s_cmp_lt_i32 s16, s0
	s_cselect_b32 s16, -1, 0
	s_add_i32 s17, s24, s8
	s_cmp_lt_i32 s17, s2
	s_cselect_b32 s17, -1, 0
	s_and_b32 s16, s16, s17
	s_andn2_b32 vcc_lo, exec_lo, s16
	s_cbranch_vccnz .LBB23_24
; %bb.8:
	s_load_dwordx4 s[16:19], s[4:5], 0x0
	s_mov_b32 s4, 0
	s_lshl_b32 s20, s9, 7
	s_mov_b32 s21, s4
	s_lshl_b32 s5, s7, 2
	s_lshl_b64 s[20:21], s[20:21], 2
	s_mul_i32 s0, s15, s0
	s_add_i32 s15, s5, s8
	s_mul_i32 s22, s22, s2
	v_cvt_f32_u32_e32 v4, s9
	v_rcp_iflag_f32_e32 v4, v4
	s_waitcnt lgkmcnt(0)
	s_add_u32 s20, s18, s20
	s_addc_u32 s21, s19, s21
	s_add_i32 s0, s0, s7
	s_mul_i32 s0, s0, s1
	s_mul_i32 s1, s1, s23
	s_add_i32 s0, s0, s8
	s_lshl_b32 s1, s1, 10
	s_add_i32 s0, s0, s22
	v_mul_f32_e32 v4, 0x4f7ffffe, v4
	s_add_i32 s0, s0, s24
	s_lshl_b32 s0, s0, 7
	s_add_i32 s1, s1, s0
	s_lshl_b32 s0, s6, 5
	v_or_b32_e32 v1, s1, v0
	s_add_i32 s0, s15, s0
	v_lshl_or_b32 v0, s15, 7, v0
	s_ashr_i32 s1, s0, 31
	v_cvt_u32_f32_e32 v4, v4
	v_ashrrev_i32_e32 v2, 31, v1
	s_lshl_b64 s[0:1], s[0:1], 3
	s_add_u32 s0, s18, s0
	s_addc_u32 s1, s19, s1
	v_lshlrev_b64 v[1:2], 2, v[1:2]
	s_load_dwordx2 s[0:1], s[0:1], 0x0
	s_add_i32 s8, s6, -1
	s_sub_i32 s2, 0, s9
	v_add_co_u32 v1, vcc_lo, s16, v1
	v_add_co_ci_u32_e64 v2, null, s17, v2, vcc_lo
	global_load_dword v3, v[1:2], off
	s_waitcnt lgkmcnt(0)
	v_mov_b32_e32 v5, s1
	v_mov_b32_e32 v6, s0
.LBB23_9:                               ; =>This Inner Loop Header: Depth=1
	s_mul_hi_i32 s5, s8, s3
	s_mul_i32 s6, s8, s3
	s_cmp_lg_u64 s[4:5], 0
	s_mov_b32 s7, -1
                                        ; implicit-def: $sgpr0_sgpr1
	s_cbranch_scc0 .LBB23_11
; %bb.10:                               ;   in Loop: Header=BB23_9 Depth=1
	s_add_u32 s0, s9, 0
	s_addc_u32 s1, 0, 0
	s_xor_b64 s[0:1], s[0:1], 0
	v_cvt_f32_u32_e32 v7, s0
	v_cvt_f32_u32_e32 v8, s1
	s_sub_u32 s17, 0, s0
	s_subb_u32 s22, 0, s1
	v_fmac_f32_e32 v7, 0x4f800000, v8
	v_rcp_f32_e32 v7, v7
	v_mul_f32_e32 v7, 0x5f7ffffc, v7
	v_mul_f32_e32 v8, 0x2f800000, v7
	v_trunc_f32_e32 v8, v8
	v_fmac_f32_e32 v7, 0xcf800000, v8
	v_cvt_u32_f32_e32 v8, v8
	v_cvt_u32_f32_e32 v7, v7
	v_readfirstlane_b32 s7, v8
	v_readfirstlane_b32 s16, v7
	s_mul_i32 s23, s17, s7
	s_mul_hi_u32 s25, s17, s16
	s_mul_i32 s24, s22, s16
	s_add_i32 s23, s25, s23
	s_mul_i32 s26, s17, s16
	s_add_i32 s23, s23, s24
	s_mul_hi_u32 s25, s16, s26
	s_mul_i32 s28, s16, s23
	s_mul_hi_u32 s27, s7, s26
	s_mul_i32 s24, s7, s26
	s_mul_hi_u32 s26, s16, s23
	s_add_u32 s25, s25, s28
	s_addc_u32 s26, 0, s26
	s_mul_hi_u32 s29, s7, s23
	s_add_u32 s24, s25, s24
	s_mul_i32 s23, s7, s23
	s_addc_u32 s24, s26, s27
	s_addc_u32 s25, s29, 0
	s_add_u32 s23, s24, s23
	s_addc_u32 s24, 0, s25
	s_add_u32 s16, s16, s23
	s_cselect_b32 s23, -1, 0
	s_mul_hi_u32 s25, s17, s16
	s_cmp_lg_u32 s23, 0
	s_mul_i32 s23, s17, s16
	s_addc_u32 s7, s7, s24
	s_mul_i32 s22, s22, s16
	s_mul_i32 s17, s17, s7
	s_mul_hi_u32 s24, s16, s23
	s_add_i32 s17, s25, s17
	s_mul_hi_u32 s25, s7, s23
	s_add_i32 s17, s17, s22
	s_mul_i32 s22, s7, s23
	s_mul_i32 s27, s16, s17
	s_mul_hi_u32 s26, s16, s17
	s_add_u32 s24, s24, s27
	s_addc_u32 s26, 0, s26
	s_mul_hi_u32 s23, s7, s17
	s_add_u32 s22, s24, s22
	s_mul_i32 s17, s7, s17
	s_addc_u32 s22, s26, s25
	s_addc_u32 s23, s23, 0
	s_add_u32 s17, s22, s17
	s_addc_u32 s22, 0, s23
	s_add_u32 s24, s16, s17
	s_cselect_b32 s16, -1, 0
	s_cmp_lg_u32 s16, 0
	s_addc_u32 s7, s7, s22
	s_ashr_i32 s16, s5, 31
	s_add_u32 s22, s6, s16
	s_mov_b32 s17, s16
	s_addc_u32 s23, s5, s16
	s_xor_b64 s[22:23], s[22:23], s[16:17]
	s_mul_i32 s25, s22, s7
	s_mul_hi_u32 s26, s22, s24
	s_mul_hi_u32 s5, s22, s7
	;; [unrolled: 1-line block ×3, first 2 shown]
	s_mul_i32 s24, s23, s24
	s_add_u32 s25, s26, s25
	s_addc_u32 s5, 0, s5
	s_mul_hi_u32 s27, s23, s7
	s_add_u32 s24, s25, s24
	s_mul_i32 s7, s23, s7
	s_addc_u32 s5, s5, s28
	s_addc_u32 s24, s27, 0
	s_add_u32 s5, s5, s7
	s_addc_u32 s7, 0, s24
	s_mul_hi_u32 s24, s0, s5
	s_mul_i32 s25, s0, s7
	s_mul_i32 s26, s1, s5
	s_add_i32 s24, s24, s25
	s_mul_i32 s25, s0, s5
	s_add_i32 s24, s24, s26
	s_sub_i32 s26, s23, s24
	s_sub_u32 s22, s22, s25
	s_cselect_b32 s25, -1, 0
	s_cmp_lg_u32 s25, 0
	s_subb_u32 s26, s26, s1
	s_sub_u32 s27, s22, s0
	s_cselect_b32 s28, -1, 0
	s_cmp_lg_u32 s28, 0
	s_subb_u32 s26, s26, 0
	s_cmp_ge_u32 s26, s1
	s_cselect_b32 s28, -1, 0
	s_cmp_ge_u32 s27, s0
	s_cselect_b32 s27, -1, 0
	s_cmp_eq_u32 s26, s1
	s_cselect_b32 s26, s27, s28
	s_add_u32 s27, s5, 1
	s_addc_u32 s28, s7, 0
	s_add_u32 s29, s5, 2
	s_addc_u32 s30, s7, 0
	s_cmp_lg_u32 s26, 0
	s_cselect_b32 s26, s29, s27
	s_cselect_b32 s27, s30, s28
	s_cmp_lg_u32 s25, 0
	s_subb_u32 s23, s23, s24
	s_cmp_ge_u32 s23, s1
	s_cselect_b32 s24, -1, 0
	s_cmp_ge_u32 s22, s0
	s_cselect_b32 s0, -1, 0
	s_cmp_eq_u32 s23, s1
	s_cselect_b32 s0, s0, s24
	s_cmp_lg_u32 s0, 0
	s_cselect_b32 s1, s27, s7
	s_cselect_b32 s0, s26, s5
	s_xor_b64 s[16:17], s[16:17], 0
	s_mov_b32 s7, 0
	s_xor_b64 s[0:1], s[0:1], s[16:17]
	s_sub_u32 s0, s0, s16
.LBB23_11:                              ;   in Loop: Header=BB23_9 Depth=1
	s_andn2_b32 vcc_lo, exec_lo, s7
	s_cbranch_vccnz .LBB23_13
; %bb.12:                               ;   in Loop: Header=BB23_9 Depth=1
	v_readfirstlane_b32 s0, v4
	s_mul_i32 s1, s2, s0
	s_mul_hi_u32 s1, s0, s1
	s_add_i32 s0, s0, s1
	s_mul_hi_u32 s0, s6, s0
	s_mul_i32 s1, s0, s9
	s_add_i32 s5, s0, 1
	s_sub_i32 s1, s6, s1
	s_sub_i32 s6, s1, s9
	s_cmp_ge_u32 s1, s9
	s_cselect_b32 s0, s5, s0
	s_cselect_b32 s1, s6, s1
	s_add_i32 s5, s0, 1
	s_cmp_ge_u32 s1, s9
	s_cselect_b32 s0, s5, s0
.LBB23_13:                              ;   in Loop: Header=BB23_9 Depth=1
	s_cmp_lg_u32 s10, s0
	s_mov_b32 s6, -1
                                        ; implicit-def: $sgpr5
                                        ; implicit-def: $vgpr8
                                        ; implicit-def: $vgpr7
                                        ; implicit-def: $vgpr9
                                        ; implicit-def: $sgpr1
                                        ; implicit-def: $sgpr16
	s_cbranch_scc0 .LBB23_18
; %bb.14:                               ;   in Loop: Header=BB23_9 Depth=1
	s_add_i32 s1, s8, s9
	s_mov_b32 s7, s4
	s_lshl_b32 s1, s1, 5
	s_mov_b32 s16, s10
	s_add_i32 s6, s1, s15
	s_mul_hi_u32 s1, s0, s12
	s_lshl_b64 s[6:7], s[6:7], 3
	s_add_u32 s6, s18, s6
	s_addc_u32 s7, s19, s7
	s_add_i32 s1, s1, s0
	s_lshr_b32 s1, s1, s13
	s_mul_i32 s5, s1, s14
	s_cmp_eq_u32 s5, s0
	s_cselect_b32 s5, -1, 0
	s_cmp_lt_u32 s1, s11
	s_cselect_b32 s1, -1, 0
	s_or_b32 s1, s1, s5
	s_mov_b32 s5, -1
	s_and_b32 vcc_lo, exec_lo, s1
	s_mov_b32 s1, s8
	s_cbranch_vccnz .LBB23_16
; %bb.15:                               ;   in Loop: Header=BB23_9 Depth=1
	s_add_i32 s1, s8, -1
	s_mov_b32 s5, 0
	s_mov_b32 s16, s0
.LBB23_16:                              ;   in Loop: Header=BB23_9 Depth=1
	v_lshl_add_u32 v7, s8, 12, v0
	s_load_dwordx2 s[6:7], s[6:7], 0x0
	v_ashrrev_i32_e32 v8, 31, v7
	v_lshlrev_b64 v[7:8], 2, v[7:8]
	v_add_co_u32 v7, vcc_lo, s20, v7
	v_add_co_ci_u32_e64 v8, null, s21, v8, vcc_lo
	s_waitcnt lgkmcnt(0)
	v_max_f32_e64 v9, s6, s6
	global_load_dword v8, v[7:8], off
	v_max_f32_e32 v7, v6, v6
	v_max_f32_e32 v7, v7, v9
	v_sub_f32_e32 v9, s6, v7
	v_sub_f32_e32 v10, v6, v7
	v_mul_f32_e32 v11, 0x3fb8aa3b, v9
	v_mul_f32_e32 v12, 0x3fb8aa3b, v10
	v_cmp_ngt_f32_e32 vcc_lo, 0xc2ce8ed0, v9
	v_fma_f32 v13, 0x3fb8aa3b, v9, -v11
	v_rndne_f32_e32 v14, v11
	v_fma_f32 v15, 0x3fb8aa3b, v10, -v12
	v_rndne_f32_e32 v16, v12
	v_fmac_f32_e32 v13, 0x32a5705f, v9
	v_sub_f32_e32 v11, v11, v14
	v_fmac_f32_e32 v15, 0x32a5705f, v10
	v_sub_f32_e32 v12, v12, v16
	v_add_f32_e32 v11, v11, v13
	v_cvt_i32_f32_e32 v13, v14
	v_add_f32_e32 v12, v12, v15
	v_cvt_i32_f32_e32 v14, v16
	v_exp_f32_e32 v11, v11
	v_exp_f32_e32 v12, v12
	v_ldexp_f32 v11, v11, v13
	v_ldexp_f32 v12, v12, v14
	v_cndmask_b32_e32 v11, 0, v11, vcc_lo
	v_cmp_ngt_f32_e32 vcc_lo, 0xc2ce8ed0, v10
	v_cndmask_b32_e32 v12, 0, v12, vcc_lo
	v_cmp_nlt_f32_e32 vcc_lo, 0x42b17218, v9
	v_cndmask_b32_e32 v11, 0x7f800000, v11, vcc_lo
	v_cmp_nlt_f32_e32 vcc_lo, 0x42b17218, v10
	v_cndmask_b32_e32 v12, 0x7f800000, v12, vcc_lo
	v_cmp_le_f32_e32 vcc_lo, 0xc1a00000, v9
	v_cndmask_b32_e32 v9, 0, v11, vcc_lo
	v_cmp_le_f32_e32 vcc_lo, 0xc1a00000, v10
	v_cndmask_b32_e32 v10, 0, v12, vcc_lo
	s_waitcnt vmcnt(0)
	v_mul_f32_e32 v8, v8, v9
	v_mul_f32_e32 v9, s7, v9
	v_fmac_f32_e32 v8, v3, v10
	v_fmac_f32_e32 v9, v5, v10
	s_cbranch_execz .LBB23_19
.LBB23_17:                              ;   in Loop: Header=BB23_9 Depth=1
	s_andn2_b32 vcc_lo, exec_lo, s5
	s_cbranch_vccnz .LBB23_20
	s_branch .LBB23_23
.LBB23_18:                              ;   in Loop: Header=BB23_9 Depth=1
	s_andn2_b32 vcc_lo, exec_lo, s6
	s_cbranch_vccnz .LBB23_17
.LBB23_19:                              ;   in Loop: Header=BB23_9 Depth=1
	v_mov_b32_e32 v9, v5
	v_mov_b32_e32 v7, v6
	s_waitcnt vmcnt(0)
	v_mov_b32_e32 v8, v3
	s_add_i32 s1, s8, -1
	s_mov_b32 s16, s10
	s_cbranch_execz .LBB23_23
.LBB23_20:                              ;   in Loop: Header=BB23_9 Depth=1
	v_mov_b32_e32 v5, v9
	v_mov_b32_e32 v6, v7
	s_waitcnt vmcnt(0)
	v_mov_b32_e32 v3, v8
	s_mov_b32 s10, s16
	s_mov_b32 s8, s1
	s_branch .LBB23_9
.LBB23_21:
                                        ; implicit-def: $sgpr10_sgpr11
	s_load_dwordx4 s[12:15], s[4:5], 0x44
	s_branch .LBB23_2
.LBB23_22:
                                        ; implicit-def: $sgpr18_sgpr19
	s_branch .LBB23_5
.LBB23_23:
	v_div_scale_f32 v0, null, v9, v9, v8
	s_waitcnt vmcnt(0)
	v_rcp_f32_e32 v3, v0
	v_fma_f32 v4, -v0, v3, 1.0
	v_fmac_f32_e32 v3, v4, v3
	v_div_scale_f32 v4, vcc_lo, v8, v9, v8
	v_mul_f32_e32 v5, v4, v3
	v_fma_f32 v6, -v0, v5, v4
	v_fmac_f32_e32 v5, v6, v3
	v_fma_f32 v0, -v0, v5, v4
	v_div_fmas_f32 v0, v0, v3, v5
	v_div_fixup_f32 v0, v0, v9, v8
	global_store_dword v[1:2], v0, off
.LBB23_24:
	s_endpgm
	.section	.rodata,"a",@progbits
	.p2align	6, 0x0
	.amdhsa_kernel _ZL33flash_attn_stream_k_fixup_generalILi128ELi8ELi4EEvPfPK15HIP_vector_typeIfLj2EEiiiiS1_IjLj3EES5_S5_S5_
		.amdhsa_group_segment_fixed_size 0
		.amdhsa_private_segment_fixed_size 0
		.amdhsa_kernarg_size 336
		.amdhsa_user_sgpr_count 6
		.amdhsa_user_sgpr_private_segment_buffer 1
		.amdhsa_user_sgpr_dispatch_ptr 0
		.amdhsa_user_sgpr_queue_ptr 0
		.amdhsa_user_sgpr_kernarg_segment_ptr 1
		.amdhsa_user_sgpr_dispatch_id 0
		.amdhsa_user_sgpr_flat_scratch_init 0
		.amdhsa_user_sgpr_private_segment_size 0
		.amdhsa_wavefront_size32 1
		.amdhsa_uses_dynamic_stack 0
		.amdhsa_system_sgpr_private_segment_wavefront_offset 0
		.amdhsa_system_sgpr_workgroup_id_x 1
		.amdhsa_system_sgpr_workgroup_id_y 1
		.amdhsa_system_sgpr_workgroup_id_z 1
		.amdhsa_system_sgpr_workgroup_info 0
		.amdhsa_system_vgpr_workitem_id 0
		.amdhsa_next_free_vgpr 17
		.amdhsa_next_free_sgpr 31
		.amdhsa_reserve_vcc 1
		.amdhsa_reserve_flat_scratch 0
		.amdhsa_float_round_mode_32 0
		.amdhsa_float_round_mode_16_64 0
		.amdhsa_float_denorm_mode_32 3
		.amdhsa_float_denorm_mode_16_64 3
		.amdhsa_dx10_clamp 1
		.amdhsa_ieee_mode 1
		.amdhsa_fp16_overflow 0
		.amdhsa_workgroup_processor_mode 1
		.amdhsa_memory_ordered 1
		.amdhsa_forward_progress 1
		.amdhsa_shared_vgpr_count 0
		.amdhsa_exception_fp_ieee_invalid_op 0
		.amdhsa_exception_fp_denorm_src 0
		.amdhsa_exception_fp_ieee_div_zero 0
		.amdhsa_exception_fp_ieee_overflow 0
		.amdhsa_exception_fp_ieee_underflow 0
		.amdhsa_exception_fp_ieee_inexact 0
		.amdhsa_exception_int_div_zero 0
	.end_amdhsa_kernel
	.section	.text._ZL33flash_attn_stream_k_fixup_generalILi128ELi8ELi4EEvPfPK15HIP_vector_typeIfLj2EEiiiiS1_IjLj3EES5_S5_S5_,"axG",@progbits,_ZL33flash_attn_stream_k_fixup_generalILi128ELi8ELi4EEvPfPK15HIP_vector_typeIfLj2EEiiiiS1_IjLj3EES5_S5_S5_,comdat
.Lfunc_end23:
	.size	_ZL33flash_attn_stream_k_fixup_generalILi128ELi8ELi4EEvPfPK15HIP_vector_typeIfLj2EEiiiiS1_IjLj3EES5_S5_S5_, .Lfunc_end23-_ZL33flash_attn_stream_k_fixup_generalILi128ELi8ELi4EEvPfPK15HIP_vector_typeIfLj2EEiiiiS1_IjLj3EES5_S5_S5_
                                        ; -- End function
	.set _ZL33flash_attn_stream_k_fixup_generalILi128ELi8ELi4EEvPfPK15HIP_vector_typeIfLj2EEiiiiS1_IjLj3EES5_S5_S5_.num_vgpr, 17
	.set _ZL33flash_attn_stream_k_fixup_generalILi128ELi8ELi4EEvPfPK15HIP_vector_typeIfLj2EEiiiiS1_IjLj3EES5_S5_S5_.num_agpr, 0
	.set _ZL33flash_attn_stream_k_fixup_generalILi128ELi8ELi4EEvPfPK15HIP_vector_typeIfLj2EEiiiiS1_IjLj3EES5_S5_S5_.numbered_sgpr, 31
	.set _ZL33flash_attn_stream_k_fixup_generalILi128ELi8ELi4EEvPfPK15HIP_vector_typeIfLj2EEiiiiS1_IjLj3EES5_S5_S5_.num_named_barrier, 0
	.set _ZL33flash_attn_stream_k_fixup_generalILi128ELi8ELi4EEvPfPK15HIP_vector_typeIfLj2EEiiiiS1_IjLj3EES5_S5_S5_.private_seg_size, 0
	.set _ZL33flash_attn_stream_k_fixup_generalILi128ELi8ELi4EEvPfPK15HIP_vector_typeIfLj2EEiiiiS1_IjLj3EES5_S5_S5_.uses_vcc, 1
	.set _ZL33flash_attn_stream_k_fixup_generalILi128ELi8ELi4EEvPfPK15HIP_vector_typeIfLj2EEiiiiS1_IjLj3EES5_S5_S5_.uses_flat_scratch, 0
	.set _ZL33flash_attn_stream_k_fixup_generalILi128ELi8ELi4EEvPfPK15HIP_vector_typeIfLj2EEiiiiS1_IjLj3EES5_S5_S5_.has_dyn_sized_stack, 0
	.set _ZL33flash_attn_stream_k_fixup_generalILi128ELi8ELi4EEvPfPK15HIP_vector_typeIfLj2EEiiiiS1_IjLj3EES5_S5_S5_.has_recursion, 0
	.set _ZL33flash_attn_stream_k_fixup_generalILi128ELi8ELi4EEvPfPK15HIP_vector_typeIfLj2EEiiiiS1_IjLj3EES5_S5_S5_.has_indirect_call, 0
	.section	.AMDGPU.csdata,"",@progbits
; Kernel info:
; codeLenInByte = 2944
; TotalNumSgprs: 33
; NumVgprs: 17
; ScratchSize: 0
; MemoryBound: 0
; FloatMode: 240
; IeeeMode: 1
; LDSByteSize: 0 bytes/workgroup (compile time only)
; SGPRBlocks: 0
; VGPRBlocks: 2
; NumSGPRsForWavesPerEU: 33
; NumVGPRsForWavesPerEU: 17
; Occupancy: 16
; WaveLimiterHint : 0
; COMPUTE_PGM_RSRC2:SCRATCH_EN: 0
; COMPUTE_PGM_RSRC2:USER_SGPR: 6
; COMPUTE_PGM_RSRC2:TRAP_HANDLER: 0
; COMPUTE_PGM_RSRC2:TGID_X_EN: 1
; COMPUTE_PGM_RSRC2:TGID_Y_EN: 1
; COMPUTE_PGM_RSRC2:TGID_Z_EN: 1
; COMPUTE_PGM_RSRC2:TIDIG_COMP_CNT: 0
	.section	.text._ZL15flash_attn_tileILi128ELi128ELi4ELi4ELb0EEvPKcS1_S1_S1_S1_PKiPfP15HIP_vector_typeIfLj2EEffffjfiS5_IjLj3EEiiiiiiiiiiiliiliiiiil,"axG",@progbits,_ZL15flash_attn_tileILi128ELi128ELi4ELi4ELb0EEvPKcS1_S1_S1_S1_PKiPfP15HIP_vector_typeIfLj2EEffffjfiS5_IjLj3EEiiiiiiiiiiiliiliiiiil,comdat
	.globl	_ZL15flash_attn_tileILi128ELi128ELi4ELi4ELb0EEvPKcS1_S1_S1_S1_PKiPfP15HIP_vector_typeIfLj2EEffffjfiS5_IjLj3EEiiiiiiiiiiiliiliiiiil ; -- Begin function _ZL15flash_attn_tileILi128ELi128ELi4ELi4ELb0EEvPKcS1_S1_S1_S1_PKiPfP15HIP_vector_typeIfLj2EEffffjfiS5_IjLj3EEiiiiiiiiiiiliiliiiiil
	.p2align	8
	.type	_ZL15flash_attn_tileILi128ELi128ELi4ELi4ELb0EEvPKcS1_S1_S1_S1_PKiPfP15HIP_vector_typeIfLj2EEffffjfiS5_IjLj3EEiiiiiiiiiiiliiliiiiil,@function
_ZL15flash_attn_tileILi128ELi128ELi4ELi4ELb0EEvPKcS1_S1_S1_S1_PKiPfP15HIP_vector_typeIfLj2EEffffjfiS5_IjLj3EEiiiiiiiiiiiliiliiiiil: ; @_ZL15flash_attn_tileILi128ELi128ELi4ELi4ELb0EEvPKcS1_S1_S1_S1_PKiPfP15HIP_vector_typeIfLj2EEffffjfiS5_IjLj3EEiiiiiiiiiiiliiliiiiil
; %bb.0:
	s_clause 0x1
	s_load_dwordx4 s[36:39], s[4:5], 0x5c
	s_load_dwordx2 s[40:41], s[4:5], 0x80
	s_mov_b32 s34, s7
	s_mov_b64 s[42:43], 0
	s_waitcnt lgkmcnt(0)
	s_ashr_i32 s0, s39, 31
	s_lshr_b32 s0, s0, 30
	s_add_i32 s0, s39, s0
	s_ashr_i32 s0, s0, 2
	v_cvt_f32_u32_e32 v2, s0
	s_sub_i32 s2, 0, s0
	v_rcp_iflag_f32_e32 v2, v2
	v_mul_f32_e32 v2, 0x4f7ffffe, v2
	v_cvt_u32_f32_e32 v2, v2
	v_readfirstlane_b32 s1, v2
	s_mul_i32 s2, s2, s1
	s_mul_hi_u32 s2, s1, s2
	s_add_i32 s1, s1, s2
	s_mul_hi_u32 s1, s8, s1
	s_mul_i32 s2, s1, s0
	s_add_i32 s3, s1, 1
	s_sub_i32 s2, s8, s2
	s_sub_i32 s7, s2, s0
	s_cmp_ge_u32 s2, s0
	s_cselect_b32 s1, s3, s1
	s_cselect_b32 s2, s7, s2
	s_add_i32 s3, s1, 1
	s_cmp_ge_u32 s2, s0
	s_cselect_b32 s33, s3, s1
	s_abs_i32 s0, s41
	s_lshl_b32 s3, s8, 2
	v_cvt_f32_u32_e32 v2, s0
	s_sub_i32 s2, 0, s0
	s_abs_i32 s8, s39
	s_mul_i32 s7, s33, s39
	v_rcp_iflag_f32_e32 v2, v2
	s_sub_i32 s35, s3, s7
	v_mul_f32_e32 v2, 0x4f7ffffe, v2
	v_cvt_u32_f32_e32 v2, v2
	v_readfirstlane_b32 s1, v2
	s_mul_i32 s2, s2, s1
	s_mul_hi_u32 s2, s1, s2
	s_add_i32 s1, s1, s2
	s_xor_b32 s2, s39, s41
	s_mul_hi_u32 s1, s8, s1
	s_ashr_i32 s2, s2, 31
	s_mul_i32 s3, s1, s0
	s_add_i32 s7, s1, 1
	s_sub_i32 s3, s8, s3
	s_sub_i32 s8, s3, s0
	s_cmp_ge_u32 s3, s0
	s_cselect_b32 s1, s7, s1
	s_cselect_b32 s3, s8, s3
	s_add_i32 s7, s1, 1
	s_cmp_ge_u32 s3, s0
	s_clause 0x1
	s_load_dwordx16 s[16:31], s[4:5], 0x0
	s_load_dwordx2 s[8:9], s[4:5], 0xb8
	s_cselect_b32 s0, s7, s1
	s_xor_b32 s0, s0, s2
	s_sub_i32 s10, s0, s2
	s_abs_i32 s7, s10
	v_cvt_f32_u32_e32 v2, s7
	v_rcp_iflag_f32_e32 v2, v2
	s_waitcnt lgkmcnt(0)
	s_cmp_eq_u64 s[22:23], 0
	v_mul_f32_e32 v2, 0x4f7ffffe, v2
	v_cvt_u32_f32_e32 v2, v2
	v_readfirstlane_b32 s11, v2
	s_cbranch_scc1 .LBB24_2
; %bb.1:
	s_abs_i32 s2, s8
	s_abs_i32 s3, s33
	v_cvt_f32_u32_e32 v2, s2
	s_sub_i32 s1, 0, s2
	v_rcp_iflag_f32_e32 v2, v2
	v_mul_f32_e32 v2, 0x4f7ffffe, v2
	v_cvt_u32_f32_e32 v2, v2
	v_readfirstlane_b32 s0, v2
	s_mul_i32 s1, s1, s0
	s_mul_hi_u32 s1, s0, s1
	s_add_i32 s0, s0, s1
	s_mul_hi_u32 s8, s3, s0
	s_load_dwordx2 s[0:1], s[4:5], 0xc8
	s_mul_i32 s8, s8, s2
	s_sub_i32 s3, s3, s8
	s_ashr_i32 s8, s33, 31
	s_sub_i32 s12, s3, s2
	s_cmp_ge_u32 s3, s2
	s_cselect_b32 s3, s12, s3
	s_sub_i32 s12, s3, s2
	s_cmp_ge_u32 s3, s2
	s_cselect_b32 s2, s12, s3
	s_xor_b32 s2, s2, s8
	s_sub_i32 s2, s2, s8
	s_ashr_i32 s3, s2, 31
	s_waitcnt lgkmcnt(0)
	s_mul_hi_u32 s8, s0, s2
	s_mul_i32 s3, s0, s3
	s_mul_i32 s1, s1, s2
	s_add_i32 s3, s8, s3
	s_mul_i32 s0, s0, s2
	s_add_i32 s3, s3, s1
	s_add_u32 s42, s22, s0
	s_addc_u32 s43, s23, s3
.LBB24_2:
	v_lshrrev_b32_e32 v2, 1, v1
	s_load_dwordx4 s[0:3], s[4:5], 0x70
	v_lshlrev_b32_e32 v3, 1, v1
	v_lshlrev_b32_e32 v95, 3, v0
	;; [unrolled: 1-line block ×3, first 2 shown]
	v_lshl_add_u32 v57, s6, 2, v2
	v_or_b32_e32 v12, 1, v3
	v_and_b32_e32 v93, 2, v3
	v_or_b32_e32 v13, 0x9800, v95
	v_mul_hi_u32 v2, s36, v57
	v_and_b32_e32 v10, 3, v12
	v_add_nc_u32_e32 v14, v13, v1
	v_add_nc_u32_e32 v2, v57, v2
	s_waitcnt lgkmcnt(0)
	s_mul_i32 s3, s33, s2
	s_mul_i32 s8, s35, s1
	v_lshrrev_b32_e32 v2, s37, v2
	s_ashr_i32 s12, s3, 31
	s_add_u32 s3, s16, s3
	s_addc_u32 s12, s17, s12
	s_ashr_i32 s13, s8, 31
	v_mul_lo_u32 v2, v2, s38
	s_add_u32 s8, s3, s8
	s_mov_b32 s2, s1
	s_addc_u32 s14, s12, s13
	s_ashr_i32 s3, s1, 31
	s_ashr_i32 s1, s0, 31
	s_lshr_b64 s[12:13], s[0:1], 2
	v_sub_nc_u32_e32 v2, v57, v2
	s_lshr_b32 s1, s1, 2
	s_lshr_b32 s0, s3, 2
	v_mul_lo_u32 v11, s0, v93
	v_mad_u64_u32 v[4:5], null, s12, v2, 0
	s_lshr_b64 s[12:13], s[2:3], 2
	s_cmp_eq_u64 s[26:27], 0
	v_mad_u64_u32 v[8:9], null, s12, v93, 0
	v_mad_u64_u32 v[5:6], null, s1, v2, v[5:6]
	;; [unrolled: 1-line block ×3, first 2 shown]
	v_or_b32_e32 v9, v9, v11
	v_lshlrev_b64 v[4:5], 2, v[4:5]
	v_mad_u64_u32 v[10:11], null, s0, v10, v[7:8]
	v_lshlrev_b32_e32 v11, 4, v0
	v_lshlrev_b64 v[8:9], 2, v[8:9]
	v_add_co_u32 v4, vcc_lo, s8, v4
	v_add_co_ci_u32_e64 v5, null, s14, v5, vcc_lo
	v_mov_b32_e32 v7, v10
	v_add_co_u32 v10, vcc_lo, v4, v11
	v_add_co_ci_u32_e64 v11, null, 0, v5, vcc_lo
	v_lshlrev_b64 v[4:5], 2, v[6:7]
	v_add_co_u32 v6, vcc_lo, v10, v8
	v_add_co_ci_u32_e64 v7, null, v11, v9, vcc_lo
	s_load_dword s0, s[4:5], 0x40
	v_add_co_u32 v8, vcc_lo, v10, v4
	v_add_co_ci_u32_e64 v9, null, v11, v5, vcc_lo
	s_clause 0x1
	global_load_dwordx4 v[4:7], v[6:7], off
	global_load_dwordx4 v[8:11], v[8:9], off
	s_waitcnt vmcnt(1) lgkmcnt(0)
	v_fma_mixlo_f16 v4, s0, v4, 0
	v_fma_mixlo_f16 v5, s0, v5, 0
	s_waitcnt vmcnt(0)
	v_fma_mixlo_f16 v8, s0, v8, 0
	v_fma_mixlo_f16 v9, s0, v9, 0
	;; [unrolled: 1-line block ×4, first 2 shown]
	v_lshlrev_b32_e32 v5, 16, v5
	v_and_b32_e32 v4, 0xffff, v4
	v_fma_mixlo_f16 v10, s0, v10, 0
	v_fma_mixlo_f16 v11, s0, v11, 0
	v_lshlrev_b32_e32 v9, 16, v9
	v_and_b32_e32 v8, 0xffff, v8
	v_lshlrev_b32_e32 v7, 16, v7
	v_and_b32_e32 v6, 0xffff, v6
	v_or_b32_e32 v4, v5, v4
	v_lshlrev_b32_e32 v11, 16, v11
	v_and_b32_e32 v10, 0xffff, v10
	v_or_b32_e32 v8, v9, v8
	v_or3_b32 v5, v7, v6, 0
	v_or3_b32 v4, 0, 0, v4
	v_lshl_add_u32 v9, v12, 8, v13
	v_or3_b32 v7, v11, v10, 0
	v_or3_b32 v6, 0, 0, v8
	ds_write_b64 v14, v[4:5]
	ds_write_b64 v9, v[6:7]
	s_waitcnt lgkmcnt(0)
	s_barrier
	buffer_gl0_inv
	s_cbranch_scc1 .LBB24_4
; %bb.3:
	s_load_dword s0, s[4:5], 0xd0
	s_mov_b32 s1, 0
	s_waitcnt lgkmcnt(0)
	s_mul_i32 s0, s0, s33
	s_add_i32 s0, s0, s6
	s_lshl_b64 s[0:1], s[0:1], 2
	s_add_u32 s0, s26, s0
	s_addc_u32 s1, s27, s1
	s_load_dword s40, s[0:1], 0x0
.LBB24_4:
	v_mbcnt_lo_u32_b32 v96, -1, 0
	s_lshl_b32 s26, s34, 7
	s_waitcnt lgkmcnt(0)
	s_cmp_lt_i32 s26, s40
	s_cbranch_scc1 .LBB24_7
; %bb.5:
	v_mbcnt_lo_u32_b32 v4, -1, 0
	v_mov_b32_e32 v97, 32
	v_xor_b32_e32 v105, 16, v4
	v_xor_b32_e32 v101, 8, v4
	;; [unrolled: 1-line block ×5, first 2 shown]
	v_lshlrev_b32_e32 v94, 2, v0
	s_cbranch_execz .LBB24_8
; %bb.6:
	v_mov_b32_e32 v23, 0
	v_mov_b32_e32 v19, 0
	v_mov_b32_e32 v92, 0xfeffffff
	v_mov_b32_e32 v91, 0xfeffffff
	v_mov_b32_e32 v140, 0
	v_mov_b32_e32 v22, 0
	v_mov_b32_e32 v21, 0
	v_mov_b32_e32 v20, 0
	s_branch .LBB24_11
.LBB24_7:
                                        ; implicit-def: $vgpr4
                                        ; implicit-def: $vgpr97
                                        ; implicit-def: $vgpr105
                                        ; implicit-def: $vgpr101
                                        ; implicit-def: $vgpr100
                                        ; implicit-def: $vgpr99
                                        ; implicit-def: $vgpr98
	v_lshlrev_b32_e32 v94, 2, v0
.LBB24_8:
	s_clause 0x1
	s_load_dwordx4 s[0:3], s[4:5], 0x98
	s_load_dwordx2 s[12:13], s[4:5], 0x8c
	s_sub_i32 s6, 0, s7
	s_abs_i32 s8, s35
	s_mul_i32 s6, s6, s11
	s_ashr_i32 s16, s35, 31
	s_mul_hi_u32 s6, s11, s6
	s_ashr_i32 s10, s10, 31
	s_add_i32 s11, s11, s6
	s_ashr_i32 s6, s9, 1
	s_mul_hi_u32 s9, s8, s11
	s_ashr_i32 s11, s33, 31
	s_load_dwordx2 s[14:15], s[4:5], 0xa8
	s_mul_i32 s17, s9, s7
	v_lshrrev_b32_e32 v4, 4, v0
	v_add_nc_u32_e32 v102, 0x9800, v1
	v_mad_u64_u32 v[58:59], null, v2, s6, v[0:1]
	v_add_nc_u32_e32 v114, 0x8800, v1
	v_add_nc_u32_e32 v4, v4, v3
	s_waitcnt lgkmcnt(0)
	s_ashr_i32 s27, s2, 2
	s_ashr_i32 s36, s12, 2
	s_mul_hi_u32 s2, s0, s33
	s_mul_i32 s12, s0, s11
	s_mul_i32 s1, s1, s33
	s_add_i32 s2, s2, s12
	s_mul_i32 s0, s0, s33
	s_add_i32 s2, s2, s1
	s_add_u32 s0, s18, s0
	s_addc_u32 s1, s19, s2
	s_sub_i32 s8, s8, s17
	s_xor_b32 s2, s16, s10
	s_add_i32 s10, s9, 1
	s_sub_i32 s12, s8, s7
	s_cmp_ge_u32 s8, s7
	v_mul_lo_u32 v3, s36, v4
	s_cselect_b32 s9, s10, s9
	s_cselect_b32 s8, s12, s8
	s_add_i32 s10, s9, 1
	s_cmp_ge_u32 s8, s7
	s_mul_hi_u32 s8, s14, s33
	s_cselect_b32 s7, s10, s9
	s_mul_i32 s9, s14, s11
	s_xor_b32 s7, s7, s2
	v_mul_lo_u32 v11, s27, v4
	s_sub_i32 s2, s7, s2
	s_mul_i32 s7, s15, s33
	s_mul_i32 s10, s2, s13
	;; [unrolled: 1-line block ×3, first 2 shown]
	s_ashr_i32 s12, s10, 31
	s_add_u32 s37, s0, s10
	s_addc_u32 s41, s1, s12
	s_add_i32 s0, s8, s9
	s_mul_i32 s2, s2, s3
	s_add_i32 s0, s0, s7
	s_add_u32 s1, s20, s11
	s_addc_u32 s0, s21, s0
	s_ashr_i32 s3, s2, 31
	s_add_u32 s21, s1, s2
	s_addc_u32 s44, s0, s3
	s_lshl_b32 s0, s36, 4
	s_lshl_b32 s1, s27, 4
	v_add_nc_u32_e32 v5, s0, v3
	v_add_nc_u32_e32 v15, s1, v11
	v_and_b32_e32 v19, 60, v94
	v_ashrrev_i32_e32 v12, 31, v11
	v_mov_b32_e32 v20, 0
	v_add_nc_u32_e32 v7, s0, v5
	v_add_nc_u32_e32 v21, s1, v15
	v_lshlrev_b32_e32 v6, 2, v19
	v_ashrrev_i32_e32 v16, 31, v15
	v_lshlrev_b64 v[75:76], 2, v[11:12]
	v_add_nc_u32_e32 v9, s0, v7
	v_add_nc_u32_e32 v25, s1, v21
	v_mad_u32_u24 v103, 0x110, v4, v6
	v_lshl_or_b32 v106, v4, 8, v6
	v_ashrrev_i32_e32 v4, 31, v3
	v_add_nc_u32_e32 v13, s0, v9
	v_add_nc_u32_e32 v29, s1, v25
	v_ashrrev_i32_e32 v6, 31, v5
	v_ashrrev_i32_e32 v8, 31, v7
	v_ashrrev_i32_e32 v10, 31, v9
	v_add_nc_u32_e32 v17, s0, v13
	v_add_nc_u32_e32 v1, s1, v29
	v_ashrrev_i32_e32 v14, 31, v13
	v_ashrrev_i32_e32 v22, 31, v21
	;; [unrolled: 5-line block ×4, first 2 shown]
	v_lshlrev_b64 v[59:60], 2, v[3:4]
	v_ashrrev_i32_e32 v28, 31, v27
	v_ashrrev_i32_e32 v34, 31, v33
	v_lshlrev_b64 v[61:62], 2, v[5:6]
	v_lshlrev_b64 v[63:64], 2, v[7:8]
	;; [unrolled: 1-line block ×14, first 2 shown]
	v_mul_u32_u24_e32 v104, 0x110, v0
	v_add_nc_u32_e32 v107, 0x1100, v103
	v_add_nc_u32_e32 v108, 0x2200, v103
	;; [unrolled: 1-line block ×14, first 2 shown]
	v_mov_b32_e32 v91, 0xfeffffff
	v_lshlrev_b32_e32 v122, 2, v19
	v_mov_b32_e32 v97, 32
	v_xor_b32_e32 v105, 16, v96
	v_xor_b32_e32 v101, 8, v96
	;; [unrolled: 1-line block ×5, first 2 shown]
	v_add_nc_u32_e32 v123, v114, v94
	v_mov_b32_e32 v124, 0x10001
	v_add_nc_u32_e32 v125, 0x800, v95
	v_add_nc_u32_e32 v126, 0x1000, v95
	v_add_nc_u32_e32 v127, 0x1800, v95
	v_add_nc_u32_e32 v128, 0x2000, v95
	v_add_nc_u32_e32 v129, 0x2800, v95
	v_add_nc_u32_e32 v130, 0x3000, v95
	v_add_nc_u32_e32 v131, 0x3800, v95
	v_add_nc_u32_e32 v132, 0x4000, v95
	v_add_nc_u32_e32 v133, 0x4800, v95
	v_add_nc_u32_e32 v134, 0x5000, v95
	v_add_nc_u32_e32 v135, 0x5800, v95
	v_add_nc_u32_e32 v136, 0x6000, v95
	v_add_nc_u32_e32 v137, 0x6800, v95
	v_add_nc_u32_e32 v138, 0x7000, v95
	v_add_nc_u32_e32 v139, 0x7800, v95
	v_mov_b32_e32 v21, 0
	v_mov_b32_e32 v22, 0
	;; [unrolled: 1-line block ×6, first 2 shown]
	s_add_u32 s22, s4, 0xd0
	s_addc_u32 s23, s5, 0
.LBB24_9:                               ; =>This Inner Loop Header: Depth=1
	s_mul_hi_i32 s7, s26, s36
	s_mul_i32 s6, s26, s36
	v_add_nc_u32_e32 v1, s26, v58
	v_cmp_gt_i32_e32 vcc_lo, 32, v105
	s_lshl_b64 s[6:7], s[6:7], 2
	v_cmp_gt_i32_e64 s0, 32, v101
	v_cmp_gt_i32_e64 s2, 32, v99
	s_mul_hi_i32 s9, s26, s27
	s_mul_i32 s8, s26, s27
	v_cmp_gt_i32_e64 s1, 32, v100
	v_cmp_gt_i32_e64 s3, 32, v98
	s_add_u32 s12, s37, s6
	s_addc_u32 s13, s41, s7
	s_lshl_b64 s[10:11], s[8:9], 2
	v_add_co_u32 v15, s8, s12, v59
	v_cndmask_b32_e32 v3, v96, v105, vcc_lo
	v_ashrrev_i32_e32 v2, 31, v1
	v_add_co_u32 v8, vcc_lo, s12, v61
	s_add_u32 s9, s21, s10
	v_cndmask_b32_e64 v4, v96, v101, s0
	v_cndmask_b32_e64 v6, v96, v99, s2
	v_add_co_u32 v9, s0, s12, v63
	v_add_co_ci_u32_e64 v16, null, s13, v60, s8
	v_cndmask_b32_e64 v5, v96, v100, s1
	v_cndmask_b32_e64 v7, v96, v98, s3
	v_add_co_u32 v10, s1, s12, v65
	v_add_co_u32 v11, s2, s12, v67
	;; [unrolled: 1-line block ×5, first 2 shown]
	v_add_co_ci_u32_e64 v41, null, s13, v62, vcc_lo
	s_addc_u32 s10, s44, s11
	v_add_co_u32 v147, s8, s9, v89
	v_add_co_ci_u32_e64 v42, null, s13, v64, s0
	v_add_co_u32 v54, vcc_lo, s9, v75
	v_add_co_ci_u32_e64 v45, null, s13, v66, s1
	v_add_co_ci_u32_e64 v46, null, s13, v68, s2
	;; [unrolled: 1-line block ×5, first 2 shown]
	v_add_co_u32 v141, s0, s9, v77
	v_add_co_u32 v142, s1, s9, v79
	v_add_co_u32 v143, s2, s9, v81
	v_add_co_u32 v144, s3, s9, v83
	v_add_co_u32 v145, s6, s9, v85
	v_add_co_u32 v146, s7, s9, v87
	v_add_co_ci_u32_e64 v156, null, s10, v90, s8
	v_add_co_u32 v39, s8, v15, v122
	v_lshlrev_b64 v[17:18], 1, v[1:2]
	v_add_co_ci_u32_e64 v2, null, s10, v76, vcc_lo
	v_add_co_u32 v43, vcc_lo, v8, v122
	v_lshlrev_b32_e32 v37, 2, v4
	v_lshlrev_b32_e32 v35, 2, v6
	v_add_co_ci_u32_e64 v4, null, s10, v78, s0
	v_add_co_ci_u32_e64 v6, null, s10, v80, s1
	;; [unrolled: 1-line block ×6, first 2 shown]
	v_add_co_u32 v47, s0, v9, v122
	v_add_co_ci_u32_e64 v40, null, 0, v16, s8
	v_mov_b32_e32 v25, v91
	v_add_co_u32 v51, s1, v10, v122
	v_add_co_u32 v55, s2, v11, v122
	;; [unrolled: 1-line block ×5, first 2 shown]
	v_add_co_ci_u32_e64 v44, null, 0, v41, vcc_lo
	v_add_co_ci_u32_e64 v48, null, 0, v42, s0
	v_mov_b32_e32 v24, v92
	v_lshlrev_b32_e32 v38, 2, v3
	v_lshlrev_b32_e32 v36, 2, v5
	;; [unrolled: 1-line block ×3, first 2 shown]
	v_add_co_ci_u32_e64 v52, null, 0, v45, s1
	v_add_co_ci_u32_e64 v56, null, 0, v46, s2
	;; [unrolled: 1-line block ×5, first 2 shown]
	v_add_co_u32 v13, vcc_lo, v141, v122
	v_add_co_u32 v11, s0, v142, v122
	v_add_co_u32 v9, s1, v143, v122
	v_add_co_u32 v7, s2, v144, v122
	v_add_co_u32 v5, s3, v145, v122
	v_add_co_u32 v3, s6, v146, v122
	v_add_co_u32 v1, s7, v147, v122
	v_add_co_u32 v15, s8, v54, v122
	v_add_co_ci_u32_e64 v16, null, 0, v2, s8
	v_add_co_ci_u32_e64 v14, null, 0, v4, vcc_lo
	v_add_co_ci_u32_e64 v12, null, 0, v6, s0
	v_add_co_ci_u32_e64 v10, null, 0, v148, s1
	;; [unrolled: 1-line block ×6, first 2 shown]
	s_clause 0x7
	global_load_dwordx4 v[39:42], v[39:40], off
	global_load_dwordx4 v[43:46], v[43:44], off
	global_load_dwordx4 v[47:50], v[47:48], off
	global_load_dwordx4 v[51:54], v[51:52], off
	global_load_dwordx4 v[141:144], v[55:56], off
	global_load_dwordx4 v[145:148], v[91:92], off
	global_load_dwordx4 v[149:152], v[149:150], off
	global_load_dwordx4 v[153:156], v[153:154], off
	v_mov_b32_e32 v26, 0
	v_mov_b32_e32 v27, 0
	;; [unrolled: 1-line block ×8, first 2 shown]
	v_add_co_u32 v17, vcc_lo, s42, v17
	v_add_co_ci_u32_e64 v18, null, s43, v18, vcc_lo
	s_waitcnt vmcnt(7)
	ds_write_b128 v103, v[39:42]
	s_waitcnt vmcnt(6)
	ds_write_b128 v107, v[43:46]
	;; [unrolled: 2-line block ×8, first 2 shown]
	s_waitcnt lgkmcnt(0)
	s_barrier
	buffer_gl0_inv
	ds_read_b128 v[39:42], v104
	ds_read_b128 v[43:46], v102
	ds_read_b128 v[47:50], v102 offset:256
	ds_read_b128 v[51:54], v104 offset:8704
	;; [unrolled: 1-line block ×4, first 2 shown]
	s_waitcnt lgkmcnt(4)
	;;#ASMSTART
	v_dot2_f32_f16 v26, v39, v43, v26
	;;#ASMEND
	;;#ASMSTART
	v_dot2_f32_f16 v26, v40, v44, v26
	;;#ASMEND
	;;#ASMSTART
	v_dot2_f32_f16 v26, v41, v45, v26
	;;#ASMEND
	;;#ASMSTART
	v_dot2_f32_f16 v26, v42, v46, v26
	;;#ASMEND
	s_waitcnt lgkmcnt(3)
	;;#ASMSTART
	v_dot2_f32_f16 v27, v39, v47, v27
	;;#ASMEND
	;;#ASMSTART
	v_dot2_f32_f16 v27, v40, v48, v27
	;;#ASMEND
	;;#ASMSTART
	v_dot2_f32_f16 v27, v41, v49, v27
	;;#ASMEND
	;;#ASMSTART
	v_dot2_f32_f16 v27, v42, v50, v27
	;;#ASMEND
	;; [unrolled: 13-line block ×3, first 2 shown]
	;;#ASMSTART
	v_dot2_f32_f16 v29, v51, v47, v29
	;;#ASMEND
	;;#ASMSTART
	v_dot2_f32_f16 v29, v52, v48, v29
	;;#ASMEND
	;; [unrolled: 3-line block ×4, first 2 shown]
	s_waitcnt lgkmcnt(1)
	;;#ASMSTART
	v_dot2_f32_f16 v30, v141, v43, v30
	;;#ASMEND
	;;#ASMSTART
	v_dot2_f32_f16 v30, v142, v44, v30
	;;#ASMEND
	;; [unrolled: 3-line block ×8, first 2 shown]
	s_waitcnt lgkmcnt(0)
	;;#ASMSTART
	v_dot2_f32_f16 v32, v145, v43, v32
	;;#ASMEND
	;;#ASMSTART
	v_dot2_f32_f16 v32, v146, v44, v32
	;;#ASMEND
	;; [unrolled: 3-line block ×8, first 2 shown]
	ds_read_b128 v[39:42], v104 offset:16
	ds_read_b128 v[43:46], v102 offset:16
	;; [unrolled: 1-line block ×6, first 2 shown]
	s_waitcnt lgkmcnt(4)
	;;#ASMSTART
	v_dot2_f32_f16 v26, v39, v43, v26
	;;#ASMEND
	;;#ASMSTART
	v_dot2_f32_f16 v26, v40, v44, v26
	;;#ASMEND
	;;#ASMSTART
	v_dot2_f32_f16 v26, v41, v45, v26
	;;#ASMEND
	;;#ASMSTART
	v_dot2_f32_f16 v26, v42, v46, v26
	;;#ASMEND
	s_waitcnt lgkmcnt(3)
	;;#ASMSTART
	v_dot2_f32_f16 v27, v39, v47, v27
	;;#ASMEND
	;;#ASMSTART
	v_dot2_f32_f16 v27, v40, v48, v27
	;;#ASMEND
	;;#ASMSTART
	v_dot2_f32_f16 v27, v41, v49, v27
	;;#ASMEND
	;;#ASMSTART
	v_dot2_f32_f16 v27, v42, v50, v27
	;;#ASMEND
	;; [unrolled: 13-line block ×3, first 2 shown]
	;;#ASMSTART
	v_dot2_f32_f16 v29, v51, v47, v29
	;;#ASMEND
	;;#ASMSTART
	v_dot2_f32_f16 v29, v52, v48, v29
	;;#ASMEND
	;; [unrolled: 3-line block ×4, first 2 shown]
	s_waitcnt lgkmcnt(1)
	;;#ASMSTART
	v_dot2_f32_f16 v30, v141, v43, v30
	;;#ASMEND
	;;#ASMSTART
	v_dot2_f32_f16 v30, v142, v44, v30
	;;#ASMEND
	;; [unrolled: 3-line block ×8, first 2 shown]
	s_waitcnt lgkmcnt(0)
	;;#ASMSTART
	v_dot2_f32_f16 v32, v145, v43, v32
	;;#ASMEND
	;;#ASMSTART
	v_dot2_f32_f16 v32, v146, v44, v32
	;;#ASMEND
	;; [unrolled: 3-line block ×8, first 2 shown]
	ds_read_b128 v[39:42], v104 offset:32
	ds_read_b128 v[43:46], v102 offset:32
	;; [unrolled: 1-line block ×6, first 2 shown]
	s_waitcnt lgkmcnt(4)
	;;#ASMSTART
	v_dot2_f32_f16 v26, v39, v43, v26
	;;#ASMEND
	;;#ASMSTART
	v_dot2_f32_f16 v26, v40, v44, v26
	;;#ASMEND
	;;#ASMSTART
	v_dot2_f32_f16 v26, v41, v45, v26
	;;#ASMEND
	;;#ASMSTART
	v_dot2_f32_f16 v26, v42, v46, v26
	;;#ASMEND
	s_waitcnt lgkmcnt(3)
	;;#ASMSTART
	v_dot2_f32_f16 v27, v39, v47, v27
	;;#ASMEND
	;;#ASMSTART
	v_dot2_f32_f16 v27, v40, v48, v27
	;;#ASMEND
	;;#ASMSTART
	v_dot2_f32_f16 v27, v41, v49, v27
	;;#ASMEND
	;;#ASMSTART
	v_dot2_f32_f16 v27, v42, v50, v27
	;;#ASMEND
	;; [unrolled: 13-line block ×3, first 2 shown]
	;;#ASMSTART
	v_dot2_f32_f16 v29, v51, v47, v29
	;;#ASMEND
	;;#ASMSTART
	v_dot2_f32_f16 v29, v52, v48, v29
	;;#ASMEND
	;;#ASMSTART
	v_dot2_f32_f16 v29, v53, v49, v29
	;;#ASMEND
	;;#ASMSTART
	v_dot2_f32_f16 v29, v54, v50, v29
	;;#ASMEND
	s_waitcnt lgkmcnt(1)
	;;#ASMSTART
	v_dot2_f32_f16 v30, v141, v43, v30
	;;#ASMEND
	;;#ASMSTART
	v_dot2_f32_f16 v30, v142, v44, v30
	;;#ASMEND
	;; [unrolled: 3-line block ×8, first 2 shown]
	s_waitcnt lgkmcnt(0)
	;;#ASMSTART
	v_dot2_f32_f16 v32, v145, v43, v32
	;;#ASMEND
	;;#ASMSTART
	v_dot2_f32_f16 v32, v146, v44, v32
	;;#ASMEND
	;; [unrolled: 3-line block ×8, first 2 shown]
	ds_read_b128 v[39:42], v104 offset:48
	ds_read_b128 v[43:46], v102 offset:48
	;; [unrolled: 1-line block ×6, first 2 shown]
	s_waitcnt lgkmcnt(4)
	;;#ASMSTART
	v_dot2_f32_f16 v26, v39, v43, v26
	;;#ASMEND
	;;#ASMSTART
	v_dot2_f32_f16 v26, v40, v44, v26
	;;#ASMEND
	;;#ASMSTART
	v_dot2_f32_f16 v26, v41, v45, v26
	;;#ASMEND
	;;#ASMSTART
	v_dot2_f32_f16 v26, v42, v46, v26
	;;#ASMEND
	s_waitcnt lgkmcnt(3)
	;;#ASMSTART
	v_dot2_f32_f16 v27, v39, v47, v27
	;;#ASMEND
	;;#ASMSTART
	v_dot2_f32_f16 v27, v40, v48, v27
	;;#ASMEND
	;;#ASMSTART
	v_dot2_f32_f16 v27, v41, v49, v27
	;;#ASMEND
	;;#ASMSTART
	v_dot2_f32_f16 v27, v42, v50, v27
	;;#ASMEND
	;; [unrolled: 13-line block ×3, first 2 shown]
	;;#ASMSTART
	v_dot2_f32_f16 v29, v51, v47, v29
	;;#ASMEND
	;;#ASMSTART
	v_dot2_f32_f16 v29, v52, v48, v29
	;;#ASMEND
	;; [unrolled: 3-line block ×4, first 2 shown]
	s_waitcnt lgkmcnt(1)
	;;#ASMSTART
	v_dot2_f32_f16 v30, v141, v43, v30
	;;#ASMEND
	;;#ASMSTART
	v_dot2_f32_f16 v30, v142, v44, v30
	;;#ASMEND
	;; [unrolled: 3-line block ×8, first 2 shown]
	s_waitcnt lgkmcnt(0)
	;;#ASMSTART
	v_dot2_f32_f16 v32, v145, v43, v32
	;;#ASMEND
	;;#ASMSTART
	v_dot2_f32_f16 v32, v146, v44, v32
	;;#ASMEND
	;; [unrolled: 3-line block ×8, first 2 shown]
	ds_read_b128 v[39:42], v104 offset:64
	ds_read_b128 v[43:46], v102 offset:64
	;; [unrolled: 1-line block ×6, first 2 shown]
	s_waitcnt lgkmcnt(4)
	;;#ASMSTART
	v_dot2_f32_f16 v26, v39, v43, v26
	;;#ASMEND
	;;#ASMSTART
	v_dot2_f32_f16 v26, v40, v44, v26
	;;#ASMEND
	;;#ASMSTART
	v_dot2_f32_f16 v26, v41, v45, v26
	;;#ASMEND
	;;#ASMSTART
	v_dot2_f32_f16 v26, v42, v46, v26
	;;#ASMEND
	s_waitcnt lgkmcnt(3)
	;;#ASMSTART
	v_dot2_f32_f16 v27, v39, v47, v27
	;;#ASMEND
	;;#ASMSTART
	v_dot2_f32_f16 v27, v40, v48, v27
	;;#ASMEND
	;;#ASMSTART
	v_dot2_f32_f16 v27, v41, v49, v27
	;;#ASMEND
	;;#ASMSTART
	v_dot2_f32_f16 v27, v42, v50, v27
	;;#ASMEND
	;; [unrolled: 13-line block ×3, first 2 shown]
	;;#ASMSTART
	v_dot2_f32_f16 v29, v51, v47, v29
	;;#ASMEND
	;;#ASMSTART
	v_dot2_f32_f16 v29, v52, v48, v29
	;;#ASMEND
	;; [unrolled: 3-line block ×4, first 2 shown]
	s_waitcnt lgkmcnt(1)
	;;#ASMSTART
	v_dot2_f32_f16 v30, v141, v43, v30
	;;#ASMEND
	;;#ASMSTART
	v_dot2_f32_f16 v30, v142, v44, v30
	;;#ASMEND
	;; [unrolled: 3-line block ×8, first 2 shown]
	s_waitcnt lgkmcnt(0)
	;;#ASMSTART
	v_dot2_f32_f16 v32, v145, v43, v32
	;;#ASMEND
	;;#ASMSTART
	v_dot2_f32_f16 v32, v146, v44, v32
	;;#ASMEND
	;; [unrolled: 3-line block ×8, first 2 shown]
	ds_read_b128 v[39:42], v104 offset:80
	ds_read_b128 v[43:46], v102 offset:80
	;; [unrolled: 1-line block ×6, first 2 shown]
	s_waitcnt lgkmcnt(4)
	;;#ASMSTART
	v_dot2_f32_f16 v26, v39, v43, v26
	;;#ASMEND
	;;#ASMSTART
	v_dot2_f32_f16 v26, v40, v44, v26
	;;#ASMEND
	;;#ASMSTART
	v_dot2_f32_f16 v26, v41, v45, v26
	;;#ASMEND
	;;#ASMSTART
	v_dot2_f32_f16 v26, v42, v46, v26
	;;#ASMEND
	s_waitcnt lgkmcnt(3)
	;;#ASMSTART
	v_dot2_f32_f16 v27, v39, v47, v27
	;;#ASMEND
	;;#ASMSTART
	v_dot2_f32_f16 v27, v40, v48, v27
	;;#ASMEND
	;;#ASMSTART
	v_dot2_f32_f16 v27, v41, v49, v27
	;;#ASMEND
	;;#ASMSTART
	v_dot2_f32_f16 v27, v42, v50, v27
	;;#ASMEND
	s_waitcnt lgkmcnt(2)
	;;#ASMSTART
	v_dot2_f32_f16 v28, v51, v43, v28
	;;#ASMEND
	;;#ASMSTART
	v_dot2_f32_f16 v28, v52, v44, v28
	;;#ASMEND
	;;#ASMSTART
	v_dot2_f32_f16 v28, v53, v45, v28
	;;#ASMEND
	;;#ASMSTART
	v_dot2_f32_f16 v28, v54, v46, v28
	;;#ASMEND
	;;#ASMSTART
	v_dot2_f32_f16 v29, v51, v47, v29
	;;#ASMEND
	;;#ASMSTART
	v_dot2_f32_f16 v29, v52, v48, v29
	;;#ASMEND
	;; [unrolled: 3-line block ×4, first 2 shown]
	s_waitcnt lgkmcnt(1)
	;;#ASMSTART
	v_dot2_f32_f16 v30, v141, v43, v30
	;;#ASMEND
	;;#ASMSTART
	v_dot2_f32_f16 v30, v142, v44, v30
	;;#ASMEND
	;; [unrolled: 3-line block ×8, first 2 shown]
	s_waitcnt lgkmcnt(0)
	;;#ASMSTART
	v_dot2_f32_f16 v32, v145, v43, v32
	;;#ASMEND
	;;#ASMSTART
	v_dot2_f32_f16 v32, v146, v44, v32
	;;#ASMEND
	;; [unrolled: 3-line block ×8, first 2 shown]
	ds_read_b128 v[39:42], v104 offset:96
	ds_read_b128 v[43:46], v102 offset:96
	;; [unrolled: 1-line block ×6, first 2 shown]
	s_waitcnt lgkmcnt(4)
	;;#ASMSTART
	v_dot2_f32_f16 v26, v39, v43, v26
	;;#ASMEND
	;;#ASMSTART
	v_dot2_f32_f16 v26, v40, v44, v26
	;;#ASMEND
	;;#ASMSTART
	v_dot2_f32_f16 v26, v41, v45, v26
	;;#ASMEND
	;;#ASMSTART
	v_dot2_f32_f16 v26, v42, v46, v26
	;;#ASMEND
	s_waitcnt lgkmcnt(3)
	;;#ASMSTART
	v_dot2_f32_f16 v27, v39, v47, v27
	;;#ASMEND
	;;#ASMSTART
	v_dot2_f32_f16 v27, v40, v48, v27
	;;#ASMEND
	;;#ASMSTART
	v_dot2_f32_f16 v27, v41, v49, v27
	;;#ASMEND
	;;#ASMSTART
	v_dot2_f32_f16 v27, v42, v50, v27
	;;#ASMEND
	;; [unrolled: 13-line block ×3, first 2 shown]
	;;#ASMSTART
	v_dot2_f32_f16 v29, v51, v47, v29
	;;#ASMEND
	;;#ASMSTART
	v_dot2_f32_f16 v29, v52, v48, v29
	;;#ASMEND
	;; [unrolled: 3-line block ×4, first 2 shown]
	s_waitcnt lgkmcnt(1)
	;;#ASMSTART
	v_dot2_f32_f16 v30, v141, v43, v30
	;;#ASMEND
	;;#ASMSTART
	v_dot2_f32_f16 v30, v142, v44, v30
	;;#ASMEND
	;; [unrolled: 3-line block ×8, first 2 shown]
	s_waitcnt lgkmcnt(0)
	;;#ASMSTART
	v_dot2_f32_f16 v32, v145, v43, v32
	;;#ASMEND
	;;#ASMSTART
	v_dot2_f32_f16 v32, v146, v44, v32
	;;#ASMEND
	;; [unrolled: 3-line block ×8, first 2 shown]
	ds_read_b128 v[39:42], v104 offset:112
	ds_read_b128 v[43:46], v102 offset:112
	;; [unrolled: 1-line block ×6, first 2 shown]
	s_waitcnt lgkmcnt(4)
	;;#ASMSTART
	v_dot2_f32_f16 v26, v39, v43, v26
	;;#ASMEND
	;;#ASMSTART
	v_dot2_f32_f16 v26, v40, v44, v26
	;;#ASMEND
	;;#ASMSTART
	v_dot2_f32_f16 v26, v41, v45, v26
	;;#ASMEND
	;;#ASMSTART
	v_dot2_f32_f16 v26, v42, v46, v26
	;;#ASMEND
	s_waitcnt lgkmcnt(3)
	;;#ASMSTART
	v_dot2_f32_f16 v27, v39, v47, v27
	;;#ASMEND
	;;#ASMSTART
	v_dot2_f32_f16 v27, v40, v48, v27
	;;#ASMEND
	;;#ASMSTART
	v_dot2_f32_f16 v27, v41, v49, v27
	;;#ASMEND
	;;#ASMSTART
	v_dot2_f32_f16 v27, v42, v50, v27
	;;#ASMEND
	;; [unrolled: 13-line block ×3, first 2 shown]
	;;#ASMSTART
	v_dot2_f32_f16 v29, v51, v47, v29
	;;#ASMEND
	;;#ASMSTART
	v_dot2_f32_f16 v29, v52, v48, v29
	;;#ASMEND
	;;#ASMSTART
	v_dot2_f32_f16 v29, v53, v49, v29
	;;#ASMEND
	;;#ASMSTART
	v_dot2_f32_f16 v29, v54, v50, v29
	;;#ASMEND
	s_waitcnt lgkmcnt(1)
	;;#ASMSTART
	v_dot2_f32_f16 v30, v141, v43, v30
	;;#ASMEND
	;;#ASMSTART
	v_dot2_f32_f16 v30, v142, v44, v30
	;;#ASMEND
	;; [unrolled: 3-line block ×8, first 2 shown]
	s_waitcnt lgkmcnt(0)
	;;#ASMSTART
	v_dot2_f32_f16 v32, v145, v43, v32
	;;#ASMEND
	;;#ASMSTART
	v_dot2_f32_f16 v32, v146, v44, v32
	;;#ASMEND
	;; [unrolled: 3-line block ×8, first 2 shown]
	ds_read_b128 v[39:42], v104 offset:128
	ds_read_b128 v[43:46], v102 offset:128
	ds_read_b128 v[47:50], v102 offset:384
	ds_read_b128 v[51:54], v104 offset:8832
	ds_read_b128 v[141:144], v104 offset:17536
	ds_read_b128 v[145:148], v104 offset:26240
	s_waitcnt lgkmcnt(4)
	;;#ASMSTART
	v_dot2_f32_f16 v26, v39, v43, v26
	;;#ASMEND
	;;#ASMSTART
	v_dot2_f32_f16 v26, v40, v44, v26
	;;#ASMEND
	;;#ASMSTART
	v_dot2_f32_f16 v26, v41, v45, v26
	;;#ASMEND
	;;#ASMSTART
	v_dot2_f32_f16 v26, v42, v46, v26
	;;#ASMEND
	s_waitcnt lgkmcnt(3)
	;;#ASMSTART
	v_dot2_f32_f16 v27, v39, v47, v27
	;;#ASMEND
	;;#ASMSTART
	v_dot2_f32_f16 v27, v40, v48, v27
	;;#ASMEND
	;;#ASMSTART
	v_dot2_f32_f16 v27, v41, v49, v27
	;;#ASMEND
	;;#ASMSTART
	v_dot2_f32_f16 v27, v42, v50, v27
	;;#ASMEND
	;; [unrolled: 13-line block ×3, first 2 shown]
	;;#ASMSTART
	v_dot2_f32_f16 v29, v51, v47, v29
	;;#ASMEND
	;;#ASMSTART
	v_dot2_f32_f16 v29, v52, v48, v29
	;;#ASMEND
	;; [unrolled: 3-line block ×4, first 2 shown]
	s_waitcnt lgkmcnt(1)
	;;#ASMSTART
	v_dot2_f32_f16 v30, v141, v43, v30
	;;#ASMEND
	;;#ASMSTART
	v_dot2_f32_f16 v30, v142, v44, v30
	;;#ASMEND
	;; [unrolled: 3-line block ×8, first 2 shown]
	s_waitcnt lgkmcnt(0)
	;;#ASMSTART
	v_dot2_f32_f16 v32, v145, v43, v32
	;;#ASMEND
	;;#ASMSTART
	v_dot2_f32_f16 v32, v146, v44, v32
	;;#ASMEND
	;; [unrolled: 3-line block ×8, first 2 shown]
	ds_read_b128 v[39:42], v104 offset:144
	ds_read_b128 v[43:46], v102 offset:144
	;; [unrolled: 1-line block ×6, first 2 shown]
	s_waitcnt lgkmcnt(4)
	;;#ASMSTART
	v_dot2_f32_f16 v26, v39, v43, v26
	;;#ASMEND
	;;#ASMSTART
	v_dot2_f32_f16 v26, v40, v44, v26
	;;#ASMEND
	;;#ASMSTART
	v_dot2_f32_f16 v26, v41, v45, v26
	;;#ASMEND
	;;#ASMSTART
	v_dot2_f32_f16 v26, v42, v46, v26
	;;#ASMEND
	s_waitcnt lgkmcnt(3)
	;;#ASMSTART
	v_dot2_f32_f16 v27, v39, v47, v27
	;;#ASMEND
	;;#ASMSTART
	v_dot2_f32_f16 v27, v40, v48, v27
	;;#ASMEND
	;;#ASMSTART
	v_dot2_f32_f16 v27, v41, v49, v27
	;;#ASMEND
	;;#ASMSTART
	v_dot2_f32_f16 v27, v42, v50, v27
	;;#ASMEND
	;; [unrolled: 13-line block ×3, first 2 shown]
	;;#ASMSTART
	v_dot2_f32_f16 v29, v51, v47, v29
	;;#ASMEND
	;;#ASMSTART
	v_dot2_f32_f16 v29, v52, v48, v29
	;;#ASMEND
	;; [unrolled: 3-line block ×4, first 2 shown]
	s_waitcnt lgkmcnt(1)
	;;#ASMSTART
	v_dot2_f32_f16 v30, v141, v43, v30
	;;#ASMEND
	;;#ASMSTART
	v_dot2_f32_f16 v30, v142, v44, v30
	;;#ASMEND
	;; [unrolled: 3-line block ×8, first 2 shown]
	s_waitcnt lgkmcnt(0)
	;;#ASMSTART
	v_dot2_f32_f16 v32, v145, v43, v32
	;;#ASMEND
	;;#ASMSTART
	v_dot2_f32_f16 v32, v146, v44, v32
	;;#ASMEND
	;; [unrolled: 3-line block ×8, first 2 shown]
	ds_read_b128 v[39:42], v104 offset:160
	ds_read_b128 v[43:46], v102 offset:160
	;; [unrolled: 1-line block ×6, first 2 shown]
	s_waitcnt lgkmcnt(4)
	;;#ASMSTART
	v_dot2_f32_f16 v26, v39, v43, v26
	;;#ASMEND
	;;#ASMSTART
	v_dot2_f32_f16 v26, v40, v44, v26
	;;#ASMEND
	;;#ASMSTART
	v_dot2_f32_f16 v26, v41, v45, v26
	;;#ASMEND
	;;#ASMSTART
	v_dot2_f32_f16 v26, v42, v46, v26
	;;#ASMEND
	s_waitcnt lgkmcnt(3)
	;;#ASMSTART
	v_dot2_f32_f16 v27, v39, v47, v27
	;;#ASMEND
	;;#ASMSTART
	v_dot2_f32_f16 v27, v40, v48, v27
	;;#ASMEND
	;;#ASMSTART
	v_dot2_f32_f16 v27, v41, v49, v27
	;;#ASMEND
	;;#ASMSTART
	v_dot2_f32_f16 v27, v42, v50, v27
	;;#ASMEND
	;; [unrolled: 13-line block ×3, first 2 shown]
	;;#ASMSTART
	v_dot2_f32_f16 v29, v51, v47, v29
	;;#ASMEND
	;;#ASMSTART
	v_dot2_f32_f16 v29, v52, v48, v29
	;;#ASMEND
	;; [unrolled: 3-line block ×4, first 2 shown]
	s_waitcnt lgkmcnt(1)
	;;#ASMSTART
	v_dot2_f32_f16 v30, v141, v43, v30
	;;#ASMEND
	;;#ASMSTART
	v_dot2_f32_f16 v30, v142, v44, v30
	;;#ASMEND
	;; [unrolled: 3-line block ×8, first 2 shown]
	s_waitcnt lgkmcnt(0)
	;;#ASMSTART
	v_dot2_f32_f16 v32, v145, v43, v32
	;;#ASMEND
	;;#ASMSTART
	v_dot2_f32_f16 v32, v146, v44, v32
	;;#ASMEND
	;; [unrolled: 3-line block ×8, first 2 shown]
	ds_read_b128 v[39:42], v104 offset:176
	ds_read_b128 v[43:46], v102 offset:176
	;; [unrolled: 1-line block ×6, first 2 shown]
	s_waitcnt lgkmcnt(4)
	;;#ASMSTART
	v_dot2_f32_f16 v26, v39, v43, v26
	;;#ASMEND
	;;#ASMSTART
	v_dot2_f32_f16 v26, v40, v44, v26
	;;#ASMEND
	;;#ASMSTART
	v_dot2_f32_f16 v26, v41, v45, v26
	;;#ASMEND
	;;#ASMSTART
	v_dot2_f32_f16 v26, v42, v46, v26
	;;#ASMEND
	s_waitcnt lgkmcnt(3)
	;;#ASMSTART
	v_dot2_f32_f16 v27, v39, v47, v27
	;;#ASMEND
	;;#ASMSTART
	v_dot2_f32_f16 v27, v40, v48, v27
	;;#ASMEND
	;;#ASMSTART
	v_dot2_f32_f16 v27, v41, v49, v27
	;;#ASMEND
	;;#ASMSTART
	v_dot2_f32_f16 v27, v42, v50, v27
	;;#ASMEND
	;; [unrolled: 13-line block ×3, first 2 shown]
	;;#ASMSTART
	v_dot2_f32_f16 v29, v51, v47, v29
	;;#ASMEND
	;;#ASMSTART
	v_dot2_f32_f16 v29, v52, v48, v29
	;;#ASMEND
	;; [unrolled: 3-line block ×4, first 2 shown]
	s_waitcnt lgkmcnt(1)
	;;#ASMSTART
	v_dot2_f32_f16 v30, v141, v43, v30
	;;#ASMEND
	;;#ASMSTART
	v_dot2_f32_f16 v30, v142, v44, v30
	;;#ASMEND
	;; [unrolled: 3-line block ×8, first 2 shown]
	s_waitcnt lgkmcnt(0)
	;;#ASMSTART
	v_dot2_f32_f16 v32, v145, v43, v32
	;;#ASMEND
	;;#ASMSTART
	v_dot2_f32_f16 v32, v146, v44, v32
	;;#ASMEND
	;;#ASMSTART
	v_dot2_f32_f16 v32, v147, v45, v32
	;;#ASMEND
	;;#ASMSTART
	v_dot2_f32_f16 v32, v148, v46, v32
	;;#ASMEND
	;;#ASMSTART
	v_dot2_f32_f16 v33, v145, v47, v33
	;;#ASMEND
	;;#ASMSTART
	v_dot2_f32_f16 v33, v146, v48, v33
	;;#ASMEND
	;;#ASMSTART
	v_dot2_f32_f16 v33, v147, v49, v33
	;;#ASMEND
	;;#ASMSTART
	v_dot2_f32_f16 v33, v148, v50, v33
	;;#ASMEND
	ds_read_b128 v[39:42], v104 offset:192
	ds_read_b128 v[43:46], v102 offset:192
	;; [unrolled: 1-line block ×6, first 2 shown]
	s_waitcnt lgkmcnt(4)
	;;#ASMSTART
	v_dot2_f32_f16 v26, v39, v43, v26
	;;#ASMEND
	;;#ASMSTART
	v_dot2_f32_f16 v26, v40, v44, v26
	;;#ASMEND
	;;#ASMSTART
	v_dot2_f32_f16 v26, v41, v45, v26
	;;#ASMEND
	;;#ASMSTART
	v_dot2_f32_f16 v26, v42, v46, v26
	;;#ASMEND
	s_waitcnt lgkmcnt(3)
	;;#ASMSTART
	v_dot2_f32_f16 v27, v39, v47, v27
	;;#ASMEND
	;;#ASMSTART
	v_dot2_f32_f16 v27, v40, v48, v27
	;;#ASMEND
	;;#ASMSTART
	v_dot2_f32_f16 v27, v41, v49, v27
	;;#ASMEND
	;;#ASMSTART
	v_dot2_f32_f16 v27, v42, v50, v27
	;;#ASMEND
	;; [unrolled: 13-line block ×3, first 2 shown]
	;;#ASMSTART
	v_dot2_f32_f16 v29, v51, v47, v29
	;;#ASMEND
	;;#ASMSTART
	v_dot2_f32_f16 v29, v52, v48, v29
	;;#ASMEND
	;; [unrolled: 3-line block ×4, first 2 shown]
	s_waitcnt lgkmcnt(1)
	;;#ASMSTART
	v_dot2_f32_f16 v30, v141, v43, v30
	;;#ASMEND
	;;#ASMSTART
	v_dot2_f32_f16 v30, v142, v44, v30
	;;#ASMEND
	;; [unrolled: 3-line block ×8, first 2 shown]
	s_waitcnt lgkmcnt(0)
	;;#ASMSTART
	v_dot2_f32_f16 v32, v145, v43, v32
	;;#ASMEND
	;;#ASMSTART
	v_dot2_f32_f16 v32, v146, v44, v32
	;;#ASMEND
	;; [unrolled: 3-line block ×8, first 2 shown]
	ds_read_b128 v[39:42], v104 offset:208
	ds_read_b128 v[43:46], v102 offset:208
	;; [unrolled: 1-line block ×6, first 2 shown]
	s_waitcnt lgkmcnt(4)
	;;#ASMSTART
	v_dot2_f32_f16 v26, v39, v43, v26
	;;#ASMEND
	;;#ASMSTART
	v_dot2_f32_f16 v26, v40, v44, v26
	;;#ASMEND
	;;#ASMSTART
	v_dot2_f32_f16 v26, v41, v45, v26
	;;#ASMEND
	;;#ASMSTART
	v_dot2_f32_f16 v26, v42, v46, v26
	;;#ASMEND
	s_waitcnt lgkmcnt(3)
	;;#ASMSTART
	v_dot2_f32_f16 v27, v39, v47, v27
	;;#ASMEND
	;;#ASMSTART
	v_dot2_f32_f16 v27, v40, v48, v27
	;;#ASMEND
	;;#ASMSTART
	v_dot2_f32_f16 v27, v41, v49, v27
	;;#ASMEND
	;;#ASMSTART
	v_dot2_f32_f16 v27, v42, v50, v27
	;;#ASMEND
	;; [unrolled: 13-line block ×3, first 2 shown]
	;;#ASMSTART
	v_dot2_f32_f16 v29, v51, v47, v29
	;;#ASMEND
	;;#ASMSTART
	v_dot2_f32_f16 v29, v52, v48, v29
	;;#ASMEND
	;; [unrolled: 3-line block ×4, first 2 shown]
	s_waitcnt lgkmcnt(1)
	;;#ASMSTART
	v_dot2_f32_f16 v30, v141, v43, v30
	;;#ASMEND
	;;#ASMSTART
	v_dot2_f32_f16 v30, v142, v44, v30
	;;#ASMEND
	;; [unrolled: 3-line block ×8, first 2 shown]
	s_waitcnt lgkmcnt(0)
	;;#ASMSTART
	v_dot2_f32_f16 v32, v145, v43, v32
	;;#ASMEND
	;;#ASMSTART
	v_dot2_f32_f16 v32, v146, v44, v32
	;;#ASMEND
	;; [unrolled: 3-line block ×8, first 2 shown]
	ds_read_b128 v[39:42], v104 offset:224
	ds_read_b128 v[43:46], v102 offset:224
	;; [unrolled: 1-line block ×6, first 2 shown]
	s_waitcnt lgkmcnt(4)
	;;#ASMSTART
	v_dot2_f32_f16 v26, v39, v43, v26
	;;#ASMEND
	;;#ASMSTART
	v_dot2_f32_f16 v26, v40, v44, v26
	;;#ASMEND
	;;#ASMSTART
	v_dot2_f32_f16 v26, v41, v45, v26
	;;#ASMEND
	;;#ASMSTART
	v_dot2_f32_f16 v26, v42, v46, v26
	;;#ASMEND
	s_waitcnt lgkmcnt(3)
	;;#ASMSTART
	v_dot2_f32_f16 v27, v39, v47, v27
	;;#ASMEND
	;;#ASMSTART
	v_dot2_f32_f16 v27, v40, v48, v27
	;;#ASMEND
	;;#ASMSTART
	v_dot2_f32_f16 v27, v41, v49, v27
	;;#ASMEND
	;;#ASMSTART
	v_dot2_f32_f16 v27, v42, v50, v27
	;;#ASMEND
	s_waitcnt lgkmcnt(2)
	;;#ASMSTART
	v_dot2_f32_f16 v28, v51, v43, v28
	;;#ASMEND
	;;#ASMSTART
	v_dot2_f32_f16 v28, v52, v44, v28
	;;#ASMEND
	;;#ASMSTART
	v_dot2_f32_f16 v28, v53, v45, v28
	;;#ASMEND
	;;#ASMSTART
	v_dot2_f32_f16 v28, v54, v46, v28
	;;#ASMEND
	;;#ASMSTART
	v_dot2_f32_f16 v29, v51, v47, v29
	;;#ASMEND
	;;#ASMSTART
	v_dot2_f32_f16 v29, v52, v48, v29
	;;#ASMEND
	;; [unrolled: 3-line block ×4, first 2 shown]
	s_waitcnt lgkmcnt(1)
	;;#ASMSTART
	v_dot2_f32_f16 v30, v141, v43, v30
	;;#ASMEND
	;;#ASMSTART
	v_dot2_f32_f16 v30, v142, v44, v30
	;;#ASMEND
	;; [unrolled: 3-line block ×8, first 2 shown]
	s_waitcnt lgkmcnt(0)
	;;#ASMSTART
	v_dot2_f32_f16 v32, v145, v43, v32
	;;#ASMEND
	;;#ASMSTART
	v_dot2_f32_f16 v32, v146, v44, v32
	;;#ASMEND
	;; [unrolled: 3-line block ×8, first 2 shown]
	ds_read_b128 v[39:42], v104 offset:240
	ds_read_b128 v[43:46], v102 offset:240
	;; [unrolled: 1-line block ×6, first 2 shown]
	s_waitcnt lgkmcnt(4)
	;;#ASMSTART
	v_dot2_f32_f16 v26, v39, v43, v26
	;;#ASMEND
	;;#ASMSTART
	v_dot2_f32_f16 v26, v40, v44, v26
	;;#ASMEND
	;;#ASMSTART
	v_dot2_f32_f16 v26, v41, v45, v26
	;;#ASMEND
	;;#ASMSTART
	v_dot2_f32_f16 v26, v42, v46, v26
	;;#ASMEND
	s_waitcnt lgkmcnt(3)
	;;#ASMSTART
	v_dot2_f32_f16 v27, v39, v47, v27
	;;#ASMEND
	;;#ASMSTART
	v_dot2_f32_f16 v27, v40, v48, v27
	;;#ASMEND
	;;#ASMSTART
	v_dot2_f32_f16 v27, v41, v49, v27
	;;#ASMEND
	;;#ASMSTART
	v_dot2_f32_f16 v27, v42, v50, v27
	;;#ASMEND
	;; [unrolled: 13-line block ×3, first 2 shown]
	;;#ASMSTART
	v_dot2_f32_f16 v29, v51, v47, v29
	;;#ASMEND
	;;#ASMSTART
	v_dot2_f32_f16 v29, v52, v48, v29
	;;#ASMEND
	;; [unrolled: 3-line block ×4, first 2 shown]
	s_waitcnt lgkmcnt(1)
	;;#ASMSTART
	v_dot2_f32_f16 v30, v141, v43, v30
	;;#ASMEND
	;;#ASMSTART
	v_dot2_f32_f16 v30, v142, v44, v30
	;;#ASMEND
	;; [unrolled: 3-line block ×8, first 2 shown]
	s_waitcnt lgkmcnt(0)
	;;#ASMSTART
	v_dot2_f32_f16 v32, v145, v43, v32
	;;#ASMEND
	;;#ASMSTART
	v_dot2_f32_f16 v32, v146, v44, v32
	;;#ASMEND
	;; [unrolled: 3-line block ×8, first 2 shown]
	s_clause 0x3
	global_load_ushort v55, v[17:18], off
	global_load_ushort v56, v[17:18], off offset:64
	global_load_ushort v91, v[17:18], off offset:128
	;; [unrolled: 1-line block ×3, first 2 shown]
	s_waitcnt vmcnt(0)
	s_barrier
	buffer_gl0_inv
	s_clause 0x7
	global_load_dwordx4 v[15:18], v[15:16], off
	global_load_dwordx4 v[39:42], v[13:14], off
	;; [unrolled: 1-line block ×8, first 2 shown]
	v_cvt_f32_f16_e32 v1, v55
	v_cvt_f32_f16_e32 v2, v56
	;; [unrolled: 1-line block ×4, first 2 shown]
	v_add_f32_e32 v5, v26, v1
	v_add_f32_e32 v6, v28, v2
	;; [unrolled: 1-line block ×14, first 2 shown]
	v_max3_f32 v9, v25, v9, v10
	v_add_f32_e32 v30, 0x40051340, v3
	v_add_f32_e32 v31, 0x40051340, v4
	v_max3_f32 v10, v24, v28, v29
	v_max3_f32 v9, v9, v26, v27
	v_max3_f32 v10, v10, v30, v31
	ds_bpermute_b32 v26, v38, v9
	ds_bpermute_b32 v27, v38, v10
	s_waitcnt lgkmcnt(1)
	v_max_f32_e32 v26, v26, v26
	s_waitcnt lgkmcnt(0)
	v_max_f32_e32 v27, v27, v27
	v_max_f32_e32 v9, v9, v26
	v_max_f32_e32 v10, v10, v27
	ds_bpermute_b32 v26, v37, v9
	ds_bpermute_b32 v27, v37, v10
	s_waitcnt lgkmcnt(1)
	v_max_f32_e32 v26, v26, v26
	s_waitcnt lgkmcnt(0)
	v_max_f32_e32 v27, v27, v27
	v_max_f32_e32 v9, v9, v26
	v_max_f32_e32 v10, v10, v27
	;; [unrolled: 8-line block ×5, first 2 shown]
	v_sub_f32_e32 v6, v6, v91
	v_sub_f32_e32 v5, v5, v91
	;; [unrolled: 1-line block ×7, first 2 shown]
	v_mul_f32_e32 v25, 0x3fb8aa3b, v6
	v_sub_f32_e32 v10, v24, v92
	v_sub_f32_e32 v3, v3, v92
	;; [unrolled: 1-line block ×3, first 2 shown]
	v_mul_f32_e32 v24, 0x3fb8aa3b, v5
	v_mul_f32_e32 v26, 0x3fb8aa3b, v7
	;; [unrolled: 1-line block ×6, first 2 shown]
	v_fma_f32 v36, 0x3fb8aa3b, v6, -v25
	v_mul_f32_e32 v31, 0x3fb8aa3b, v3
	v_mul_f32_e32 v32, 0x3fb8aa3b, v4
	v_fma_f32 v34, 0x3fb8aa3b, v5, -v24
	v_fma_f32 v38, 0x3fb8aa3b, v7, -v26
	v_fma_f32 v56, 0x3fb8aa3b, v8, -v27
	v_fma_f32 v144, 0x3fb8aa3b, v1, -v29
	v_cmp_ngt_f32_e64 s1, 0xc2ce8ed0, v6
	v_cmp_nlt_f32_e64 s12, 0x42b17218, v6
	v_fma_f32 v142, 0x3fb8aa3b, v9, -v28
	v_fmac_f32_e32 v36, 0x32a5705f, v6
	v_fma_f32 v6, 0x3fb8aa3b, v2, -v30
	v_mul_f32_e32 v33, 0x3fb8aa3b, v10
	v_cmp_ngt_f32_e64 s2, 0xc2ce8ed0, v7
	v_cmp_ngt_f32_e64 s3, 0xc2ce8ed0, v8
	;; [unrolled: 1-line block ×4, first 2 shown]
	v_cmp_nlt_f32_e64 s13, 0x42b17218, v7
	v_cmp_nlt_f32_e64 s14, 0x42b17218, v8
	;; [unrolled: 1-line block ×4, first 2 shown]
	v_rndne_f32_e32 v35, v24
	v_rndne_f32_e32 v37, v25
	;; [unrolled: 1-line block ×5, first 2 shown]
	v_fmac_f32_e32 v34, 0x32a5705f, v5
	v_rndne_f32_e32 v5, v29
	v_fmac_f32_e32 v38, 0x32a5705f, v7
	v_rndne_f32_e32 v7, v30
	v_fmac_f32_e32 v56, 0x32a5705f, v8
	v_fma_f32 v8, 0x3fb8aa3b, v3, -v31
	v_fmac_f32_e32 v144, 0x32a5705f, v1
	v_fma_f32 v1, 0x3fb8aa3b, v4, -v32
	v_cmp_ngt_f32_e64 s6, 0xc2ce8ed0, v9
	v_cmp_ngt_f32_e64 s8, 0xc2ce8ed0, v2
	v_cmp_nlt_f32_e64 s15, 0x42b17218, v9
	v_cmp_nlt_f32_e64 s17, 0x42b17218, v2
	v_fmac_f32_e32 v142, 0x32a5705f, v9
	v_rndne_f32_e32 v9, v31
	v_fmac_f32_e32 v6, 0x32a5705f, v2
	v_rndne_f32_e32 v2, v32
	v_cmp_ngt_f32_e64 s9, 0xc2ce8ed0, v3
	v_cmp_ngt_f32_e64 s10, 0xc2ce8ed0, v4
	v_cmp_nlt_f32_e64 s18, 0x42b17218, v3
	v_cmp_nlt_f32_e64 s19, 0x42b17218, v4
	v_fmac_f32_e32 v8, 0x32a5705f, v3
	v_fma_f32 v3, 0x3fb8aa3b, v10, -v33
	v_fmac_f32_e32 v1, 0x32a5705f, v4
	v_rndne_f32_e32 v4, v33
	v_sub_f32_e32 v24, v24, v35
	v_sub_f32_e32 v25, v25, v37
	;; [unrolled: 1-line block ×9, first 2 shown]
	v_cmp_ngt_f32_e32 vcc_lo, 0xc2ce8ed0, v10
	v_cmp_nlt_f32_e64 s0, 0x42b17218, v10
	v_fmac_f32_e32 v3, 0x32a5705f, v10
	v_sub_f32_e32 v10, v33, v4
	v_add_f32_e32 v24, v24, v34
	v_add_f32_e32 v25, v25, v36
	;; [unrolled: 1-line block ×10, first 2 shown]
	v_exp_f32_e32 v10, v24
	v_exp_f32_e32 v24, v25
	;; [unrolled: 1-line block ×9, first 2 shown]
	v_cvt_i32_f32_e32 v35, v35
	v_cvt_i32_f32_e32 v37, v37
	;; [unrolled: 1-line block ×5, first 2 shown]
	v_exp_f32_e32 v3, v3
	v_cvt_i32_f32_e32 v141, v141
	v_cvt_i32_f32_e32 v9, v9
	;; [unrolled: 1-line block ×5, first 2 shown]
	v_ldexp_f32 v10, v10, v35
	v_ldexp_f32 v24, v24, v37
	;; [unrolled: 1-line block ×10, first 2 shown]
	v_cndmask_b32_e64 v2, 0, v10, s11
	v_cndmask_b32_e64 v3, 0, v24, s1
	;; [unrolled: 1-line block ×18, first 2 shown]
	v_cvt_f16_f32_e32 v8, v1
	v_cvt_f16_f32_e32 v9, v3
	;; [unrolled: 1-line block ×9, first 2 shown]
	v_pack_b32_f16 v8, v8, v25
	v_pack_b32_f16 v9, v9, v26
	;; [unrolled: 1-line block ×4, first 2 shown]
	v_mul_u32_u24_sdwa v55, v29, v124 dst_sel:DWORD dst_unused:UNUSED_PAD src0_sel:WORD_0 src1_sel:DWORD
	ds_write2_b32 v123, v8, v9 offset1:32
	ds_write2_b32 v123, v10, v24 offset0:64 offset1:96
	s_waitcnt vmcnt(7)
	ds_write_b128 v106, v[15:18]
	s_waitcnt vmcnt(6)
	ds_write_b128 v115, v[39:42]
	;; [unrolled: 2-line block ×8, first 2 shown]
	s_waitcnt lgkmcnt(0)
	s_barrier
	buffer_gl0_inv
	ds_read_b128 v[8:11], v114
	ds_read_b128 v[12:15], v114 offset:16
	ds_read_b128 v[24:27], v114 offset:32
	ds_read_b128 v[28:31], v114 offset:48
	ds_read_b128 v[32:35], v114 offset:64
	ds_read_b128 v[36:39], v114 offset:80
	v_cndmask_b32_e32 v7, 0, v7, vcc_lo
	v_add_f32_e32 v1, v1, v3
	v_add_f32_e32 v3, v4, v6
	v_cndmask_b32_e64 v143, 0x7f800000, v7, s0
	v_pk_mul_f16 v7, v22, v55
	s_waitcnt lgkmcnt(5)
	v_mul_u32_u24_sdwa v16, v8, v124 dst_sel:DWORD dst_unused:UNUSED_PAD src0_sel:WORD_0 src1_sel:DWORD
	v_mul_u32_u24_sdwa v17, v8, v124 dst_sel:DWORD dst_unused:UNUSED_PAD src0_sel:WORD_1 src1_sel:DWORD
	v_mul_u32_u24_sdwa v18, v9, v124 dst_sel:DWORD dst_unused:UNUSED_PAD src0_sel:WORD_0 src1_sel:DWORD
	v_mul_u32_u24_sdwa v40, v9, v124 dst_sel:DWORD dst_unused:UNUSED_PAD src0_sel:WORD_1 src1_sel:DWORD
	;; [unrolled: 2-line block ×4, first 2 shown]
	ds_read2_b64 v[8:11], v95 offset1:32
	s_waitcnt lgkmcnt(5)
	v_mul_u32_u24_sdwa v47, v13, v124 dst_sel:DWORD dst_unused:UNUSED_PAD src0_sel:WORD_0 src1_sel:DWORD
	v_mul_u32_u24_sdwa v48, v13, v124 dst_sel:DWORD dst_unused:UNUSED_PAD src0_sel:WORD_1 src1_sel:DWORD
	v_cvt_f16_f32_e32 v13, v143
	v_mul_u32_u24_sdwa v45, v12, v124 dst_sel:DWORD dst_unused:UNUSED_PAD src0_sel:WORD_0 src1_sel:DWORD
	v_mul_u32_u24_sdwa v46, v12, v124 dst_sel:DWORD dst_unused:UNUSED_PAD src0_sel:WORD_1 src1_sel:DWORD
	v_mul_u32_u24_sdwa v49, v14, v124 dst_sel:DWORD dst_unused:UNUSED_PAD src0_sel:WORD_0 src1_sel:DWORD
	v_mul_u32_u24_sdwa v50, v14, v124 dst_sel:DWORD dst_unused:UNUSED_PAD src0_sel:WORD_1 src1_sel:DWORD
	v_mul_u32_u24_sdwa v13, v13, v124 dst_sel:DWORD dst_unused:UNUSED_PAD src0_sel:WORD_0 src1_sel:DWORD
	v_mul_u32_u24_sdwa v51, v15, v124 dst_sel:DWORD dst_unused:UNUSED_PAD src0_sel:WORD_0 src1_sel:DWORD
	v_mul_u32_u24_sdwa v52, v15, v124 dst_sel:DWORD dst_unused:UNUSED_PAD src0_sel:WORD_1 src1_sel:DWORD
	s_waitcnt lgkmcnt(4)
	v_mul_u32_u24_sdwa v53, v24, v124 dst_sel:DWORD dst_unused:UNUSED_PAD src0_sel:WORD_0 src1_sel:DWORD
	v_mul_u32_u24_sdwa v24, v24, v124 dst_sel:DWORD dst_unused:UNUSED_PAD src0_sel:WORD_1 src1_sel:DWORD
	v_pk_mul_f16 v14, v20, v13
	v_mul_u32_u24_sdwa v54, v25, v124 dst_sel:DWORD dst_unused:UNUSED_PAD src0_sel:WORD_0 src1_sel:DWORD
	v_mul_u32_u24_sdwa v25, v25, v124 dst_sel:DWORD dst_unused:UNUSED_PAD src0_sel:WORD_1 src1_sel:DWORD
	v_mul_u32_u24_sdwa v56, v26, v124 dst_sel:DWORD dst_unused:UNUSED_PAD src0_sel:WORD_0 src1_sel:DWORD
	v_mul_u32_u24_sdwa v26, v26, v124 dst_sel:DWORD dst_unused:UNUSED_PAD src0_sel:WORD_1 src1_sel:DWORD
	v_mul_u32_u24_sdwa v145, v27, v124 dst_sel:DWORD dst_unused:UNUSED_PAD src0_sel:WORD_0 src1_sel:DWORD
	v_mul_u32_u24_sdwa v27, v27, v124 dst_sel:DWORD dst_unused:UNUSED_PAD src0_sel:WORD_1 src1_sel:DWORD
	s_waitcnt lgkmcnt(0)
	v_pk_mul_f16 v12, v8, v16
	v_pk_mul_f16 v8, v8, v17
	v_pk_fma_f16 v7, v9, v16, v7
	v_pk_fma_f16 v9, v9, v17, v14
	v_mul_u32_u24_sdwa v146, v28, v124 dst_sel:DWORD dst_unused:UNUSED_PAD src0_sel:WORD_0 src1_sel:DWORD
	v_pk_fma_f16 v12, v23, v55, v12
	v_pk_fma_f16 v8, v21, v13, v8
	;; [unrolled: 1-line block ×4, first 2 shown]
	v_mul_u32_u24_sdwa v28, v28, v124 dst_sel:DWORD dst_unused:UNUSED_PAD src0_sel:WORD_1 src1_sel:DWORD
	v_pk_fma_f16 v17, v10, v18, v12
	ds_read_b128 v[12:15], v114 offset:96
	v_pk_fma_f16 v18, v10, v40, v8
	ds_read2_b64 v[7:10], v95 offset0:64 offset1:96
	v_mul_u32_u24_sdwa v147, v29, v124 dst_sel:DWORD dst_unused:UNUSED_PAD src0_sel:WORD_0 src1_sel:DWORD
	v_mul_u32_u24_sdwa v29, v29, v124 dst_sel:DWORD dst_unused:UNUSED_PAD src0_sel:WORD_1 src1_sel:DWORD
	v_mul_u32_u24_sdwa v148, v30, v124 dst_sel:DWORD dst_unused:UNUSED_PAD src0_sel:WORD_0 src1_sel:DWORD
	v_mul_u32_u24_sdwa v30, v30, v124 dst_sel:DWORD dst_unused:UNUSED_PAD src0_sel:WORD_1 src1_sel:DWORD
	;; [unrolled: 2-line block ×8, first 2 shown]
	v_mul_u32_u24_sdwa v155, v37, v124 dst_sel:DWORD dst_unused:UNUSED_PAD src0_sel:WORD_0 src1_sel:DWORD
	s_waitcnt lgkmcnt(1)
	v_mul_u32_u24_sdwa v20, v12, v124 dst_sel:DWORD dst_unused:UNUSED_PAD src0_sel:WORD_0 src1_sel:DWORD
	v_mul_u32_u24_sdwa v21, v12, v124 dst_sel:DWORD dst_unused:UNUSED_PAD src0_sel:WORD_1 src1_sel:DWORD
	v_mul_u32_u24_sdwa v22, v13, v124 dst_sel:DWORD dst_unused:UNUSED_PAD src0_sel:WORD_0 src1_sel:DWORD
	v_mul_u32_u24_sdwa v23, v13, v124 dst_sel:DWORD dst_unused:UNUSED_PAD src0_sel:WORD_1 src1_sel:DWORD
	s_waitcnt lgkmcnt(0)
	v_pk_fma_f16 v12, v8, v41, v16
	v_pk_fma_f16 v13, v7, v41, v17
	;; [unrolled: 1-line block ×4, first 2 shown]
	v_mul_u32_u24_sdwa v40, v14, v124 dst_sel:DWORD dst_unused:UNUSED_PAD src0_sel:WORD_0 src1_sel:DWORD
	v_mul_u32_u24_sdwa v55, v14, v124 dst_sel:DWORD dst_unused:UNUSED_PAD src0_sel:WORD_1 src1_sel:DWORD
	v_pk_fma_f16 v11, v10, v43, v12
	v_pk_fma_f16 v12, v9, v43, v13
	;; [unrolled: 1-line block ×4, first 2 shown]
	ds_read2_b64 v[7:10], v95 offset0:128 offset1:160
	v_mul_u32_u24_sdwa v158, v15, v124 dst_sel:DWORD dst_unused:UNUSED_PAD src0_sel:WORD_0 src1_sel:DWORD
	v_mul_u32_u24_sdwa v159, v15, v124 dst_sel:DWORD dst_unused:UNUSED_PAD src0_sel:WORD_1 src1_sel:DWORD
	v_mul_u32_u24_sdwa v37, v37, v124 dst_sel:DWORD dst_unused:UNUSED_PAD src0_sel:WORD_1 src1_sel:DWORD
	v_mul_u32_u24_sdwa v156, v38, v124 dst_sel:DWORD dst_unused:UNUSED_PAD src0_sel:WORD_0 src1_sel:DWORD
	v_mul_u32_u24_sdwa v38, v38, v124 dst_sel:DWORD dst_unused:UNUSED_PAD src0_sel:WORD_1 src1_sel:DWORD
	v_mul_u32_u24_sdwa v157, v39, v124 dst_sel:DWORD dst_unused:UNUSED_PAD src0_sel:WORD_0 src1_sel:DWORD
	v_mul_u32_u24_sdwa v39, v39, v124 dst_sel:DWORD dst_unused:UNUSED_PAD src0_sel:WORD_1 src1_sel:DWORD
	s_waitcnt lgkmcnt(0)
	v_pk_fma_f16 v11, v8, v45, v11
	v_pk_fma_f16 v8, v8, v46, v13
	;; [unrolled: 1-line block ×7, first 2 shown]
	ds_read_b128 v[11:14], v114 offset:112
	v_pk_fma_f16 v18, v9, v48, v7
	ds_read2_b64 v[7:10], v95 offset0:192 offset1:224
	s_waitcnt lgkmcnt(1)
	v_mul_u32_u24_sdwa v41, v11, v124 dst_sel:DWORD dst_unused:UNUSED_PAD src0_sel:WORD_0 src1_sel:DWORD
	v_mul_u32_u24_sdwa v42, v11, v124 dst_sel:DWORD dst_unused:UNUSED_PAD src0_sel:WORD_1 src1_sel:DWORD
	v_mul_u32_u24_sdwa v43, v12, v124 dst_sel:DWORD dst_unused:UNUSED_PAD src0_sel:WORD_0 src1_sel:DWORD
	v_mul_u32_u24_sdwa v44, v12, v124 dst_sel:DWORD dst_unused:UNUSED_PAD src0_sel:WORD_1 src1_sel:DWORD
	s_waitcnt lgkmcnt(0)
	v_pk_fma_f16 v11, v8, v49, v15
	v_pk_fma_f16 v12, v7, v49, v16
	;; [unrolled: 1-line block ×4, first 2 shown]
	v_mul_u32_u24_sdwa v45, v13, v124 dst_sel:DWORD dst_unused:UNUSED_PAD src0_sel:WORD_0 src1_sel:DWORD
	v_mul_u32_u24_sdwa v46, v13, v124 dst_sel:DWORD dst_unused:UNUSED_PAD src0_sel:WORD_1 src1_sel:DWORD
	v_mul_u32_u24_sdwa v47, v14, v124 dst_sel:DWORD dst_unused:UNUSED_PAD src0_sel:WORD_0 src1_sel:DWORD
	v_mul_u32_u24_sdwa v48, v14, v124 dst_sel:DWORD dst_unused:UNUSED_PAD src0_sel:WORD_1 src1_sel:DWORD
	v_pk_fma_f16 v11, v10, v51, v11
	v_pk_fma_f16 v12, v9, v51, v12
	;; [unrolled: 1-line block ×4, first 2 shown]
	ds_read2_b64 v[7:10], v125 offset1:32
	s_waitcnt lgkmcnt(0)
	v_pk_fma_f16 v11, v8, v53, v11
	v_pk_fma_f16 v8, v8, v24, v13
	;; [unrolled: 1-line block ×7, first 2 shown]
	ds_read_b128 v[11:14], v114 offset:128
	v_pk_fma_f16 v18, v9, v25, v7
	ds_read2_b64 v[7:10], v125 offset0:64 offset1:96
	s_waitcnt lgkmcnt(1)
	v_mul_u32_u24_sdwa v24, v11, v124 dst_sel:DWORD dst_unused:UNUSED_PAD src0_sel:WORD_0 src1_sel:DWORD
	v_mul_u32_u24_sdwa v25, v11, v124 dst_sel:DWORD dst_unused:UNUSED_PAD src0_sel:WORD_1 src1_sel:DWORD
	v_mul_u32_u24_sdwa v49, v12, v124 dst_sel:DWORD dst_unused:UNUSED_PAD src0_sel:WORD_0 src1_sel:DWORD
	v_mul_u32_u24_sdwa v51, v12, v124 dst_sel:DWORD dst_unused:UNUSED_PAD src0_sel:WORD_1 src1_sel:DWORD
	s_waitcnt lgkmcnt(0)
	v_pk_fma_f16 v11, v8, v56, v15
	v_pk_fma_f16 v12, v7, v56, v16
	;; [unrolled: 1-line block ×4, first 2 shown]
	v_mul_u32_u24_sdwa v52, v13, v124 dst_sel:DWORD dst_unused:UNUSED_PAD src0_sel:WORD_0 src1_sel:DWORD
	v_mul_u32_u24_sdwa v53, v13, v124 dst_sel:DWORD dst_unused:UNUSED_PAD src0_sel:WORD_1 src1_sel:DWORD
	v_mul_u32_u24_sdwa v54, v14, v124 dst_sel:DWORD dst_unused:UNUSED_PAD src0_sel:WORD_0 src1_sel:DWORD
	v_mul_u32_u24_sdwa v160, v14, v124 dst_sel:DWORD dst_unused:UNUSED_PAD src0_sel:WORD_1 src1_sel:DWORD
	v_pk_fma_f16 v11, v10, v145, v11
	v_pk_fma_f16 v12, v9, v145, v12
	;; [unrolled: 1-line block ×4, first 2 shown]
	ds_read2_b64 v[7:10], v125 offset0:128 offset1:160
	v_mov_b32_e32 v145, v19
	s_waitcnt lgkmcnt(0)
	v_pk_fma_f16 v11, v8, v146, v11
	v_pk_fma_f16 v8, v8, v28, v13
	;; [unrolled: 1-line block ×4, first 2 shown]
	v_add_f32_e32 v146, v5, v3
	v_pk_fma_f16 v15, v10, v147, v11
	v_pk_fma_f16 v17, v10, v29, v8
	;; [unrolled: 1-line block ×3, first 2 shown]
	ds_read_b128 v[11:14], v114 offset:144
	v_pk_fma_f16 v18, v9, v29, v7
	ds_read2_b64 v[7:10], v125 offset0:192 offset1:224
	v_mov_b32_e32 v147, v140
	v_add_f32_e32 v141, v141, v146
	s_waitcnt lgkmcnt(1)
	v_mul_u32_u24_sdwa v26, v11, v124 dst_sel:DWORD dst_unused:UNUSED_PAD src0_sel:WORD_0 src1_sel:DWORD
	v_mul_u32_u24_sdwa v27, v11, v124 dst_sel:DWORD dst_unused:UNUSED_PAD src0_sel:WORD_1 src1_sel:DWORD
	v_mul_u32_u24_sdwa v28, v12, v124 dst_sel:DWORD dst_unused:UNUSED_PAD src0_sel:WORD_0 src1_sel:DWORD
	v_mul_u32_u24_sdwa v161, v12, v124 dst_sel:DWORD dst_unused:UNUSED_PAD src0_sel:WORD_1 src1_sel:DWORD
	s_waitcnt lgkmcnt(0)
	v_pk_fma_f16 v11, v8, v148, v15
	v_pk_fma_f16 v12, v7, v148, v16
	;; [unrolled: 1-line block ×4, first 2 shown]
	v_mul_u32_u24_sdwa v162, v13, v124 dst_sel:DWORD dst_unused:UNUSED_PAD src0_sel:WORD_0 src1_sel:DWORD
	v_mul_u32_u24_sdwa v163, v13, v124 dst_sel:DWORD dst_unused:UNUSED_PAD src0_sel:WORD_1 src1_sel:DWORD
	v_mul_u32_u24_sdwa v164, v14, v124 dst_sel:DWORD dst_unused:UNUSED_PAD src0_sel:WORD_0 src1_sel:DWORD
	v_mul_u32_u24_sdwa v165, v14, v124 dst_sel:DWORD dst_unused:UNUSED_PAD src0_sel:WORD_1 src1_sel:DWORD
	v_pk_fma_f16 v11, v10, v149, v11
	v_pk_fma_f16 v12, v9, v149, v12
	;; [unrolled: 1-line block ×4, first 2 shown]
	ds_read2_b64 v[7:10], v126 offset1:32
	v_add_f32_e32 v148, v2, v1
	ds_read2_b64 v[1:4], v126 offset0:128 offset1:160
	v_add_f32_e32 v140, v144, v148
	v_fmac_f32_e32 v140, v147, v142
	s_waitcnt lgkmcnt(1)
	v_pk_fma_f16 v11, v8, v150, v11
	v_pk_fma_f16 v8, v8, v32, v13
	;; [unrolled: 1-line block ×7, first 2 shown]
	ds_read_b128 v[11:14], v114 offset:160
	v_pk_fma_f16 v18, v9, v33, v7
	ds_read2_b64 v[7:10], v126 offset0:64 offset1:96
	s_waitcnt lgkmcnt(1)
	v_mul_u32_u24_sdwa v166, v11, v124 dst_sel:DWORD dst_unused:UNUSED_PAD src0_sel:WORD_0 src1_sel:DWORD
	v_mul_u32_u24_sdwa v167, v11, v124 dst_sel:DWORD dst_unused:UNUSED_PAD src0_sel:WORD_1 src1_sel:DWORD
	v_mul_u32_u24_sdwa v168, v12, v124 dst_sel:DWORD dst_unused:UNUSED_PAD src0_sel:WORD_0 src1_sel:DWORD
	v_mul_u32_u24_sdwa v169, v12, v124 dst_sel:DWORD dst_unused:UNUSED_PAD src0_sel:WORD_1 src1_sel:DWORD
	s_waitcnt lgkmcnt(0)
	v_pk_fma_f16 v11, v8, v152, v15
	v_pk_fma_f16 v12, v7, v152, v16
	;; [unrolled: 1-line block ×4, first 2 shown]
	v_mul_u32_u24_sdwa v170, v13, v124 dst_sel:DWORD dst_unused:UNUSED_PAD src0_sel:WORD_0 src1_sel:DWORD
	v_mul_u32_u24_sdwa v171, v13, v124 dst_sel:DWORD dst_unused:UNUSED_PAD src0_sel:WORD_1 src1_sel:DWORD
	v_mul_u32_u24_sdwa v172, v14, v124 dst_sel:DWORD dst_unused:UNUSED_PAD src0_sel:WORD_0 src1_sel:DWORD
	v_mul_u32_u24_sdwa v173, v14, v124 dst_sel:DWORD dst_unused:UNUSED_PAD src0_sel:WORD_1 src1_sel:DWORD
	v_pk_fma_f16 v11, v10, v153, v11
	v_pk_fma_f16 v12, v9, v153, v12
	;; [unrolled: 1-line block ×4, first 2 shown]
	ds_read_b128 v[7:10], v114 offset:176
	v_pk_fma_f16 v5, v2, v154, v11
	v_pk_fma_f16 v6, v1, v154, v12
	;; [unrolled: 1-line block ×4, first 2 shown]
	ds_read2_b64 v[33:36], v129 offset1:32
	v_pk_fma_f16 v5, v4, v155, v5
	v_pk_fma_f16 v6, v3, v155, v6
	ds_read2_b64 v[149:152], v129 offset0:192 offset1:224
	s_waitcnt lgkmcnt(2)
	v_mul_u32_u24_sdwa v153, v7, v124 dst_sel:DWORD dst_unused:UNUSED_PAD src0_sel:WORD_0 src1_sel:DWORD
	v_mul_u32_u24_sdwa v174, v7, v124 dst_sel:DWORD dst_unused:UNUSED_PAD src0_sel:WORD_1 src1_sel:DWORD
	v_mul_u32_u24_sdwa v175, v8, v124 dst_sel:DWORD dst_unused:UNUSED_PAD src0_sel:WORD_0 src1_sel:DWORD
	v_mul_u32_u24_sdwa v176, v8, v124 dst_sel:DWORD dst_unused:UNUSED_PAD src0_sel:WORD_1 src1_sel:DWORD
	v_pk_fma_f16 v7, v4, v37, v2
	v_pk_fma_f16 v8, v3, v37, v1
	ds_read2_b64 v[1:4], v126 offset0:192 offset1:224
	v_mul_u32_u24_sdwa v177, v9, v124 dst_sel:DWORD dst_unused:UNUSED_PAD src0_sel:WORD_0 src1_sel:DWORD
	v_mul_u32_u24_sdwa v178, v9, v124 dst_sel:DWORD dst_unused:UNUSED_PAD src0_sel:WORD_1 src1_sel:DWORD
	v_mul_u32_u24_sdwa v179, v10, v124 dst_sel:DWORD dst_unused:UNUSED_PAD src0_sel:WORD_0 src1_sel:DWORD
	v_mul_u32_u24_sdwa v180, v10, v124 dst_sel:DWORD dst_unused:UNUSED_PAD src0_sel:WORD_1 src1_sel:DWORD
	s_waitcnt lgkmcnt(0)
	v_pk_fma_f16 v5, v2, v156, v5
	v_pk_fma_f16 v6, v1, v156, v6
	;; [unrolled: 1-line block ×6, first 2 shown]
	ds_read2_b64 v[5:8], v127 offset1:32
	v_pk_fma_f16 v11, v4, v39, v2
	v_pk_fma_f16 v12, v3, v39, v1
	ds_read2_b64 v[1:4], v127 offset0:64 offset1:96
	s_waitcnt lgkmcnt(1)
	v_pk_fma_f16 v9, v6, v20, v9
	v_pk_fma_f16 v10, v5, v20, v10
	;; [unrolled: 1-line block ×6, first 2 shown]
	ds_read2_b64 v[9:12], v127 offset0:128 offset1:160
	v_pk_fma_f16 v15, v8, v23, v6
	v_pk_fma_f16 v16, v7, v23, v5
	ds_read2_b64 v[5:8], v127 offset0:192 offset1:224
	s_waitcnt lgkmcnt(2)
	v_pk_fma_f16 v13, v2, v40, v13
	v_pk_fma_f16 v14, v1, v40, v14
	;; [unrolled: 1-line block ×4, first 2 shown]
	ds_read_b128 v[37:40], v114 offset:192
	v_pk_fma_f16 v17, v4, v158, v13
	v_pk_fma_f16 v18, v3, v158, v14
	;; [unrolled: 1-line block ×3, first 2 shown]
	ds_read2_b64 v[13:16], v128 offset1:32
	v_pk_fma_f16 v20, v3, v159, v1
	ds_read2_b64 v[1:4], v128 offset0:64 offset1:96
	s_waitcnt lgkmcnt(4)
	v_pk_fma_f16 v17, v10, v41, v17
	v_pk_fma_f16 v10, v10, v42, v19
	;; [unrolled: 1-line block ×8, first 2 shown]
	ds_read2_b64 v[17:20], v128 offset0:128 offset1:160
	s_waitcnt lgkmcnt(4)
	v_pk_fma_f16 v21, v6, v45, v21
	v_pk_fma_f16 v6, v6, v46, v23
	;; [unrolled: 1-line block ×4, first 2 shown]
	ds_read2_b64 v[9:12], v128 offset0:192 offset1:224
	v_pk_fma_f16 v21, v8, v47, v21
	v_pk_fma_f16 v23, v8, v48, v6
	;; [unrolled: 1-line block ×4, first 2 shown]
	ds_read2_b64 v[5:8], v129 offset0:64 offset1:96
	s_waitcnt lgkmcnt(4)
	v_pk_fma_f16 v21, v14, v24, v21
	v_pk_fma_f16 v14, v14, v25, v23
	;; [unrolled: 1-line block ×4, first 2 shown]
	ds_read2_b64 v[29:32], v130 offset0:64 offset1:96
	v_pk_fma_f16 v21, v16, v49, v21
	v_pk_fma_f16 v14, v16, v51, v14
	;; [unrolled: 1-line block ×4, first 2 shown]
	ds_read2_b64 v[47:50], v129 offset0:128 offset1:160
	s_waitcnt lgkmcnt(5)
	v_pk_fma_f16 v15, v2, v52, v21
	v_pk_fma_f16 v2, v2, v53, v14
	;; [unrolled: 1-line block ×4, first 2 shown]
	ds_read_b128 v[41:44], v114 offset:208
	v_pk_fma_f16 v13, v4, v54, v15
	v_pk_fma_f16 v2, v4, v160, v2
	;; [unrolled: 1-line block ×4, first 2 shown]
	ds_read2_b64 v[53:56], v130 offset1:32
	s_waitcnt lgkmcnt(6)
	v_pk_fma_f16 v3, v18, v26, v13
	v_pk_fma_f16 v2, v18, v27, v2
	;; [unrolled: 1-line block ×4, first 2 shown]
	v_mul_u32_u24_sdwa v144, v37, v124 dst_sel:DWORD dst_unused:UNUSED_PAD src0_sel:WORD_0 src1_sel:DWORD
	v_pk_fma_f16 v3, v20, v28, v3
	v_pk_fma_f16 v2, v20, v161, v2
	v_pk_fma_f16 v4, v19, v28, v4
	v_pk_fma_f16 v1, v19, v161, v1
	ds_read2_b64 v[25:28], v130 offset0:128 offset1:160
	s_waitcnt lgkmcnt(6)
	v_pk_fma_f16 v3, v10, v162, v3
	v_pk_fma_f16 v2, v10, v163, v2
	;; [unrolled: 1-line block ×4, first 2 shown]
	v_mul_u32_u24_sdwa v37, v37, v124 dst_sel:DWORD dst_unused:UNUSED_PAD src0_sel:WORD_1 src1_sel:DWORD
	v_pk_fma_f16 v3, v12, v164, v3
	v_pk_fma_f16 v2, v12, v165, v2
	;; [unrolled: 1-line block ×4, first 2 shown]
	v_mul_u32_u24_sdwa v142, v39, v124 dst_sel:DWORD dst_unused:UNUSED_PAD src0_sel:WORD_0 src1_sel:DWORD
	v_pk_fma_f16 v3, v34, v166, v3
	v_pk_fma_f16 v2, v34, v167, v2
	;; [unrolled: 1-line block ×4, first 2 shown]
	ds_read2_b64 v[21:24], v130 offset0:192 offset1:224
	v_pk_fma_f16 v3, v36, v168, v3
	v_pk_fma_f16 v2, v36, v169, v2
	;; [unrolled: 1-line block ×4, first 2 shown]
	v_mul_u32_u24_sdwa v147, v39, v124 dst_sel:DWORD dst_unused:UNUSED_PAD src0_sel:WORD_1 src1_sel:DWORD
	s_waitcnt lgkmcnt(6)
	v_pk_fma_f16 v3, v6, v170, v3
	v_pk_fma_f16 v2, v6, v171, v2
	;; [unrolled: 1-line block ×4, first 2 shown]
	ds_read_b128 v[33:36], v114 offset:224
	v_pk_fma_f16 v5, v8, v172, v3
	v_pk_fma_f16 v8, v8, v173, v2
	;; [unrolled: 1-line block ×4, first 2 shown]
	ds_read2_b64 v[13:16], v131 offset1:32
	s_waitcnt lgkmcnt(6)
	v_pk_fma_f16 v5, v48, v153, v5
	v_pk_fma_f16 v8, v48, v174, v8
	;; [unrolled: 1-line block ×4, first 2 shown]
	ds_read2_b64 v[9:12], v131 offset0:64 offset1:96
	v_pk_fma_f16 v17, v50, v175, v5
	v_pk_fma_f16 v19, v50, v176, v8
	;; [unrolled: 1-line block ×4, first 2 shown]
	ds_read_b128 v[45:48], v114 offset:240
	v_pk_fma_f16 v17, v150, v177, v17
	v_pk_fma_f16 v49, v150, v178, v19
	;; [unrolled: 1-line block ×4, first 2 shown]
	ds_read2_b64 v[1:4], v131 offset0:128 offset1:160
	v_pk_fma_f16 v149, v152, v179, v17
	v_pk_fma_f16 v152, v152, v180, v49
	;; [unrolled: 1-line block ×4, first 2 shown]
	ds_read_b128 v[49:52], v114 offset:256
	s_waitcnt lgkmcnt(8)
	v_pk_fma_f16 v148, v54, v144, v149
	v_mul_u32_u24_sdwa v149, v38, v124 dst_sel:DWORD dst_unused:UNUSED_PAD src0_sel:WORD_0 src1_sel:DWORD
	v_pk_fma_f16 v144, v53, v144, v150
	v_pk_fma_f16 v54, v54, v37, v152
	;; [unrolled: 1-line block ×3, first 2 shown]
	v_mul_u32_u24_sdwa v38, v38, v124 dst_sel:DWORD dst_unused:UNUSED_PAD src0_sel:WORD_1 src1_sel:DWORD
	v_pk_fma_f16 v148, v56, v149, v148
	v_pk_fma_f16 v144, v55, v149, v144
	v_mul_u32_u24_sdwa v151, v40, v124 dst_sel:DWORD dst_unused:UNUSED_PAD src0_sel:WORD_0 src1_sel:DWORD
	v_mul_u32_u24_sdwa v152, v40, v124 dst_sel:DWORD dst_unused:UNUSED_PAD src0_sel:WORD_1 src1_sel:DWORD
	v_pk_fma_f16 v150, v56, v38, v54
	v_pk_fma_f16 v149, v55, v38, v37
	;; [unrolled: 1-line block ×4, first 2 shown]
	v_mul_u32_u24_sdwa v144, v41, v124 dst_sel:DWORD dst_unused:UNUSED_PAD src0_sel:WORD_0 src1_sel:DWORD
	v_pk_fma_f16 v30, v30, v147, v150
	v_pk_fma_f16 v29, v29, v147, v149
	v_pk_fma_f16 v147, v32, v151, v148
	v_pk_fma_f16 v142, v31, v151, v142
	v_mul_u32_u24_sdwa v41, v41, v124 dst_sel:DWORD dst_unused:UNUSED_PAD src0_sel:WORD_1 src1_sel:DWORD
	v_mul_u32_u24_sdwa v148, v42, v124 dst_sel:DWORD dst_unused:UNUSED_PAD src0_sel:WORD_0 src1_sel:DWORD
	v_pk_fma_f16 v149, v32, v152, v30
	v_pk_fma_f16 v150, v31, v152, v29
	s_waitcnt lgkmcnt(7)
	v_pk_fma_f16 v147, v26, v144, v147
	v_pk_fma_f16 v142, v25, v144, v142
	v_mul_u32_u24_sdwa v42, v42, v124 dst_sel:DWORD dst_unused:UNUSED_PAD src0_sel:WORD_1 src1_sel:DWORD
	v_mul_u32_u24_sdwa v151, v43, v124 dst_sel:DWORD dst_unused:UNUSED_PAD src0_sel:WORD_0 src1_sel:DWORD
	v_pk_fma_f16 v26, v26, v41, v149
	v_pk_fma_f16 v25, v25, v41, v150
	;; [unrolled: 1-line block ×4, first 2 shown]
	v_mul_u32_u24_sdwa v43, v43, v124 dst_sel:DWORD dst_unused:UNUSED_PAD src0_sel:WORD_1 src1_sel:DWORD
	v_mul_u32_u24_sdwa v152, v44, v124 dst_sel:DWORD dst_unused:UNUSED_PAD src0_sel:WORD_0 src1_sel:DWORD
	v_pk_fma_f16 v148, v28, v42, v26
	v_pk_fma_f16 v42, v27, v42, v25
	s_waitcnt lgkmcnt(6)
	v_pk_fma_f16 v41, v22, v151, v41
	v_pk_fma_f16 v142, v21, v151, v142
	ds_read_b128 v[37:40], v114 offset:272
	v_mul_u32_u24_sdwa v44, v44, v124 dst_sel:DWORD dst_unused:UNUSED_PAD src0_sel:WORD_1 src1_sel:DWORD
	s_waitcnt lgkmcnt(6)
	v_mul_u32_u24_sdwa v144, v33, v124 dst_sel:DWORD dst_unused:UNUSED_PAD src0_sel:WORD_0 src1_sel:DWORD
	v_pk_fma_f16 v22, v22, v43, v148
	v_pk_fma_f16 v21, v21, v43, v42
	;; [unrolled: 1-line block ×4, first 2 shown]
	v_mul_u32_u24_sdwa v33, v33, v124 dst_sel:DWORD dst_unused:UNUSED_PAD src0_sel:WORD_1 src1_sel:DWORD
	v_mul_u32_u24_sdwa v147, v34, v124 dst_sel:DWORD dst_unused:UNUSED_PAD src0_sel:WORD_0 src1_sel:DWORD
	v_pk_fma_f16 v142, v24, v44, v22
	v_pk_fma_f16 v44, v23, v44, v21
	s_waitcnt lgkmcnt(5)
	v_pk_fma_f16 v41, v14, v144, v41
	v_pk_fma_f16 v43, v13, v144, v43
	v_mul_u32_u24_sdwa v34, v34, v124 dst_sel:DWORD dst_unused:UNUSED_PAD src0_sel:WORD_1 src1_sel:DWORD
	v_mul_u32_u24_sdwa v149, v35, v124 dst_sel:DWORD dst_unused:UNUSED_PAD src0_sel:WORD_0 src1_sel:DWORD
	v_pk_fma_f16 v14, v14, v33, v142
	v_pk_fma_f16 v13, v13, v33, v44
	;; [unrolled: 1-line block ×4, first 2 shown]
	ds_read2_b64 v[5:8], v131 offset0:192 offset1:224
	v_mul_u32_u24_sdwa v35, v35, v124 dst_sel:DWORD dst_unused:UNUSED_PAD src0_sel:WORD_1 src1_sel:DWORD
	v_mul_u32_u24_sdwa v150, v36, v124 dst_sel:DWORD dst_unused:UNUSED_PAD src0_sel:WORD_0 src1_sel:DWORD
	s_waitcnt lgkmcnt(2)
	v_mul_u32_u24_sdwa v144, v49, v124 dst_sel:DWORD dst_unused:UNUSED_PAD src0_sel:WORD_0 src1_sel:DWORD
	v_mul_u32_u24_sdwa v33, v49, v124 dst_sel:DWORD dst_unused:UNUSED_PAD src0_sel:WORD_1 src1_sel:DWORD
	v_pk_fma_f16 v49, v16, v34, v14
	v_pk_fma_f16 v34, v15, v34, v13
	;; [unrolled: 1-line block ×4, first 2 shown]
	v_mul_u32_u24_sdwa v36, v36, v124 dst_sel:DWORD dst_unused:UNUSED_PAD src0_sel:WORD_1 src1_sel:DWORD
	v_mul_u32_u24_sdwa v151, v45, v124 dst_sel:DWORD dst_unused:UNUSED_PAD src0_sel:WORD_0 src1_sel:DWORD
	s_waitcnt lgkmcnt(1)
	v_mul_u32_u24_sdwa v149, v37, v124 dst_sel:DWORD dst_unused:UNUSED_PAD src0_sel:WORD_0 src1_sel:DWORD
	v_pk_fma_f16 v10, v10, v35, v49
	v_pk_fma_f16 v9, v9, v35, v34
	v_mul_u32_u24_sdwa v34, v37, v124 dst_sel:DWORD dst_unused:UNUSED_PAD src0_sel:WORD_1 src1_sel:DWORD
	v_pk_fma_f16 v35, v12, v150, v41
	v_pk_fma_f16 v37, v11, v150, v43
	ds_read2_b64 v[17:20], v132 offset1:32
	v_mul_u32_u24_sdwa v42, v45, v124 dst_sel:DWORD dst_unused:UNUSED_PAD src0_sel:WORD_1 src1_sel:DWORD
	v_mul_u32_u24_sdwa v45, v46, v124 dst_sel:DWORD dst_unused:UNUSED_PAD src0_sel:WORD_0 src1_sel:DWORD
	v_pk_fma_f16 v43, v12, v36, v10
	v_pk_fma_f16 v36, v11, v36, v9
	v_pk_fma_f16 v35, v2, v151, v35
	v_pk_fma_f16 v37, v1, v151, v37
	v_mul_u32_u24_sdwa v46, v46, v124 dst_sel:DWORD dst_unused:UNUSED_PAD src0_sel:WORD_1 src1_sel:DWORD
	v_mul_u32_u24_sdwa v148, v47, v124 dst_sel:DWORD dst_unused:UNUSED_PAD src0_sel:WORD_0 src1_sel:DWORD
	v_pk_fma_f16 v2, v2, v42, v43
	v_pk_fma_f16 v1, v1, v42, v36
	;; [unrolled: 1-line block ×4, first 2 shown]
	ds_read2_b64 v[53:56], v132 offset0:64 offset1:96
	v_mul_u32_u24_sdwa v47, v47, v124 dst_sel:DWORD dst_unused:UNUSED_PAD src0_sel:WORD_1 src1_sel:DWORD
	v_mul_u32_u24_sdwa v152, v48, v124 dst_sel:DWORD dst_unused:UNUSED_PAD src0_sel:WORD_0 src1_sel:DWORD
	ds_read_b128 v[21:24], v114 offset:320
	ds_read_b128 v[13:16], v114 offset:336
	v_pk_fma_f16 v42, v4, v46, v2
	v_pk_fma_f16 v43, v3, v46, v1
	s_waitcnt lgkmcnt(4)
	v_pk_fma_f16 v35, v6, v148, v35
	v_pk_fma_f16 v36, v5, v148, v36
	v_mul_u32_u24_sdwa v48, v48, v124 dst_sel:DWORD dst_unused:UNUSED_PAD src0_sel:WORD_1 src1_sel:DWORD
	v_pk_fma_f16 v6, v6, v47, v42
	v_pk_fma_f16 v5, v5, v47, v43
	;; [unrolled: 1-line block ×4, first 2 shown]
	v_mul_u32_u24_sdwa v44, v50, v124 dst_sel:DWORD dst_unused:UNUSED_PAD src0_sel:WORD_0 src1_sel:DWORD
	v_pk_fma_f16 v43, v8, v48, v6
	v_pk_fma_f16 v47, v7, v48, v5
	ds_read2_b64 v[5:8], v132 offset0:128 offset1:160
	s_waitcnt lgkmcnt(4)
	v_pk_fma_f16 v35, v18, v144, v35
	v_pk_fma_f16 v36, v17, v144, v36
	v_mul_u32_u24_sdwa v50, v50, v124 dst_sel:DWORD dst_unused:UNUSED_PAD src0_sel:WORD_1 src1_sel:DWORD
	v_mul_u32_u24_sdwa v142, v51, v124 dst_sel:DWORD dst_unused:UNUSED_PAD src0_sel:WORD_0 src1_sel:DWORD
	ds_read_b128 v[9:12], v114 offset:352
	ds_read_b128 v[1:4], v114 offset:368
	v_pk_fma_f16 v18, v18, v33, v43
	v_pk_fma_f16 v17, v17, v33, v47
	;; [unrolled: 1-line block ×4, first 2 shown]
	v_mul_u32_u24_sdwa v51, v51, v124 dst_sel:DWORD dst_unused:UNUSED_PAD src0_sel:WORD_1 src1_sel:DWORD
	v_mul_u32_u24_sdwa v147, v52, v124 dst_sel:DWORD dst_unused:UNUSED_PAD src0_sel:WORD_0 src1_sel:DWORD
	s_waitcnt lgkmcnt(4)
	v_mul_u32_u24_sdwa v36, v22, v124 dst_sel:DWORD dst_unused:UNUSED_PAD src0_sel:WORD_0 src1_sel:DWORD
	v_pk_fma_f16 v43, v20, v50, v18
	v_pk_fma_f16 v44, v19, v50, v17
	v_mul_u32_u24_sdwa v47, v22, v124 dst_sel:DWORD dst_unused:UNUSED_PAD src0_sel:WORD_1 src1_sel:DWORD
	v_mul_u32_u24_sdwa v50, v23, v124 dst_sel:DWORD dst_unused:UNUSED_PAD src0_sel:WORD_0 src1_sel:DWORD
	v_mul_u32_u24_sdwa v153, v23, v124 dst_sel:DWORD dst_unused:UNUSED_PAD src0_sel:WORD_1 src1_sel:DWORD
	ds_read2_b64 v[17:20], v132 offset0:192 offset1:224
	v_pk_fma_f16 v22, v54, v142, v33
	v_pk_fma_f16 v23, v53, v142, v35
	v_mul_u32_u24_sdwa v52, v52, v124 dst_sel:DWORD dst_unused:UNUSED_PAD src0_sel:WORD_1 src1_sel:DWORD
	v_mul_u32_u24_sdwa v154, v24, v124 dst_sel:DWORD dst_unused:UNUSED_PAD src0_sel:WORD_0 src1_sel:DWORD
	v_mul_u32_u24_sdwa v155, v24, v124 dst_sel:DWORD dst_unused:UNUSED_PAD src0_sel:WORD_1 src1_sel:DWORD
	v_pk_fma_f16 v24, v54, v51, v43
	v_pk_fma_f16 v35, v53, v51, v44
	;; [unrolled: 1-line block ×4, first 2 shown]
	ds_read_b128 v[29:32], v114 offset:288
	ds_read_b128 v[25:28], v114 offset:304
	v_mul_u32_u24_sdwa v41, v38, v124 dst_sel:DWORD dst_unused:UNUSED_PAD src0_sel:WORD_0 src1_sel:DWORD
	v_pk_fma_f16 v24, v56, v52, v24
	v_pk_fma_f16 v35, v55, v52, v35
	s_waitcnt lgkmcnt(5)
	v_pk_fma_f16 v22, v6, v149, v22
	v_pk_fma_f16 v23, v5, v149, v23
	v_mul_u32_u24_sdwa v38, v38, v124 dst_sel:DWORD dst_unused:UNUSED_PAD src0_sel:WORD_1 src1_sel:DWORD
	v_mul_u32_u24_sdwa v49, v39, v124 dst_sel:DWORD dst_unused:UNUSED_PAD src0_sel:WORD_0 src1_sel:DWORD
	v_mul_u32_u24_sdwa v33, v13, v124 dst_sel:DWORD dst_unused:UNUSED_PAD src0_sel:WORD_0 src1_sel:DWORD
	v_mul_u32_u24_sdwa v43, v13, v124 dst_sel:DWORD dst_unused:UNUSED_PAD src0_sel:WORD_1 src1_sel:DWORD
	v_mul_u32_u24_sdwa v44, v14, v124 dst_sel:DWORD dst_unused:UNUSED_PAD src0_sel:WORD_0 src1_sel:DWORD
	v_mul_u32_u24_sdwa v51, v14, v124 dst_sel:DWORD dst_unused:UNUSED_PAD src0_sel:WORD_1 src1_sel:DWORD
	;; [unrolled: 2-line block ×4, first 2 shown]
	ds_read2_b64 v[13:16], v133 offset1:32
	s_waitcnt lgkmcnt(5)
	v_mul_u32_u24_sdwa v56, v9, v124 dst_sel:DWORD dst_unused:UNUSED_PAD src0_sel:WORD_0 src1_sel:DWORD
	v_pk_fma_f16 v6, v6, v34, v24
	v_pk_fma_f16 v5, v5, v34, v35
	v_mul_u32_u24_sdwa v142, v9, v124 dst_sel:DWORD dst_unused:UNUSED_PAD src0_sel:WORD_1 src1_sel:DWORD
	v_pk_fma_f16 v9, v8, v41, v22
	v_pk_fma_f16 v22, v7, v41, v23
	v_mul_u32_u24_sdwa v150, v40, v124 dst_sel:DWORD dst_unused:UNUSED_PAD src0_sel:WORD_0 src1_sel:DWORD
	v_mul_u32_u24_sdwa v41, v10, v124 dst_sel:DWORD dst_unused:UNUSED_PAD src0_sel:WORD_0 src1_sel:DWORD
	v_pk_fma_f16 v23, v8, v38, v6
	v_pk_fma_f16 v24, v7, v38, v5
	v_mul_u32_u24_sdwa v147, v10, v124 dst_sel:DWORD dst_unused:UNUSED_PAD src0_sel:WORD_1 src1_sel:DWORD
	ds_read_b128 v[5:8], v114 offset:384
	s_waitcnt lgkmcnt(4)
	v_pk_fma_f16 v9, v18, v49, v9
	v_pk_fma_f16 v10, v17, v49, v22
	v_mul_u32_u24_sdwa v39, v39, v124 dst_sel:DWORD dst_unused:UNUSED_PAD src0_sel:WORD_1 src1_sel:DWORD
	v_mul_u32_u24_sdwa v49, v1, v124 dst_sel:DWORD dst_unused:UNUSED_PAD src0_sel:WORD_0 src1_sel:DWORD
	v_mul_u32_u24_sdwa v159, v1, v124 dst_sel:DWORD dst_unused:UNUSED_PAD src0_sel:WORD_1 src1_sel:DWORD
	v_pk_fma_f16 v9, v20, v150, v9
	v_pk_fma_f16 v10, v19, v150, v10
	v_mul_u32_u24_sdwa v150, v2, v124 dst_sel:DWORD dst_unused:UNUSED_PAD src0_sel:WORD_0 src1_sel:DWORD
	v_mul_u32_u24_sdwa v160, v2, v124 dst_sel:DWORD dst_unused:UNUSED_PAD src0_sel:WORD_1 src1_sel:DWORD
	v_mul_u32_u24_sdwa v161, v3, v124 dst_sel:DWORD dst_unused:UNUSED_PAD src0_sel:WORD_0 src1_sel:DWORD
	v_mul_u32_u24_sdwa v162, v3, v124 dst_sel:DWORD dst_unused:UNUSED_PAD src0_sel:WORD_1 src1_sel:DWORD
	;; [unrolled: 2-line block ×3, first 2 shown]
	ds_read2_b64 v[1:4], v133 offset0:64 offset1:96
	v_mul_u32_u24_sdwa v40, v40, v124 dst_sel:DWORD dst_unused:UNUSED_PAD src0_sel:WORD_1 src1_sel:DWORD
	s_waitcnt lgkmcnt(4)
	v_mul_u32_u24_sdwa v151, v29, v124 dst_sel:DWORD dst_unused:UNUSED_PAD src0_sel:WORD_0 src1_sel:DWORD
	v_mul_u32_u24_sdwa v149, v11, v124 dst_sel:DWORD dst_unused:UNUSED_PAD src0_sel:WORD_0 src1_sel:DWORD
	v_mul_u32_u24_sdwa v156, v11, v124 dst_sel:DWORD dst_unused:UNUSED_PAD src0_sel:WORD_1 src1_sel:DWORD
	v_mul_u32_u24_sdwa v157, v12, v124 dst_sel:DWORD dst_unused:UNUSED_PAD src0_sel:WORD_0 src1_sel:DWORD
	v_mul_u32_u24_sdwa v158, v12, v124 dst_sel:DWORD dst_unused:UNUSED_PAD src0_sel:WORD_1 src1_sel:DWORD
	v_pk_fma_f16 v11, v18, v39, v23
	v_pk_fma_f16 v12, v17, v39, v24
	v_mul_u32_u24_sdwa v29, v29, v124 dst_sel:DWORD dst_unused:UNUSED_PAD src0_sel:WORD_1 src1_sel:DWORD
	v_mul_u32_u24_sdwa v37, v30, v124 dst_sel:DWORD dst_unused:UNUSED_PAD src0_sel:WORD_0 src1_sel:DWORD
	s_waitcnt lgkmcnt(2)
	v_pk_fma_f16 v9, v14, v151, v9
	v_pk_fma_f16 v11, v20, v40, v11
	;; [unrolled: 1-line block ×4, first 2 shown]
	v_mul_u32_u24_sdwa v30, v30, v124 dst_sel:DWORD dst_unused:UNUSED_PAD src0_sel:WORD_1 src1_sel:DWORD
	v_mul_u32_u24_sdwa v45, v31, v124 dst_sel:DWORD dst_unused:UNUSED_PAD src0_sel:WORD_0 src1_sel:DWORD
	s_waitcnt lgkmcnt(1)
	v_mul_u32_u24_sdwa v151, v5, v124 dst_sel:DWORD dst_unused:UNUSED_PAD src0_sel:WORD_0 src1_sel:DWORD
	v_pk_fma_f16 v11, v14, v29, v11
	v_pk_fma_f16 v12, v13, v29, v12
	v_mul_u32_u24_sdwa v165, v5, v124 dst_sel:DWORD dst_unused:UNUSED_PAD src0_sel:WORD_1 src1_sel:DWORD
	v_pk_fma_f16 v9, v16, v37, v9
	v_pk_fma_f16 v10, v15, v37, v10
	v_mul_u32_u24_sdwa v166, v6, v124 dst_sel:DWORD dst_unused:UNUSED_PAD src0_sel:WORD_0 src1_sel:DWORD
	v_mul_u32_u24_sdwa v167, v6, v124 dst_sel:DWORD dst_unused:UNUSED_PAD src0_sel:WORD_1 src1_sel:DWORD
	v_mul_u32_u24_sdwa v168, v7, v124 dst_sel:DWORD dst_unused:UNUSED_PAD src0_sel:WORD_0 src1_sel:DWORD
	v_mul_u32_u24_sdwa v169, v7, v124 dst_sel:DWORD dst_unused:UNUSED_PAD src0_sel:WORD_1 src1_sel:DWORD
	;; [unrolled: 2-line block ×3, first 2 shown]
	ds_read2_b64 v[5:8], v133 offset0:128 offset1:160
	v_mul_u32_u24_sdwa v31, v31, v124 dst_sel:DWORD dst_unused:UNUSED_PAD src0_sel:WORD_1 src1_sel:DWORD
	v_mul_u32_u24_sdwa v46, v32, v124 dst_sel:DWORD dst_unused:UNUSED_PAD src0_sel:WORD_0 src1_sel:DWORD
	v_pk_fma_f16 v11, v16, v30, v11
	v_pk_fma_f16 v12, v15, v30, v12
	s_waitcnt lgkmcnt(1)
	v_pk_fma_f16 v9, v2, v45, v9
	v_pk_fma_f16 v10, v1, v45, v10
	v_mul_u32_u24_sdwa v32, v32, v124 dst_sel:DWORD dst_unused:UNUSED_PAD src0_sel:WORD_1 src1_sel:DWORD
	v_pk_fma_f16 v2, v2, v31, v11
	v_pk_fma_f16 v1, v1, v31, v12
	;; [unrolled: 1-line block ×4, first 2 shown]
	ds_read2_b64 v[9:12], v133 offset0:192 offset1:224
	v_mul_u32_u24_sdwa v148, v25, v124 dst_sel:DWORD dst_unused:UNUSED_PAD src0_sel:WORD_0 src1_sel:DWORD
	v_mul_u32_u24_sdwa v25, v25, v124 dst_sel:DWORD dst_unused:UNUSED_PAD src0_sel:WORD_1 src1_sel:DWORD
	v_pk_fma_f16 v15, v4, v32, v2
	v_mul_u32_u24_sdwa v42, v26, v124 dst_sel:DWORD dst_unused:UNUSED_PAD src0_sel:WORD_0 src1_sel:DWORD
	v_mul_u32_u24_sdwa v26, v26, v124 dst_sel:DWORD dst_unused:UNUSED_PAD src0_sel:WORD_1 src1_sel:DWORD
	v_pk_fma_f16 v16, v3, v32, v1
	ds_read2_b64 v[1:4], v134 offset1:32
	s_waitcnt lgkmcnt(2)
	v_pk_fma_f16 v13, v6, v148, v13
	v_pk_fma_f16 v6, v6, v25, v15
	;; [unrolled: 1-line block ×3, first 2 shown]
	v_mul_u32_u24_sdwa v48, v27, v124 dst_sel:DWORD dst_unused:UNUSED_PAD src0_sel:WORD_0 src1_sel:DWORD
	v_mul_u32_u24_sdwa v27, v27, v124 dst_sel:DWORD dst_unused:UNUSED_PAD src0_sel:WORD_1 src1_sel:DWORD
	v_pk_fma_f16 v5, v5, v25, v16
	v_pk_fma_f16 v17, v8, v42, v13
	;; [unrolled: 1-line block ×4, first 2 shown]
	v_mul_u32_u24_sdwa v152, v28, v124 dst_sel:DWORD dst_unused:UNUSED_PAD src0_sel:WORD_0 src1_sel:DWORD
	v_mul_u32_u24_sdwa v28, v28, v124 dst_sel:DWORD dst_unused:UNUSED_PAD src0_sel:WORD_1 src1_sel:DWORD
	ds_read2_b64 v[13:16], v134 offset0:64 offset1:96
	v_pk_fma_f16 v20, v7, v26, v5
	s_waitcnt lgkmcnt(2)
	v_pk_fma_f16 v17, v10, v48, v17
	v_pk_fma_f16 v10, v10, v27, v19
	;; [unrolled: 1-line block ×3, first 2 shown]
	v_mul_u32_u24_sdwa v144, v21, v124 dst_sel:DWORD dst_unused:UNUSED_PAD src0_sel:WORD_0 src1_sel:DWORD
	v_mul_u32_u24_sdwa v21, v21, v124 dst_sel:DWORD dst_unused:UNUSED_PAD src0_sel:WORD_1 src1_sel:DWORD
	v_pk_fma_f16 v9, v9, v27, v20
	v_pk_fma_f16 v22, v12, v152, v17
	;; [unrolled: 1-line block ×4, first 2 shown]
	ds_read2_b64 v[5:8], v134 offset0:128 offset1:160
	v_pk_fma_f16 v25, v11, v28, v9
	s_waitcnt lgkmcnt(2)
	v_pk_fma_f16 v22, v2, v144, v22
	v_pk_fma_f16 v23, v1, v144, v23
	;; [unrolled: 1-line block ×3, first 2 shown]
	ds_read2_b64 v[17:20], v134 offset0:192 offset1:224
	v_pk_fma_f16 v1, v1, v21, v25
	v_pk_fma_f16 v25, v4, v36, v22
	;; [unrolled: 1-line block ×4, first 2 shown]
	ds_read2_b64 v[9:12], v135 offset1:32
	v_pk_fma_f16 v28, v3, v47, v1
	s_waitcnt lgkmcnt(3)
	v_pk_fma_f16 v25, v14, v50, v25
	v_pk_fma_f16 v26, v13, v50, v26
	;; [unrolled: 1-line block ×3, first 2 shown]
	ds_read2_b64 v[21:24], v135 offset0:64 offset1:96
	v_pk_fma_f16 v13, v13, v153, v28
	v_pk_fma_f16 v29, v16, v154, v25
	;; [unrolled: 1-line block ×4, first 2 shown]
	ds_read2_b64 v[1:4], v135 offset0:128 offset1:160
	v_pk_fma_f16 v32, v15, v155, v13
	s_waitcnt lgkmcnt(4)
	v_pk_fma_f16 v29, v6, v33, v29
	v_pk_fma_f16 v30, v5, v33, v30
	;; [unrolled: 1-line block ×3, first 2 shown]
	ds_read2_b64 v[25:28], v135 offset0:192 offset1:224
	v_pk_fma_f16 v5, v5, v43, v32
	v_pk_fma_f16 v33, v8, v44, v29
	;; [unrolled: 1-line block ×4, first 2 shown]
	ds_read2_b64 v[13:16], v136 offset1:32
	v_pk_fma_f16 v36, v7, v51, v5
	s_waitcnt lgkmcnt(5)
	v_pk_fma_f16 v33, v18, v52, v33
	v_pk_fma_f16 v34, v17, v52, v34
	;; [unrolled: 1-line block ×3, first 2 shown]
	ds_read2_b64 v[29:32], v136 offset0:64 offset1:96
	v_pk_fma_f16 v17, v17, v53, v36
	v_pk_fma_f16 v42, v20, v54, v33
	;; [unrolled: 1-line block ×4, first 2 shown]
	ds_read_b128 v[33:36], v114 offset:400
	v_pk_fma_f16 v17, v19, v55, v17
	s_waitcnt lgkmcnt(6)
	v_pk_fma_f16 v19, v10, v56, v42
	ds_read2_b64 v[5:8], v136 offset0:128 offset1:160
	v_pk_fma_f16 v10, v10, v142, v18
	v_pk_fma_f16 v18, v9, v56, v43
	;; [unrolled: 1-line block ×4, first 2 shown]
	ds_read2_b64 v[37:40], v136 offset0:192 offset1:224
	v_pk_fma_f16 v19, v12, v147, v10
	v_pk_fma_f16 v18, v11, v41, v18
	;; [unrolled: 1-line block ×3, first 2 shown]
	s_waitcnt lgkmcnt(7)
	v_pk_fma_f16 v17, v22, v149, v17
	ds_read_b128 v[9:12], v114 offset:416
	v_pk_fma_f16 v19, v22, v156, v19
	v_pk_fma_f16 v18, v21, v149, v18
	;; [unrolled: 1-line block ×4, first 2 shown]
	ds_read2_b64 v[41:44], v137 offset1:32
	v_pk_fma_f16 v19, v24, v158, v19
	v_pk_fma_f16 v18, v23, v157, v18
	;; [unrolled: 1-line block ×3, first 2 shown]
	s_waitcnt lgkmcnt(8)
	v_pk_fma_f16 v17, v2, v49, v17
	s_waitcnt lgkmcnt(4)
	v_mul_u32_u24_sdwa v142, v33, v124 dst_sel:DWORD dst_unused:UNUSED_PAD src0_sel:WORD_0 src1_sel:DWORD
	v_pk_fma_f16 v2, v2, v159, v19
	v_pk_fma_f16 v18, v1, v49, v18
	;; [unrolled: 1-line block ×4, first 2 shown]
	v_mul_u32_u24_sdwa v33, v33, v124 dst_sel:DWORD dst_unused:UNUSED_PAD src0_sel:WORD_1 src1_sel:DWORD
	v_pk_fma_f16 v19, v4, v160, v2
	v_pk_fma_f16 v18, v3, v150, v18
	;; [unrolled: 1-line block ×4, first 2 shown]
	ds_read2_b64 v[45:48], v137 offset0:64 offset1:96
	v_pk_fma_f16 v19, v26, v162, v19
	v_pk_fma_f16 v18, v25, v161, v18
	;; [unrolled: 1-line block ×4, first 2 shown]
	ds_read_b128 v[49:52], v114 offset:432
	v_pk_fma_f16 v19, v28, v164, v19
	v_pk_fma_f16 v18, v27, v163, v18
	;; [unrolled: 1-line block ×4, first 2 shown]
	ds_read2_b64 v[20:23], v137 offset0:128 offset1:160
	v_pk_fma_f16 v14, v14, v165, v19
	v_pk_fma_f16 v18, v13, v151, v18
	;; [unrolled: 1-line block ×4, first 2 shown]
	ds_read2_b64 v[1:4], v137 offset0:192 offset1:224
	v_pk_fma_f16 v19, v16, v167, v14
	v_pk_fma_f16 v18, v15, v166, v18
	;; [unrolled: 1-line block ×4, first 2 shown]
	ds_read_b128 v[24:27], v114 offset:448
	v_pk_fma_f16 v19, v30, v169, v19
	v_pk_fma_f16 v18, v29, v168, v18
	;; [unrolled: 1-line block ×4, first 2 shown]
	ds_read2_b64 v[53:56], v138 offset1:32
	v_pk_fma_f16 v19, v32, v171, v19
	v_pk_fma_f16 v18, v31, v170, v18
	;; [unrolled: 1-line block ×3, first 2 shown]
	s_waitcnt lgkmcnt(9)
	v_pk_fma_f16 v17, v6, v142, v17
	ds_read2_b64 v[146:149], v138 offset0:64 offset1:96
	v_pk_fma_f16 v6, v6, v33, v19
	v_pk_fma_f16 v18, v5, v142, v18
	v_mul_u32_u24_sdwa v19, v34, v124 dst_sel:DWORD dst_unused:UNUSED_PAD src0_sel:WORD_0 src1_sel:DWORD
	v_pk_fma_f16 v5, v5, v33, v32
	v_mul_u32_u24_sdwa v32, v35, v124 dst_sel:DWORD dst_unused:UNUSED_PAD src0_sel:WORD_0 src1_sel:DWORD
	ds_read_b128 v[150:153], v114 offset:464
	ds_read2_b64 v[13:16], v138 offset0:128 offset1:160
	v_pk_fma_f16 v17, v8, v19, v17
	v_pk_fma_f16 v18, v7, v19, v18
	v_mul_u32_u24_sdwa v19, v34, v124 dst_sel:DWORD dst_unused:UNUSED_PAD src0_sel:WORD_1 src1_sel:DWORD
	ds_read2_b64 v[28:31], v138 offset0:192 offset1:224
	s_waitcnt lgkmcnt(12)
	v_pk_fma_f16 v17, v38, v32, v17
	v_pk_fma_f16 v18, v37, v32, v18
	;; [unrolled: 1-line block ×4, first 2 shown]
	v_mov_b32_e32 v19, v141
	v_mul_u32_u24_sdwa v141, v35, v124 dst_sel:DWORD dst_unused:UNUSED_PAD src0_sel:WORD_1 src1_sel:DWORD
	ds_read_b128 v[32:35], v114 offset:480
	ds_read2_b64 v[5:8], v139 offset1:32
	v_fmac_f32_e32 v19, v145, v143
	v_mul_u32_u24_sdwa v143, v36, v124 dst_sel:DWORD dst_unused:UNUSED_PAD src0_sel:WORD_0 src1_sel:DWORD
	v_mul_u32_u24_sdwa v36, v36, v124 dst_sel:DWORD dst_unused:UNUSED_PAD src0_sel:WORD_1 src1_sel:DWORD
	v_pk_fma_f16 v38, v38, v141, v142
	v_pk_fma_f16 v37, v37, v141, v144
	s_waitcnt lgkmcnt(13)
	v_mul_u32_u24_sdwa v141, v9, v124 dst_sel:DWORD dst_unused:UNUSED_PAD src0_sel:WORD_0 src1_sel:DWORD
	v_pk_fma_f16 v17, v40, v143, v17
	v_pk_fma_f16 v18, v39, v143, v18
	v_mul_u32_u24_sdwa v142, v9, v124 dst_sel:DWORD dst_unused:UNUSED_PAD src0_sel:WORD_1 src1_sel:DWORD
	v_pk_fma_f16 v38, v40, v36, v38
	v_pk_fma_f16 v36, v39, v36, v37
	v_mul_u32_u24_sdwa v37, v10, v124 dst_sel:DWORD dst_unused:UNUSED_PAD src0_sel:WORD_0 src1_sel:DWORD
	v_mul_u32_u24_sdwa v39, v10, v124 dst_sel:DWORD dst_unused:UNUSED_PAD src0_sel:WORD_1 src1_sel:DWORD
	s_waitcnt lgkmcnt(12)
	v_pk_fma_f16 v17, v42, v141, v17
	v_pk_fma_f16 v18, v41, v141, v18
	v_pk_fma_f16 v38, v42, v142, v38
	v_pk_fma_f16 v36, v41, v142, v36
	v_mul_u32_u24_sdwa v40, v11, v124 dst_sel:DWORD dst_unused:UNUSED_PAD src0_sel:WORD_0 src1_sel:DWORD
	v_mul_u32_u24_sdwa v143, v11, v124 dst_sel:DWORD dst_unused:UNUSED_PAD src0_sel:WORD_1 src1_sel:DWORD
	v_pk_fma_f16 v17, v44, v37, v17
	v_pk_fma_f16 v18, v43, v37, v18
	v_pk_fma_f16 v44, v44, v39, v38
	v_pk_fma_f16 v43, v43, v39, v36
	v_mul_u32_u24_sdwa v144, v12, v124 dst_sel:DWORD dst_unused:UNUSED_PAD src0_sel:WORD_0 src1_sel:DWORD
	v_mul_u32_u24_sdwa v145, v12, v124 dst_sel:DWORD dst_unused:UNUSED_PAD src0_sel:WORD_1 src1_sel:DWORD
	s_waitcnt lgkmcnt(11)
	v_pk_fma_f16 v17, v46, v40, v17
	v_pk_fma_f16 v18, v45, v40, v18
	v_pk_fma_f16 v40, v46, v143, v44
	v_pk_fma_f16 v43, v45, v143, v43
	s_waitcnt lgkmcnt(10)
	v_mul_u32_u24_sdwa v41, v49, v124 dst_sel:DWORD dst_unused:UNUSED_PAD src0_sel:WORD_0 src1_sel:DWORD
	v_mul_u32_u24_sdwa v42, v49, v124 dst_sel:DWORD dst_unused:UNUSED_PAD src0_sel:WORD_1 src1_sel:DWORD
	v_pk_fma_f16 v17, v48, v144, v17
	v_pk_fma_f16 v18, v47, v144, v18
	v_pk_fma_f16 v40, v48, v145, v40
	v_pk_fma_f16 v43, v47, v145, v43
	v_mul_u32_u24_sdwa v49, v50, v124 dst_sel:DWORD dst_unused:UNUSED_PAD src0_sel:WORD_0 src1_sel:DWORD
	v_mul_u32_u24_sdwa v50, v50, v124 dst_sel:DWORD dst_unused:UNUSED_PAD src0_sel:WORD_1 src1_sel:DWORD
	s_waitcnt lgkmcnt(9)
	v_pk_fma_f16 v17, v21, v41, v17
	v_pk_fma_f16 v18, v20, v41, v18
	v_pk_fma_f16 v21, v21, v42, v40
	v_pk_fma_f16 v20, v20, v42, v43
	v_mul_u32_u24_sdwa v141, v51, v124 dst_sel:DWORD dst_unused:UNUSED_PAD src0_sel:WORD_0 src1_sel:DWORD
	v_mul_u32_u24_sdwa v51, v51, v124 dst_sel:DWORD dst_unused:UNUSED_PAD src0_sel:WORD_1 src1_sel:DWORD
	v_pk_fma_f16 v17, v23, v49, v17
	v_pk_fma_f16 v18, v22, v49, v18
	v_pk_fma_f16 v21, v23, v50, v21
	v_pk_fma_f16 v20, v22, v50, v20
	v_mul_u32_u24_sdwa v142, v52, v124 dst_sel:DWORD dst_unused:UNUSED_PAD src0_sel:WORD_0 src1_sel:DWORD
	v_mul_u32_u24_sdwa v52, v52, v124 dst_sel:DWORD dst_unused:UNUSED_PAD src0_sel:WORD_1 src1_sel:DWORD
	s_waitcnt lgkmcnt(8)
	v_pk_fma_f16 v17, v2, v141, v17
	v_pk_fma_f16 v18, v1, v141, v18
	v_pk_fma_f16 v2, v2, v51, v21
	v_pk_fma_f16 v1, v1, v51, v20
	s_waitcnt lgkmcnt(7)
	v_mul_u32_u24_sdwa v44, v24, v124 dst_sel:DWORD dst_unused:UNUSED_PAD src0_sel:WORD_0 src1_sel:DWORD
	v_mul_u32_u24_sdwa v45, v24, v124 dst_sel:DWORD dst_unused:UNUSED_PAD src0_sel:WORD_1 src1_sel:DWORD
	v_pk_fma_f16 v17, v4, v142, v17
	v_pk_fma_f16 v18, v3, v142, v18
	;; [unrolled: 27-line block ×3, first 2 shown]
	v_pk_fma_f16 v17, v148, v144, v17
	v_pk_fma_f16 v1, v148, v145, v1
	v_mul_u32_u24_sdwa v22, v151, v124 dst_sel:DWORD dst_unused:UNUSED_PAD src0_sel:WORD_0 src1_sel:DWORD
	v_mul_u32_u24_sdwa v23, v151, v124 dst_sel:DWORD dst_unused:UNUSED_PAD src0_sel:WORD_1 src1_sel:DWORD
	s_waitcnt lgkmcnt(3)
	v_pk_fma_f16 v4, v14, v154, v4
	v_pk_fma_f16 v2, v14, v49, v2
	;; [unrolled: 1-line block ×4, first 2 shown]
	v_mul_u32_u24_sdwa v50, v152, v124 dst_sel:DWORD dst_unused:UNUSED_PAD src0_sel:WORD_0 src1_sel:DWORD
	v_mul_u32_u24_sdwa v150, v152, v124 dst_sel:DWORD dst_unused:UNUSED_PAD src0_sel:WORD_1 src1_sel:DWORD
	v_pk_fma_f16 v4, v16, v22, v4
	v_pk_fma_f16 v2, v16, v23, v2
	;; [unrolled: 1-line block ×4, first 2 shown]
	ds_read2_b64 v[9:12], v139 offset0:64 offset1:96
	v_mul_u32_u24_sdwa v151, v153, v124 dst_sel:DWORD dst_unused:UNUSED_PAD src0_sel:WORD_0 src1_sel:DWORD
	v_mul_u32_u24_sdwa v152, v153, v124 dst_sel:DWORD dst_unused:UNUSED_PAD src0_sel:WORD_1 src1_sel:DWORD
	s_waitcnt lgkmcnt(3)
	v_pk_fma_f16 v4, v29, v50, v4
	v_pk_fma_f16 v2, v29, v150, v2
	;; [unrolled: 1-line block ×4, first 2 shown]
	ds_read_b128 v[24:27], v114 offset:496
	s_waitcnt lgkmcnt(3)
	v_mul_u32_u24_sdwa v20, v32, v124 dst_sel:DWORD dst_unused:UNUSED_PAD src0_sel:WORD_0 src1_sel:DWORD
	v_mul_u32_u24_sdwa v21, v32, v124 dst_sel:DWORD dst_unused:UNUSED_PAD src0_sel:WORD_1 src1_sel:DWORD
	v_pk_fma_f16 v4, v31, v151, v4
	v_pk_fma_f16 v2, v31, v152, v2
	;; [unrolled: 1-line block ×4, first 2 shown]
	ds_read2_b64 v[36:39], v139 offset0:128 offset1:160
	v_mul_u32_u24_sdwa v3, v33, v124 dst_sel:DWORD dst_unused:UNUSED_PAD src0_sel:WORD_0 src1_sel:DWORD
	v_mul_u32_u24_sdwa v18, v33, v124 dst_sel:DWORD dst_unused:UNUSED_PAD src0_sel:WORD_1 src1_sel:DWORD
	s_waitcnt lgkmcnt(3)
	v_pk_fma_f16 v4, v6, v20, v4
	v_pk_fma_f16 v2, v6, v21, v2
	;; [unrolled: 1-line block ×4, first 2 shown]
	v_mul_u32_u24_sdwa v32, v34, v124 dst_sel:DWORD dst_unused:UNUSED_PAD src0_sel:WORD_0 src1_sel:DWORD
	v_mul_u32_u24_sdwa v33, v34, v124 dst_sel:DWORD dst_unused:UNUSED_PAD src0_sel:WORD_1 src1_sel:DWORD
	v_pk_fma_f16 v4, v8, v3, v4
	v_pk_fma_f16 v2, v8, v18, v2
	;; [unrolled: 1-line block ×4, first 2 shown]
	ds_read2_b64 v[40:43], v139 offset0:192 offset1:224
	v_mul_u32_u24_sdwa v34, v35, v124 dst_sel:DWORD dst_unused:UNUSED_PAD src0_sel:WORD_0 src1_sel:DWORD
	v_mul_u32_u24_sdwa v13, v35, v124 dst_sel:DWORD dst_unused:UNUSED_PAD src0_sel:WORD_1 src1_sel:DWORD
	s_waitcnt lgkmcnt(3)
	v_pk_fma_f16 v4, v10, v32, v4
	v_pk_fma_f16 v2, v10, v33, v2
	;; [unrolled: 1-line block ×4, first 2 shown]
	s_waitcnt lgkmcnt(0)
	s_barrier
	buffer_gl0_inv
	s_load_dword s0, s[22:23], 0x4
	v_mul_u32_u24_sdwa v15, v24, v124 dst_sel:DWORD dst_unused:UNUSED_PAD src0_sel:WORD_0 src1_sel:DWORD
	v_mul_u32_u24_sdwa v16, v24, v124 dst_sel:DWORD dst_unused:UNUSED_PAD src0_sel:WORD_1 src1_sel:DWORD
	v_pk_fma_f16 v4, v12, v34, v4
	v_pk_fma_f16 v2, v12, v13, v2
	v_pk_fma_f16 v3, v11, v34, v3
	v_pk_fma_f16 v1, v11, v13, v1
	v_mul_u32_u24_sdwa v17, v25, v124 dst_sel:DWORD dst_unused:UNUSED_PAD src0_sel:WORD_0 src1_sel:DWORD
	v_mul_u32_u24_sdwa v5, v25, v124 dst_sel:DWORD dst_unused:UNUSED_PAD src0_sel:WORD_1 src1_sel:DWORD
	v_pk_fma_f16 v4, v37, v15, v4
	v_pk_fma_f16 v2, v37, v16, v2
	v_pk_fma_f16 v3, v36, v15, v3
	v_pk_fma_f16 v1, v36, v16, v1
	;; [unrolled: 6-line block ×4, first 2 shown]
	s_waitcnt lgkmcnt(0)
	s_lshl_b32 s0, s0, 7
	v_pk_fma_f16 v22, v43, v8, v4
	v_pk_fma_f16 v20, v43, v9, v2
	v_pk_fma_f16 v23, v42, v8, v3
	v_pk_fma_f16 v21, v42, v9, v1
	s_add_i32 s26, s0, s26
	s_cmp_ge_i32 s26, s40
	s_cbranch_scc0 .LBB24_9
; %bb.10:
	v_mov_b32_e32 v4, v96
.LBB24_11:
	v_cmp_lt_i32_e32 vcc_lo, v105, v97
	s_cmp_lg_u64 s[24:25], 0
	s_cselect_b32 s0, -1, 0
	s_cmp_eq_u32 s34, 0
	v_cndmask_b32_e32 v1, v4, v105, vcc_lo
	v_cmp_lt_i32_e32 vcc_lo, v101, v97
	s_cselect_b32 s1, -1, 0
	s_and_b32 s0, s1, s0
	v_lshlrev_b32_e32 v1, 2, v1
	v_cndmask_b32_e32 v3, v4, v101, vcc_lo
	v_cmp_lt_i32_e32 vcc_lo, v100, v97
	ds_bpermute_b32 v2, v1, v140
	ds_bpermute_b32 v1, v1, v19
	v_lshlrev_b32_e32 v3, 2, v3
	v_cndmask_b32_e32 v6, v4, v100, vcc_lo
	v_cmp_lt_i32_e32 vcc_lo, v99, v97
	v_lshlrev_b32_e32 v6, 2, v6
	s_waitcnt lgkmcnt(1)
	v_add_f32_e32 v2, v140, v2
	s_waitcnt lgkmcnt(0)
	v_add_f32_e32 v1, v19, v1
	ds_bpermute_b32 v5, v3, v2
	ds_bpermute_b32 v3, v3, v1
	s_waitcnt lgkmcnt(1)
	v_add_f32_e32 v2, v2, v5
	s_waitcnt lgkmcnt(0)
	v_add_f32_e32 v1, v1, v3
	ds_bpermute_b32 v3, v6, v2
	ds_bpermute_b32 v5, v6, v1
	v_cndmask_b32_e32 v6, v4, v99, vcc_lo
	v_cmp_lt_i32_e32 vcc_lo, v98, v97
	v_lshlrev_b32_e32 v6, 2, v6
	v_cndmask_b32_e32 v4, v4, v98, vcc_lo
	s_and_b32 vcc_lo, exec_lo, s0
	v_lshlrev_b32_e32 v4, 2, v4
	s_waitcnt lgkmcnt(1)
	v_add_f32_e32 v2, v2, v3
	s_waitcnt lgkmcnt(0)
	v_add_f32_e32 v1, v1, v5
	ds_bpermute_b32 v3, v6, v2
	ds_bpermute_b32 v5, v6, v1
	s_waitcnt lgkmcnt(1)
	v_add_f32_e32 v2, v2, v3
	s_waitcnt lgkmcnt(0)
	v_add_f32_e32 v3, v1, v5
	ds_bpermute_b32 v1, v4, v2
	ds_bpermute_b32 v4, v4, v3
	s_waitcnt lgkmcnt(1)
	v_add_f32_e32 v1, v2, v1
	s_waitcnt lgkmcnt(0)
	v_add_f32_e32 v2, v3, v4
	s_cbranch_vccz .LBB24_14
; %bb.12:
	v_add_nc_u32_e32 v3, s35, v93
	v_max_f32_e32 v5, v91, v91
	v_max_f32_e32 v7, v92, v92
	v_ashrrev_i32_e32 v4, 31, v3
	v_lshlrev_b64 v[3:4], 2, v[3:4]
	v_add_co_u32 v3, vcc_lo, s24, v3
	v_add_co_ci_u32_e64 v4, null, s25, v4, vcc_lo
	global_load_dwordx2 v[3:4], v[3:4], off
	s_waitcnt vmcnt(0)
	v_max_f32_e32 v6, v3, v3
	v_max_f32_e32 v8, v4, v4
	;; [unrolled: 1-line block ×4, first 2 shown]
	v_sub_f32_e32 v7, v91, v5
	v_sub_f32_e32 v8, v92, v6
	;; [unrolled: 1-line block ×4, first 2 shown]
	v_mov_b32_e32 v92, v6
	v_mul_f32_e32 v9, 0x3fb8aa3b, v7
	v_mul_f32_e32 v11, 0x3fb8aa3b, v8
	;; [unrolled: 1-line block ×4, first 2 shown]
	v_cmp_ngt_f32_e32 vcc_lo, 0xc2ce8ed0, v7
	v_fma_f32 v13, 0x3fb8aa3b, v7, -v9
	v_rndne_f32_e32 v14, v9
	v_fma_f32 v17, 0x3fb8aa3b, v8, -v11
	v_rndne_f32_e32 v18, v11
	v_fma_f32 v15, 0x3fb8aa3b, v3, -v10
	v_fmac_f32_e32 v13, 0x32a5705f, v7
	v_sub_f32_e32 v9, v9, v14
	v_rndne_f32_e32 v16, v10
	v_fmac_f32_e32 v17, 0x32a5705f, v8
	v_sub_f32_e32 v11, v11, v18
	v_fmac_f32_e32 v15, 0x32a5705f, v3
	v_add_f32_e32 v9, v9, v13
	v_sub_f32_e32 v10, v10, v16
	v_cvt_i32_f32_e32 v13, v14
	v_add_f32_e32 v11, v11, v17
	v_fma_f32 v19, 0x3fb8aa3b, v4, -v12
	v_exp_f32_e32 v9, v9
	v_add_f32_e32 v10, v10, v15
	v_rndne_f32_e32 v24, v12
	v_exp_f32_e32 v11, v11
	v_cvt_i32_f32_e32 v15, v18
	v_fmac_f32_e32 v19, 0x32a5705f, v4
	v_exp_f32_e32 v10, v10
	v_sub_f32_e32 v12, v12, v24
	v_cvt_i32_f32_e32 v14, v16
	v_cvt_i32_f32_e32 v16, v24
	v_ldexp_f32 v9, v9, v13
	v_mov_b32_e32 v17, 0x10001
	v_add_f32_e32 v12, v12, v19
	v_ldexp_f32 v11, v11, v15
	v_mov_b32_e32 v91, v5
	v_cndmask_b32_e32 v9, 0, v9, vcc_lo
	v_cmp_ngt_f32_e32 vcc_lo, 0xc2ce8ed0, v8
	v_ldexp_f32 v10, v10, v14
	v_exp_f32_e32 v12, v12
	v_cndmask_b32_e32 v11, 0, v11, vcc_lo
	v_cmp_ngt_f32_e32 vcc_lo, 0xc2ce8ed0, v3
	v_cndmask_b32_e32 v10, 0, v10, vcc_lo
	v_cmp_nlt_f32_e32 vcc_lo, 0x42b17218, v7
	v_ldexp_f32 v12, v12, v16
	v_cndmask_b32_e32 v7, 0x7f800000, v9, vcc_lo
	v_cmp_nlt_f32_e32 vcc_lo, 0x42b17218, v8
	v_cndmask_b32_e32 v8, 0x7f800000, v11, vcc_lo
	v_cmp_ngt_f32_e32 vcc_lo, 0xc2ce8ed0, v4
	v_cvt_f16_f32_e32 v11, v8
	v_cndmask_b32_e32 v9, 0, v12, vcc_lo
	v_cmp_nlt_f32_e32 vcc_lo, 0x42b17218, v3
	v_mul_u32_u24_sdwa v5, v11, v17 dst_sel:DWORD dst_unused:UNUSED_PAD src0_sel:WORD_0 src1_sel:DWORD
	v_cndmask_b32_e32 v3, 0x7f800000, v10, vcc_lo
	v_cmp_nlt_f32_e32 vcc_lo, 0x42b17218, v4
	v_cvt_f16_f32_e32 v10, v7
	v_pk_mul_f16 v21, v21, v5
	v_pk_mul_f16 v20, v20, v5
	v_fmac_f32_e32 v3, v1, v7
	v_cndmask_b32_e32 v4, 0x7f800000, v9, vcc_lo
	v_mul_u32_u24_sdwa v7, v10, v17 dst_sel:DWORD dst_unused:UNUSED_PAD src0_sel:WORD_0 src1_sel:DWORD
	v_mov_b32_e32 v1, v3
	v_fmac_f32_e32 v4, v2, v8
	v_pk_mul_f16 v23, v23, v7
	v_pk_mul_f16 v22, v22, v7
	v_mov_b32_e32 v2, v4
	s_mov_b32 s0, exec_lo
	v_cmpx_gt_i32_e64 s38, v57
	s_cbranch_execnz .LBB24_15
.LBB24_13:
	s_endpgm
.LBB24_14:
	v_mov_b32_e32 v4, v2
	v_mov_b32_e32 v3, v1
	s_mov_b32 s0, exec_lo
	v_cmpx_gt_i32_e64 s38, v57
	s_cbranch_execz .LBB24_13
.LBB24_15:
	s_load_dword s1, s[4:5], 0xd4
	v_mov_b32_e32 v7, 1.0
	s_waitcnt lgkmcnt(0)
	s_cmp_lg_u32 s1, 1
	s_cselect_b32 s3, -1, 0
	s_cmp_eq_u32 s1, 1
	s_cselect_b32 s2, -1, 0
	s_and_b32 vcc_lo, exec_lo, s3
	s_cbranch_vccnz .LBB24_17
; %bb.16:
	v_div_scale_f32 v5, null, v1, v1, 1.0
	v_rcp_f32_e32 v6, v5
	v_fma_f32 v7, -v5, v6, 1.0
	v_fmac_f32_e32 v6, v7, v6
	v_div_scale_f32 v7, vcc_lo, 1.0, v1, 1.0
	v_mul_f32_e32 v8, v7, v6
	v_fma_f32 v9, -v5, v8, v7
	v_fmac_f32_e32 v8, v9, v6
	v_fma_f32 v5, -v5, v8, v7
	v_div_fmas_f32 v5, v5, v6, v8
	v_div_fixup_f32 v7, v5, v1, 1.0
.LBB24_17:
	v_mad_u64_u32 v[5:6], null, s33, s38, v[57:58]
	v_cmp_eq_u32_e32 vcc_lo, 0, v0
	v_cvt_f32_f16_sdwa v9, v23 dst_sel:DWORD dst_unused:UNUSED_PAD src0_sel:WORD_1
	v_cvt_f32_f16_e32 v10, v22
	v_cvt_f32_f16_sdwa v11, v22 dst_sel:DWORD dst_unused:UNUSED_PAD src0_sel:WORD_1
	v_mul_f32_e32 v9, v7, v9
	v_mul_lo_u32 v1, v5, s39
	v_mul_f32_e32 v10, v7, v10
	v_mul_f32_e32 v11, v7, v11
	v_add3_u32 v1, s35, v93, v1
	v_mad_u64_u32 v[5:6], null, s1, v1, s[34:35]
	v_mov_b32_e32 v1, 0
	v_cvt_f32_f16_e32 v6, v23
	v_mul_f32_e32 v8, v7, v6
	v_lshl_add_u32 v0, v5, 7, v94
	v_lshlrev_b64 v[0:1], 2, v[0:1]
	v_add_co_u32 v0, s0, s28, v0
	v_add_co_ci_u32_e64 v1, null, s29, v1, s0
	s_and_b32 s0, vcc_lo, s3
	global_store_dwordx4 v[0:1], v[8:11], off
	s_and_saveexec_b32 s3, s0
	s_cbranch_execz .LBB24_19
; %bb.18:
	v_ashrrev_i32_e32 v6, 31, v5
	v_mov_b32_e32 v7, v3
	v_lshlrev_b64 v[0:1], 3, v[5:6]
	v_mov_b32_e32 v6, v91
	v_add_co_u32 v0, vcc_lo, s30, v0
	v_add_co_ci_u32_e64 v1, null, s31, v1, vcc_lo
	global_store_dwordx2 v[0:1], v[6:7], off
.LBB24_19:
	s_or_b32 exec_lo, exec_lo, s3
	v_mov_b32_e32 v1, 1.0
	s_andn2_b32 vcc_lo, exec_lo, s2
	s_cbranch_vccnz .LBB24_21
; %bb.20:
	v_div_scale_f32 v0, null, v2, v2, 1.0
	v_rcp_f32_e32 v1, v0
	v_fma_f32 v3, -v0, v1, 1.0
	v_fmac_f32_e32 v1, v3, v1
	v_div_scale_f32 v3, vcc_lo, 1.0, v2, 1.0
	v_mul_f32_e32 v6, v3, v1
	v_fma_f32 v7, -v0, v6, v3
	v_fmac_f32_e32 v6, v7, v1
	v_fma_f32 v0, -v0, v6, v3
	v_div_fmas_f32 v0, v0, v1, v6
	v_div_fixup_f32 v1, v0, v2, 1.0
.LBB24_21:
	v_add_nc_u32_e32 v0, s1, v5
	v_mov_b32_e32 v3, 0
	v_cvt_f32_f16_e32 v5, v21
	v_cvt_f32_f16_sdwa v6, v21 dst_sel:DWORD dst_unused:UNUSED_PAD src0_sel:WORD_1
	v_cvt_f32_f16_e32 v7, v20
	v_lshl_add_u32 v2, v0, 7, v94
	v_cvt_f32_f16_sdwa v8, v20 dst_sel:DWORD dst_unused:UNUSED_PAD src0_sel:WORD_1
	v_mul_f32_e32 v5, v1, v5
	v_mul_f32_e32 v6, v1, v6
	;; [unrolled: 1-line block ×3, first 2 shown]
	v_lshlrev_b64 v[2:3], 2, v[2:3]
	v_mul_f32_e32 v8, v1, v8
	v_add_co_u32 v1, vcc_lo, s28, v2
	v_add_co_ci_u32_e64 v2, null, s29, v3, vcc_lo
	global_store_dwordx4 v[1:2], v[5:8], off
	s_and_b32 exec_lo, exec_lo, s0
	s_cbranch_execz .LBB24_13
; %bb.22:
	v_ashrrev_i32_e32 v1, 31, v0
	v_mov_b32_e32 v3, v92
	v_lshlrev_b64 v[0:1], 3, v[0:1]
	v_add_co_u32 v0, vcc_lo, s30, v0
	v_add_co_ci_u32_e64 v1, null, s31, v1, vcc_lo
	global_store_dwordx2 v[0:1], v[3:4], off
	s_endpgm
	.section	.rodata,"a",@progbits
	.p2align	6, 0x0
	.amdhsa_kernel _ZL15flash_attn_tileILi128ELi128ELi4ELi4ELb0EEvPKcS1_S1_S1_S1_PKiPfP15HIP_vector_typeIfLj2EEffffjfiS5_IjLj3EEiiiiiiiiiiiliiliiiiil
		.amdhsa_group_segment_fixed_size 43008
		.amdhsa_private_segment_fixed_size 0
		.amdhsa_kernarg_size 464
		.amdhsa_user_sgpr_count 6
		.amdhsa_user_sgpr_private_segment_buffer 1
		.amdhsa_user_sgpr_dispatch_ptr 0
		.amdhsa_user_sgpr_queue_ptr 0
		.amdhsa_user_sgpr_kernarg_segment_ptr 1
		.amdhsa_user_sgpr_dispatch_id 0
		.amdhsa_user_sgpr_flat_scratch_init 0
		.amdhsa_user_sgpr_private_segment_size 0
		.amdhsa_wavefront_size32 1
		.amdhsa_uses_dynamic_stack 0
		.amdhsa_system_sgpr_private_segment_wavefront_offset 0
		.amdhsa_system_sgpr_workgroup_id_x 1
		.amdhsa_system_sgpr_workgroup_id_y 1
		.amdhsa_system_sgpr_workgroup_id_z 1
		.amdhsa_system_sgpr_workgroup_info 0
		.amdhsa_system_vgpr_workitem_id 1
		.amdhsa_next_free_vgpr 181
		.amdhsa_next_free_sgpr 45
		.amdhsa_reserve_vcc 1
		.amdhsa_reserve_flat_scratch 0
		.amdhsa_float_round_mode_32 0
		.amdhsa_float_round_mode_16_64 0
		.amdhsa_float_denorm_mode_32 3
		.amdhsa_float_denorm_mode_16_64 3
		.amdhsa_dx10_clamp 1
		.amdhsa_ieee_mode 1
		.amdhsa_fp16_overflow 0
		.amdhsa_workgroup_processor_mode 1
		.amdhsa_memory_ordered 1
		.amdhsa_forward_progress 1
		.amdhsa_shared_vgpr_count 0
		.amdhsa_exception_fp_ieee_invalid_op 0
		.amdhsa_exception_fp_denorm_src 0
		.amdhsa_exception_fp_ieee_div_zero 0
		.amdhsa_exception_fp_ieee_overflow 0
		.amdhsa_exception_fp_ieee_underflow 0
		.amdhsa_exception_fp_ieee_inexact 0
		.amdhsa_exception_int_div_zero 0
	.end_amdhsa_kernel
	.section	.text._ZL15flash_attn_tileILi128ELi128ELi4ELi4ELb0EEvPKcS1_S1_S1_S1_PKiPfP15HIP_vector_typeIfLj2EEffffjfiS5_IjLj3EEiiiiiiiiiiiliiliiiiil,"axG",@progbits,_ZL15flash_attn_tileILi128ELi128ELi4ELi4ELb0EEvPKcS1_S1_S1_S1_PKiPfP15HIP_vector_typeIfLj2EEffffjfiS5_IjLj3EEiiiiiiiiiiiliiliiiiil,comdat
.Lfunc_end24:
	.size	_ZL15flash_attn_tileILi128ELi128ELi4ELi4ELb0EEvPKcS1_S1_S1_S1_PKiPfP15HIP_vector_typeIfLj2EEffffjfiS5_IjLj3EEiiiiiiiiiiiliiliiiiil, .Lfunc_end24-_ZL15flash_attn_tileILi128ELi128ELi4ELi4ELb0EEvPKcS1_S1_S1_S1_PKiPfP15HIP_vector_typeIfLj2EEffffjfiS5_IjLj3EEiiiiiiiiiiiliiliiiiil
                                        ; -- End function
	.set _ZL15flash_attn_tileILi128ELi128ELi4ELi4ELb0EEvPKcS1_S1_S1_S1_PKiPfP15HIP_vector_typeIfLj2EEffffjfiS5_IjLj3EEiiiiiiiiiiiliiliiiiil.num_vgpr, 181
	.set _ZL15flash_attn_tileILi128ELi128ELi4ELi4ELb0EEvPKcS1_S1_S1_S1_PKiPfP15HIP_vector_typeIfLj2EEffffjfiS5_IjLj3EEiiiiiiiiiiiliiliiiiil.num_agpr, 0
	.set _ZL15flash_attn_tileILi128ELi128ELi4ELi4ELb0EEvPKcS1_S1_S1_S1_PKiPfP15HIP_vector_typeIfLj2EEffffjfiS5_IjLj3EEiiiiiiiiiiiliiliiiiil.numbered_sgpr, 45
	.set _ZL15flash_attn_tileILi128ELi128ELi4ELi4ELb0EEvPKcS1_S1_S1_S1_PKiPfP15HIP_vector_typeIfLj2EEffffjfiS5_IjLj3EEiiiiiiiiiiiliiliiiiil.num_named_barrier, 0
	.set _ZL15flash_attn_tileILi128ELi128ELi4ELi4ELb0EEvPKcS1_S1_S1_S1_PKiPfP15HIP_vector_typeIfLj2EEffffjfiS5_IjLj3EEiiiiiiiiiiiliiliiiiil.private_seg_size, 0
	.set _ZL15flash_attn_tileILi128ELi128ELi4ELi4ELb0EEvPKcS1_S1_S1_S1_PKiPfP15HIP_vector_typeIfLj2EEffffjfiS5_IjLj3EEiiiiiiiiiiiliiliiiiil.uses_vcc, 1
	.set _ZL15flash_attn_tileILi128ELi128ELi4ELi4ELb0EEvPKcS1_S1_S1_S1_PKiPfP15HIP_vector_typeIfLj2EEffffjfiS5_IjLj3EEiiiiiiiiiiiliiliiiiil.uses_flat_scratch, 0
	.set _ZL15flash_attn_tileILi128ELi128ELi4ELi4ELb0EEvPKcS1_S1_S1_S1_PKiPfP15HIP_vector_typeIfLj2EEffffjfiS5_IjLj3EEiiiiiiiiiiiliiliiiiil.has_dyn_sized_stack, 0
	.set _ZL15flash_attn_tileILi128ELi128ELi4ELi4ELb0EEvPKcS1_S1_S1_S1_PKiPfP15HIP_vector_typeIfLj2EEffffjfiS5_IjLj3EEiiiiiiiiiiiliiliiiiil.has_recursion, 0
	.set _ZL15flash_attn_tileILi128ELi128ELi4ELi4ELb0EEvPKcS1_S1_S1_S1_PKiPfP15HIP_vector_typeIfLj2EEffffjfiS5_IjLj3EEiiiiiiiiiiiliiliiiiil.has_indirect_call, 0
	.section	.AMDGPU.csdata,"",@progbits
; Kernel info:
; codeLenInByte = 24620
; TotalNumSgprs: 47
; NumVgprs: 181
; ScratchSize: 0
; MemoryBound: 0
; FloatMode: 240
; IeeeMode: 1
; LDSByteSize: 43008 bytes/workgroup (compile time only)
; SGPRBlocks: 0
; VGPRBlocks: 22
; NumSGPRsForWavesPerEU: 47
; NumVGPRsForWavesPerEU: 181
; Occupancy: 5
; WaveLimiterHint : 1
; COMPUTE_PGM_RSRC2:SCRATCH_EN: 0
; COMPUTE_PGM_RSRC2:USER_SGPR: 6
; COMPUTE_PGM_RSRC2:TRAP_HANDLER: 0
; COMPUTE_PGM_RSRC2:TGID_X_EN: 1
; COMPUTE_PGM_RSRC2:TGID_Y_EN: 1
; COMPUTE_PGM_RSRC2:TGID_Z_EN: 1
; COMPUTE_PGM_RSRC2:TIDIG_COMP_CNT: 1
	.section	.text._ZL33flash_attn_stream_k_fixup_uniformILi128ELi4ELi4EEvPfPK15HIP_vector_typeIfLj2EEiiiiiiS1_IjLj3EES5_S5_,"axG",@progbits,_ZL33flash_attn_stream_k_fixup_uniformILi128ELi4ELi4EEvPfPK15HIP_vector_typeIfLj2EEiiiiiiS1_IjLj3EES5_S5_,comdat
	.globl	_ZL33flash_attn_stream_k_fixup_uniformILi128ELi4ELi4EEvPfPK15HIP_vector_typeIfLj2EEiiiiiiS1_IjLj3EES5_S5_ ; -- Begin function _ZL33flash_attn_stream_k_fixup_uniformILi128ELi4ELi4EEvPfPK15HIP_vector_typeIfLj2EEiiiiiiS1_IjLj3EES5_S5_
	.p2align	8
	.type	_ZL33flash_attn_stream_k_fixup_uniformILi128ELi4ELi4EEvPfPK15HIP_vector_typeIfLj2EEiiiiiiS1_IjLj3EES5_S5_,@function
_ZL33flash_attn_stream_k_fixup_uniformILi128ELi4ELi4EEvPfPK15HIP_vector_typeIfLj2EEiiiiiiS1_IjLj3EES5_S5_: ; @_ZL33flash_attn_stream_k_fixup_uniformILi128ELi4ELi4EEvPfPK15HIP_vector_typeIfLj2EEiiiiiiS1_IjLj3EES5_S5_
; %bb.0:
	s_clause 0x2
	s_load_dwordx8 s[12:19], s[4:5], 0x1c
	s_load_dwordx4 s[20:23], s[4:5], 0x3c
	s_load_dwordx2 s[10:11], s[4:5], 0x10
	s_waitcnt lgkmcnt(0)
	s_mul_hi_u32 s0, s15, s6
	s_add_i32 s0, s6, s0
	s_lshr_b32 s0, s0, s16
	s_mul_i32 s1, s0, s17
	s_sub_i32 s2, s6, s1
	s_mul_hi_u32 s1, s2, s18
	s_add_i32 s1, s2, s1
	s_lshr_b32 s1, s1, s19
	s_mul_i32 s3, s1, s20
	s_sub_i32 s2, s2, s3
	s_mul_hi_u32 s3, s2, s21
	s_add_i32 s3, s2, s3
	s_lshr_b32 s3, s3, s22
	s_mul_i32 s9, s3, s23
	s_lshl_b32 s15, s3, 2
	s_sub_i32 s9, s2, s9
	s_lshl_b32 s2, s9, 2
	s_add_i32 s2, s2, s7
	s_cmp_lt_i32 s2, s10
	s_cselect_b32 s2, -1, 0
	s_add_i32 s3, s15, s8
	s_cmp_lt_i32 s3, s13
	s_cselect_b32 s3, -1, 0
	s_and_b32 s2, s2, s3
	s_andn2_b32 vcc_lo, exec_lo, s2
	s_cbranch_vccnz .LBB25_6
; %bb.1:
	s_mul_i32 s0, s0, s10
	s_mul_i32 s10, s1, s13
	s_add_i32 s0, s0, s7
	s_mul_i32 s0, s0, s11
	s_add_i32 s13, s0, s8
	s_load_dwordx4 s[0:3], s[4:5], 0x0
	s_add_i32 s4, s13, s10
	s_mul_i32 s5, s11, s9
	s_add_i32 s4, s4, s15
	s_lshl_b32 s5, s5, 9
	s_lshl_b32 s4, s4, 7
	;; [unrolled: 1-line block ×3, first 2 shown]
	s_add_i32 s5, s5, s4
	s_mul_i32 s4, s14, s6
	v_or_b32_e32 v1, s5, v0
	s_add_i32 s11, s4, s14
	v_ashrrev_i32_e32 v2, 31, v1
	v_lshlrev_b64 v[1:2], 2, v[1:2]
	s_waitcnt lgkmcnt(0)
	v_add_co_u32 v1, vcc_lo, s0, v1
	v_add_co_ci_u32_e64 v2, null, s1, v2, vcc_lo
	s_add_i32 s0, s10, s8
	s_lshl_b32 s1, s11, 4
	s_add_i32 s0, s0, s1
	global_load_dword v5, v[1:2], off
	s_add_i32 s0, s0, -16
	s_ashr_i32 s1, s0, 31
	s_lshl_b64 s[0:1], s[0:1], 3
	s_add_u32 s0, s2, s0
	s_addc_u32 s1, s3, s1
	s_add_i32 s5, s11, -2
	s_load_dword s13, s[0:1], 0x4
	s_cmp_lt_i32 s5, s4
	s_cbranch_scc1 .LBB25_4
; %bb.2:
	s_lshl_b32 s16, s12, 6
	s_load_dword s15, s[0:1], 0x0
	s_ashr_i32 s17, s16, 31
	s_waitcnt lgkmcnt(0)
	v_mov_b32_e32 v6, s13
	s_lshl_b64 s[0:1], s[16:17], 2
	s_add_u32 s5, s2, s0
	s_addc_u32 s9, s3, s1
	s_add_i32 s6, s6, 1
	s_lshl_b32 s0, s7, 9
	s_lshl_b32 s1, s8, 7
	s_mul_i32 s6, s14, s6
	s_add_i32 s0, s1, s0
	s_lshl_b32 s1, s6, 11
	s_add_i32 s0, s0, s1
	s_lshl_b32 s1, s6, 4
	v_or_b32_e32 v0, s0, v0
	s_lshl_b32 s0, s12, 4
	s_add_i32 s1, s8, s1
	s_add_i32 s6, s11, -1
	s_add_i32 s0, s1, s0
	v_add_nc_u32_e32 v3, 0xfffff000, v0
	v_mov_b32_e32 v0, s15
	s_add_i32 s0, s0, s10
	s_sub_i32 s0, s0, 32
.LBB25_3:                               ; =>This Inner Loop Header: Depth=1
	v_ashrrev_i32_e32 v4, 31, v3
	s_ashr_i32 s1, s0, 31
	s_lshl_b64 s[10:11], s[0:1], 3
	s_add_u32 s10, s2, s10
	v_lshlrev_b64 v[7:8], 2, v[3:4]
	s_addc_u32 s11, s3, s11
	v_add_nc_u32_e32 v3, 0xfffff800, v3
	s_add_i32 s6, s6, -1
	s_add_i32 s0, s0, -16
	s_cmp_le_i32 s6, s4
	v_add_co_u32 v7, vcc_lo, s5, v7
	v_add_co_ci_u32_e64 v8, null, s9, v8, vcc_lo
	s_load_dwordx2 s[10:11], s[10:11], 0x0
	global_load_dword v4, v[7:8], off
	v_max_f32_e32 v7, v0, v0
	s_waitcnt lgkmcnt(0)
	v_max_f32_e64 v8, s10, s10
	v_max_f32_e32 v7, v7, v8
	v_sub_f32_e32 v8, s10, v7
	v_sub_f32_e32 v0, v0, v7
	v_mul_f32_e32 v9, 0x3fb8aa3b, v8
	v_mul_f32_e32 v12, 0x3fb8aa3b, v0
	v_cmp_ngt_f32_e32 vcc_lo, 0xc2ce8ed0, v8
	v_fma_f32 v10, 0x3fb8aa3b, v8, -v9
	v_rndne_f32_e32 v11, v9
	v_fma_f32 v13, 0x3fb8aa3b, v0, -v12
	v_rndne_f32_e32 v14, v12
	v_fmac_f32_e32 v10, 0x32a5705f, v8
	v_sub_f32_e32 v9, v9, v11
	v_fmac_f32_e32 v13, 0x32a5705f, v0
	v_cvt_i32_f32_e32 v11, v11
	v_add_f32_e32 v9, v9, v10
	v_sub_f32_e32 v10, v12, v14
	v_exp_f32_e32 v9, v9
	v_add_f32_e32 v10, v10, v13
	v_exp_f32_e32 v10, v10
	v_ldexp_f32 v9, v9, v11
	v_cvt_i32_f32_e32 v11, v14
	v_cndmask_b32_e32 v9, 0, v9, vcc_lo
	v_cmp_nlt_f32_e32 vcc_lo, 0x42b17218, v8
	v_ldexp_f32 v10, v10, v11
	v_mov_b32_e32 v11, v6
	v_cndmask_b32_e32 v9, 0x7f800000, v9, vcc_lo
	v_cmp_ngt_f32_e32 vcc_lo, 0xc2ce8ed0, v0
	v_cndmask_b32_e32 v10, 0, v10, vcc_lo
	v_cmp_le_f32_e32 vcc_lo, 0xc1a00000, v8
	v_cndmask_b32_e32 v8, 0, v9, vcc_lo
	v_cmp_nlt_f32_e32 vcc_lo, 0x42b17218, v0
	s_waitcnt vmcnt(1)
	v_mov_b32_e32 v9, v5
	v_cndmask_b32_e32 v5, 0x7f800000, v10, vcc_lo
	v_mul_f32_e32 v10, s11, v8
	v_cmp_le_f32_e32 vcc_lo, 0xc1a00000, v0
	v_mov_b32_e32 v0, v7
	v_mov_b32_e32 v6, v10
	v_cndmask_b32_e32 v12, 0, v5, vcc_lo
	v_fmac_f32_e32 v6, v11, v12
	s_waitcnt vmcnt(0)
	v_mul_f32_e32 v5, v4, v8
	v_fmac_f32_e32 v5, v9, v12
	s_cbranch_scc0 .LBB25_3
	s_branch .LBB25_5
.LBB25_4:
	s_waitcnt lgkmcnt(0)
	v_mov_b32_e32 v6, s13
.LBB25_5:
	s_waitcnt vmcnt(0)
	v_div_scale_f32 v0, null, v6, v6, v5
	v_rcp_f32_e32 v3, v0
	v_fma_f32 v4, -v0, v3, 1.0
	v_fmac_f32_e32 v3, v4, v3
	v_div_scale_f32 v4, vcc_lo, v5, v6, v5
	v_mul_f32_e32 v7, v4, v3
	v_fma_f32 v8, -v0, v7, v4
	v_fmac_f32_e32 v7, v8, v3
	v_fma_f32 v0, -v0, v7, v4
	v_div_fmas_f32 v0, v0, v3, v7
	v_div_fixup_f32 v0, v0, v6, v5
	global_store_dword v[1:2], v0, off
.LBB25_6:
	s_endpgm
	.section	.rodata,"a",@progbits
	.p2align	6, 0x0
	.amdhsa_kernel _ZL33flash_attn_stream_k_fixup_uniformILi128ELi4ELi4EEvPfPK15HIP_vector_typeIfLj2EEiiiiiiS1_IjLj3EES5_S5_
		.amdhsa_group_segment_fixed_size 0
		.amdhsa_private_segment_fixed_size 0
		.amdhsa_kernarg_size 76
		.amdhsa_user_sgpr_count 6
		.amdhsa_user_sgpr_private_segment_buffer 1
		.amdhsa_user_sgpr_dispatch_ptr 0
		.amdhsa_user_sgpr_queue_ptr 0
		.amdhsa_user_sgpr_kernarg_segment_ptr 1
		.amdhsa_user_sgpr_dispatch_id 0
		.amdhsa_user_sgpr_flat_scratch_init 0
		.amdhsa_user_sgpr_private_segment_size 0
		.amdhsa_wavefront_size32 1
		.amdhsa_uses_dynamic_stack 0
		.amdhsa_system_sgpr_private_segment_wavefront_offset 0
		.amdhsa_system_sgpr_workgroup_id_x 1
		.amdhsa_system_sgpr_workgroup_id_y 1
		.amdhsa_system_sgpr_workgroup_id_z 1
		.amdhsa_system_sgpr_workgroup_info 0
		.amdhsa_system_vgpr_workitem_id 0
		.amdhsa_next_free_vgpr 15
		.amdhsa_next_free_sgpr 24
		.amdhsa_reserve_vcc 1
		.amdhsa_reserve_flat_scratch 0
		.amdhsa_float_round_mode_32 0
		.amdhsa_float_round_mode_16_64 0
		.amdhsa_float_denorm_mode_32 3
		.amdhsa_float_denorm_mode_16_64 3
		.amdhsa_dx10_clamp 1
		.amdhsa_ieee_mode 1
		.amdhsa_fp16_overflow 0
		.amdhsa_workgroup_processor_mode 1
		.amdhsa_memory_ordered 1
		.amdhsa_forward_progress 1
		.amdhsa_shared_vgpr_count 0
		.amdhsa_exception_fp_ieee_invalid_op 0
		.amdhsa_exception_fp_denorm_src 0
		.amdhsa_exception_fp_ieee_div_zero 0
		.amdhsa_exception_fp_ieee_overflow 0
		.amdhsa_exception_fp_ieee_underflow 0
		.amdhsa_exception_fp_ieee_inexact 0
		.amdhsa_exception_int_div_zero 0
	.end_amdhsa_kernel
	.section	.text._ZL33flash_attn_stream_k_fixup_uniformILi128ELi4ELi4EEvPfPK15HIP_vector_typeIfLj2EEiiiiiiS1_IjLj3EES5_S5_,"axG",@progbits,_ZL33flash_attn_stream_k_fixup_uniformILi128ELi4ELi4EEvPfPK15HIP_vector_typeIfLj2EEiiiiiiS1_IjLj3EES5_S5_,comdat
.Lfunc_end25:
	.size	_ZL33flash_attn_stream_k_fixup_uniformILi128ELi4ELi4EEvPfPK15HIP_vector_typeIfLj2EEiiiiiiS1_IjLj3EES5_S5_, .Lfunc_end25-_ZL33flash_attn_stream_k_fixup_uniformILi128ELi4ELi4EEvPfPK15HIP_vector_typeIfLj2EEiiiiiiS1_IjLj3EES5_S5_
                                        ; -- End function
	.set _ZL33flash_attn_stream_k_fixup_uniformILi128ELi4ELi4EEvPfPK15HIP_vector_typeIfLj2EEiiiiiiS1_IjLj3EES5_S5_.num_vgpr, 15
	.set _ZL33flash_attn_stream_k_fixup_uniformILi128ELi4ELi4EEvPfPK15HIP_vector_typeIfLj2EEiiiiiiS1_IjLj3EES5_S5_.num_agpr, 0
	.set _ZL33flash_attn_stream_k_fixup_uniformILi128ELi4ELi4EEvPfPK15HIP_vector_typeIfLj2EEiiiiiiS1_IjLj3EES5_S5_.numbered_sgpr, 24
	.set _ZL33flash_attn_stream_k_fixup_uniformILi128ELi4ELi4EEvPfPK15HIP_vector_typeIfLj2EEiiiiiiS1_IjLj3EES5_S5_.num_named_barrier, 0
	.set _ZL33flash_attn_stream_k_fixup_uniformILi128ELi4ELi4EEvPfPK15HIP_vector_typeIfLj2EEiiiiiiS1_IjLj3EES5_S5_.private_seg_size, 0
	.set _ZL33flash_attn_stream_k_fixup_uniformILi128ELi4ELi4EEvPfPK15HIP_vector_typeIfLj2EEiiiiiiS1_IjLj3EES5_S5_.uses_vcc, 1
	.set _ZL33flash_attn_stream_k_fixup_uniformILi128ELi4ELi4EEvPfPK15HIP_vector_typeIfLj2EEiiiiiiS1_IjLj3EES5_S5_.uses_flat_scratch, 0
	.set _ZL33flash_attn_stream_k_fixup_uniformILi128ELi4ELi4EEvPfPK15HIP_vector_typeIfLj2EEiiiiiiS1_IjLj3EES5_S5_.has_dyn_sized_stack, 0
	.set _ZL33flash_attn_stream_k_fixup_uniformILi128ELi4ELi4EEvPfPK15HIP_vector_typeIfLj2EEiiiiiiS1_IjLj3EES5_S5_.has_recursion, 0
	.set _ZL33flash_attn_stream_k_fixup_uniformILi128ELi4ELi4EEvPfPK15HIP_vector_typeIfLj2EEiiiiiiS1_IjLj3EES5_S5_.has_indirect_call, 0
	.section	.AMDGPU.csdata,"",@progbits
; Kernel info:
; codeLenInByte = 848
; TotalNumSgprs: 26
; NumVgprs: 15
; ScratchSize: 0
; MemoryBound: 0
; FloatMode: 240
; IeeeMode: 1
; LDSByteSize: 0 bytes/workgroup (compile time only)
; SGPRBlocks: 0
; VGPRBlocks: 1
; NumSGPRsForWavesPerEU: 26
; NumVGPRsForWavesPerEU: 15
; Occupancy: 16
; WaveLimiterHint : 0
; COMPUTE_PGM_RSRC2:SCRATCH_EN: 0
; COMPUTE_PGM_RSRC2:USER_SGPR: 6
; COMPUTE_PGM_RSRC2:TRAP_HANDLER: 0
; COMPUTE_PGM_RSRC2:TGID_X_EN: 1
; COMPUTE_PGM_RSRC2:TGID_Y_EN: 1
; COMPUTE_PGM_RSRC2:TGID_Z_EN: 1
; COMPUTE_PGM_RSRC2:TIDIG_COMP_CNT: 0
	.section	.text._ZL33flash_attn_stream_k_fixup_generalILi128ELi4ELi4EEvPfPK15HIP_vector_typeIfLj2EEiiiiS1_IjLj3EES5_S5_S5_,"axG",@progbits,_ZL33flash_attn_stream_k_fixup_generalILi128ELi4ELi4EEvPfPK15HIP_vector_typeIfLj2EEiiiiS1_IjLj3EES5_S5_S5_,comdat
	.globl	_ZL33flash_attn_stream_k_fixup_generalILi128ELi4ELi4EEvPfPK15HIP_vector_typeIfLj2EEiiiiS1_IjLj3EES5_S5_S5_ ; -- Begin function _ZL33flash_attn_stream_k_fixup_generalILi128ELi4ELi4EEvPfPK15HIP_vector_typeIfLj2EEiiiiS1_IjLj3EES5_S5_S5_
	.p2align	8
	.type	_ZL33flash_attn_stream_k_fixup_generalILi128ELi4ELi4EEvPfPK15HIP_vector_typeIfLj2EEiiiiS1_IjLj3EES5_S5_S5_,@function
_ZL33flash_attn_stream_k_fixup_generalILi128ELi4ELi4EEvPfPK15HIP_vector_typeIfLj2EEiiiiS1_IjLj3EES5_S5_S5_: ; @_ZL33flash_attn_stream_k_fixup_generalILi128ELi4ELi4EEvPfPK15HIP_vector_typeIfLj2EEiiiiS1_IjLj3EES5_S5_S5_
; %bb.0:
	s_clause 0x1
	s_load_dwordx4 s[0:3], s[4:5], 0x10
	s_load_dword s9, s[4:5], 0x50
	s_mov_b32 s16, 0
	s_waitcnt lgkmcnt(0)
	s_mul_hi_i32 s17, s3, s6
	s_mul_i32 s18, s3, s6
	s_cmp_lg_u64 s[16:17], 0
	s_cbranch_scc0 .LBB26_21
; %bb.1:
	s_add_u32 s10, s9, 0
	s_addc_u32 s11, 0, 0
	s_xor_b64 s[10:11], s[10:11], 0
	v_cvt_f32_u32_e32 v1, s10
	v_cvt_f32_u32_e32 v2, s11
	s_sub_u32 s14, 0, s10
	s_subb_u32 s15, 0, s11
	v_fmamk_f32 v1, v2, 0x4f800000, v1
	v_rcp_f32_e32 v1, v1
	v_mul_f32_e32 v1, 0x5f7ffffc, v1
	v_mul_f32_e32 v2, 0x2f800000, v1
	v_trunc_f32_e32 v2, v2
	v_fmamk_f32 v1, v2, 0xcf800000, v1
	v_cvt_u32_f32_e32 v2, v2
	v_cvt_u32_f32_e32 v1, v1
	v_readfirstlane_b32 s12, v2
	v_readfirstlane_b32 s13, v1
	s_mul_i32 s19, s14, s12
	s_mul_hi_u32 s21, s14, s13
	s_mul_i32 s20, s15, s13
	s_add_i32 s19, s21, s19
	s_mul_i32 s22, s14, s13
	s_add_i32 s19, s19, s20
	s_mul_hi_u32 s21, s13, s22
	s_mul_i32 s24, s13, s19
	s_mul_hi_u32 s23, s12, s22
	s_mul_i32 s20, s12, s22
	s_mul_hi_u32 s22, s13, s19
	s_add_u32 s21, s21, s24
	s_addc_u32 s22, 0, s22
	s_mul_hi_u32 s25, s12, s19
	s_add_u32 s20, s21, s20
	s_mul_i32 s19, s12, s19
	s_addc_u32 s20, s22, s23
	s_addc_u32 s21, s25, 0
	s_add_u32 s19, s20, s19
	s_addc_u32 s20, 0, s21
	s_add_u32 s13, s13, s19
	s_cselect_b32 s19, -1, 0
	s_mul_hi_u32 s21, s14, s13
	s_cmp_lg_u32 s19, 0
	s_mul_i32 s19, s14, s13
	s_addc_u32 s12, s12, s20
	s_mul_i32 s15, s15, s13
	s_mul_i32 s14, s14, s12
	s_mul_hi_u32 s20, s13, s19
	s_add_i32 s14, s21, s14
	s_mul_hi_u32 s21, s12, s19
	s_add_i32 s14, s14, s15
	s_mul_i32 s15, s12, s19
	s_mul_i32 s23, s13, s14
	s_mul_hi_u32 s22, s13, s14
	s_add_u32 s20, s20, s23
	s_addc_u32 s22, 0, s22
	s_mul_hi_u32 s19, s12, s14
	s_add_u32 s15, s20, s15
	s_mul_i32 s14, s12, s14
	s_addc_u32 s15, s22, s21
	s_addc_u32 s19, s19, 0
	s_add_u32 s14, s15, s14
	s_addc_u32 s15, 0, s19
	s_add_u32 s19, s13, s14
	s_cselect_b32 s13, -1, 0
	s_cmp_lg_u32 s13, 0
	s_addc_u32 s20, s12, s15
	s_ashr_i32 s12, s17, 31
	s_add_u32 s14, s18, s12
	s_mov_b32 s13, s12
	s_addc_u32 s15, s17, s12
	s_xor_b64 s[14:15], s[14:15], s[12:13]
	s_mul_i32 s21, s14, s20
	s_mul_hi_u32 s22, s14, s19
	s_mul_hi_u32 s17, s14, s20
	s_mul_hi_u32 s24, s15, s19
	s_mul_i32 s19, s15, s19
	s_add_u32 s21, s22, s21
	s_addc_u32 s17, 0, s17
	s_mul_hi_u32 s23, s15, s20
	s_add_u32 s19, s21, s19
	s_mul_i32 s20, s15, s20
	s_addc_u32 s17, s17, s24
	s_addc_u32 s19, s23, 0
	s_add_u32 s17, s17, s20
	s_addc_u32 s19, 0, s19
	s_mul_hi_u32 s20, s10, s17
	s_mul_i32 s21, s10, s19
	s_mul_i32 s22, s11, s17
	s_add_i32 s20, s20, s21
	s_mul_i32 s21, s10, s17
	s_add_i32 s20, s20, s22
	s_sub_i32 s22, s15, s20
	s_sub_u32 s14, s14, s21
	s_cselect_b32 s21, -1, 0
	s_cmp_lg_u32 s21, 0
	s_subb_u32 s22, s22, s11
	s_sub_u32 s23, s14, s10
	s_cselect_b32 s24, -1, 0
	s_cmp_lg_u32 s24, 0
	s_subb_u32 s22, s22, 0
	s_cmp_ge_u32 s22, s11
	s_cselect_b32 s24, -1, 0
	s_cmp_ge_u32 s23, s10
	s_cselect_b32 s23, -1, 0
	s_cmp_eq_u32 s22, s11
	s_cselect_b32 s22, s23, s24
	s_add_u32 s23, s17, 1
	s_addc_u32 s24, s19, 0
	s_add_u32 s25, s17, 2
	s_addc_u32 s26, s19, 0
	s_cmp_lg_u32 s22, 0
	s_cselect_b32 s22, s25, s23
	s_cselect_b32 s23, s26, s24
	s_cmp_lg_u32 s21, 0
	s_subb_u32 s15, s15, s20
	s_cmp_ge_u32 s15, s11
	s_cselect_b32 s20, -1, 0
	s_cmp_ge_u32 s14, s10
	s_cselect_b32 s10, -1, 0
	s_cmp_eq_u32 s15, s11
	s_cselect_b32 s10, s10, s20
	s_cmp_lg_u32 s10, 0
	s_cselect_b32 s11, s23, s19
	s_cselect_b32 s10, s22, s17
	s_xor_b64 s[12:13], s[12:13], 0
	s_xor_b64 s[10:11], s[10:11], s[12:13]
	s_sub_u32 s10, s10, s12
	s_load_dwordx4 s[12:15], s[4:5], 0x44
	s_andn2_b32 vcc_lo, exec_lo, s16
	s_cbranch_vccnz .LBB26_3
.LBB26_2:
	v_cvt_f32_u32_e32 v1, s9
	s_sub_i32 s11, 0, s9
	v_rcp_iflag_f32_e32 v1, v1
	v_mul_f32_e32 v1, 0x4f7ffffe, v1
	v_cvt_u32_f32_e32 v1, v1
	v_readfirstlane_b32 s10, v1
	s_mul_i32 s11, s11, s10
	s_mul_hi_u32 s11, s10, s11
	s_add_i32 s10, s10, s11
	s_mul_hi_u32 s10, s18, s10
	s_mul_i32 s11, s10, s9
	s_waitcnt lgkmcnt(0)
	s_add_i32 s15, s10, 1
	s_sub_i32 s11, s18, s11
	s_sub_i32 s16, s11, s9
	s_cmp_ge_u32 s11, s9
	s_cselect_b32 s10, s15, s10
	s_cselect_b32 s11, s16, s11
	s_add_i32 s15, s10, 1
	s_cmp_ge_u32 s11, s9
	s_cselect_b32 s10, s15, s10
.LBB26_3:
	s_add_i32 s11, s6, 1
	s_mov_b32 s16, 0
	s_mul_hi_i32 s17, s3, s11
	s_mul_i32 s11, s3, s11
	s_cmp_lg_u64 s[16:17], 0
	s_cbranch_scc0 .LBB26_22
; %bb.4:
	s_add_u32 s18, s9, 0
	s_addc_u32 s19, 0, 0
	s_xor_b64 s[18:19], s[18:19], 0
	v_cvt_f32_u32_e32 v1, s18
	v_cvt_f32_u32_e32 v2, s19
	s_sub_u32 s21, 0, s18
	s_subb_u32 s22, 0, s19
	v_fmamk_f32 v1, v2, 0x4f800000, v1
	v_rcp_f32_e32 v1, v1
	v_mul_f32_e32 v1, 0x5f7ffffc, v1
	v_mul_f32_e32 v2, 0x2f800000, v1
	v_trunc_f32_e32 v2, v2
	v_fmamk_f32 v1, v2, 0xcf800000, v1
	v_cvt_u32_f32_e32 v2, v2
	v_cvt_u32_f32_e32 v1, v1
	s_waitcnt lgkmcnt(0)
	v_readfirstlane_b32 s15, v2
	v_readfirstlane_b32 s20, v1
	s_mul_i32 s23, s21, s15
	s_mul_hi_u32 s25, s21, s20
	s_mul_i32 s24, s22, s20
	s_add_i32 s23, s25, s23
	s_mul_i32 s26, s21, s20
	s_add_i32 s23, s23, s24
	s_mul_hi_u32 s25, s20, s26
	s_mul_i32 s28, s20, s23
	s_mul_hi_u32 s27, s15, s26
	s_mul_i32 s24, s15, s26
	s_mul_hi_u32 s26, s20, s23
	s_add_u32 s25, s25, s28
	s_addc_u32 s26, 0, s26
	s_mul_hi_u32 s29, s15, s23
	s_add_u32 s24, s25, s24
	s_mul_i32 s23, s15, s23
	s_addc_u32 s24, s26, s27
	s_addc_u32 s25, s29, 0
	s_add_u32 s23, s24, s23
	s_addc_u32 s24, 0, s25
	s_add_u32 s20, s20, s23
	s_cselect_b32 s23, -1, 0
	s_mul_hi_u32 s25, s21, s20
	s_cmp_lg_u32 s23, 0
	s_mul_i32 s23, s21, s20
	s_addc_u32 s15, s15, s24
	s_mul_i32 s22, s22, s20
	s_mul_i32 s21, s21, s15
	s_mul_hi_u32 s24, s20, s23
	s_add_i32 s21, s25, s21
	s_mul_hi_u32 s25, s15, s23
	s_add_i32 s21, s21, s22
	s_mul_i32 s22, s15, s23
	s_mul_i32 s27, s20, s21
	s_mul_hi_u32 s26, s20, s21
	s_add_u32 s24, s24, s27
	s_addc_u32 s26, 0, s26
	s_mul_hi_u32 s23, s15, s21
	s_add_u32 s22, s24, s22
	s_mul_i32 s21, s15, s21
	s_addc_u32 s22, s26, s25
	s_addc_u32 s23, s23, 0
	s_add_u32 s21, s22, s21
	s_addc_u32 s22, 0, s23
	s_add_u32 s24, s20, s21
	s_cselect_b32 s20, -1, 0
	s_cmp_lg_u32 s20, 0
	s_addc_u32 s15, s15, s22
	s_ashr_i32 s20, s17, 31
	s_add_u32 s22, s11, s20
	s_mov_b32 s21, s20
	s_addc_u32 s23, s17, s20
	s_xor_b64 s[22:23], s[22:23], s[20:21]
	s_mul_i32 s25, s22, s15
	s_mul_hi_u32 s26, s22, s24
	s_mul_hi_u32 s17, s22, s15
	;; [unrolled: 1-line block ×3, first 2 shown]
	s_mul_i32 s24, s23, s24
	s_add_u32 s25, s26, s25
	s_addc_u32 s17, 0, s17
	s_mul_hi_u32 s27, s23, s15
	s_add_u32 s24, s25, s24
	s_mul_i32 s15, s23, s15
	s_addc_u32 s17, s17, s28
	s_addc_u32 s24, s27, 0
	s_add_u32 s15, s17, s15
	s_addc_u32 s17, 0, s24
	s_mul_hi_u32 s24, s18, s15
	s_mul_i32 s25, s18, s17
	s_mul_i32 s26, s19, s15
	s_add_i32 s24, s24, s25
	s_mul_i32 s25, s18, s15
	s_add_i32 s24, s24, s26
	s_sub_i32 s26, s23, s24
	s_sub_u32 s22, s22, s25
	s_cselect_b32 s25, -1, 0
	s_cmp_lg_u32 s25, 0
	s_subb_u32 s26, s26, s19
	s_sub_u32 s27, s22, s18
	s_cselect_b32 s28, -1, 0
	s_cmp_lg_u32 s28, 0
	s_subb_u32 s26, s26, 0
	s_cmp_ge_u32 s26, s19
	s_cselect_b32 s28, -1, 0
	s_cmp_ge_u32 s27, s18
	s_cselect_b32 s27, -1, 0
	s_cmp_eq_u32 s26, s19
	s_cselect_b32 s26, s27, s28
	s_add_u32 s27, s15, 1
	s_addc_u32 s28, s17, 0
	s_add_u32 s29, s15, 2
	s_addc_u32 s30, s17, 0
	s_cmp_lg_u32 s26, 0
	s_cselect_b32 s26, s29, s27
	s_cselect_b32 s27, s30, s28
	s_cmp_lg_u32 s25, 0
	s_subb_u32 s23, s23, s24
	s_cmp_ge_u32 s23, s19
	s_cselect_b32 s24, -1, 0
	s_cmp_ge_u32 s22, s18
	s_cselect_b32 s18, -1, 0
	s_cmp_eq_u32 s23, s19
	s_cselect_b32 s18, s18, s24
	s_cmp_lg_u32 s18, 0
	s_cselect_b32 s19, s27, s17
	s_cselect_b32 s18, s26, s15
	s_xor_b64 s[20:21], s[20:21], 0
	s_xor_b64 s[18:19], s[18:19], s[20:21]
	s_sub_u32 s18, s18, s20
	s_andn2_b32 vcc_lo, exec_lo, s16
	s_cbranch_vccnz .LBB26_6
.LBB26_5:
	v_cvt_f32_u32_e32 v1, s9
	s_sub_i32 s16, 0, s9
	v_rcp_iflag_f32_e32 v1, v1
	v_mul_f32_e32 v1, 0x4f7ffffe, v1
	v_cvt_u32_f32_e32 v1, v1
	s_waitcnt lgkmcnt(0)
	v_readfirstlane_b32 s15, v1
	s_mul_i32 s16, s16, s15
	s_mul_hi_u32 s16, s15, s16
	s_add_i32 s15, s15, s16
	s_mul_hi_u32 s15, s11, s15
	s_mul_i32 s16, s15, s9
	s_sub_i32 s11, s11, s16
	s_add_i32 s16, s15, 1
	s_sub_i32 s17, s11, s9
	s_cmp_ge_u32 s11, s9
	s_cselect_b32 s15, s16, s15
	s_cselect_b32 s11, s17, s11
	s_add_i32 s16, s15, 1
	s_cmp_ge_u32 s11, s9
	s_cselect_b32 s18, s16, s15
.LBB26_6:
	s_cmp_eq_u32 s10, s18
	s_waitcnt lgkmcnt(0)
	s_mul_hi_u32 s11, s10, s12
	s_cselect_b32 s15, -1, 0
	s_add_i32 s11, s11, s10
	s_lshr_b32 s11, s11, s13
	s_mul_i32 s16, s11, s14
	s_cmp_eq_u32 s16, s10
	s_mul_hi_u32 s16, s18, s12
	s_cselect_b32 s17, -1, 0
	s_add_i32 s16, s16, s18
	s_lshr_b32 s16, s16, s13
	s_cmp_eq_u32 s11, s16
	s_mul_i32 s16, s16, s14
	s_cselect_b32 s19, -1, 0
	s_cmp_lg_u32 s16, s18
	s_cselect_b32 s16, -1, 0
	s_or_b32 s15, s15, s17
	s_and_b32 s16, s19, s16
	s_or_b32 s15, s15, s16
	s_and_b32 vcc_lo, exec_lo, s15
	s_cbranch_vccnz .LBB26_24
; %bb.7:
	s_clause 0x1
	s_load_dwordx8 s[20:27], s[4:5], 0x20
	s_load_dword s16, s[4:5], 0x40
	s_waitcnt lgkmcnt(0)
	s_mul_hi_u32 s15, s10, s20
	s_add_i32 s15, s15, s10
	s_lshr_b32 s15, s15, s21
	s_mul_i32 s17, s15, s22
	s_sub_i32 s17, s10, s17
	s_mul_hi_u32 s18, s17, s23
	s_add_i32 s18, s17, s18
	s_lshr_b32 s22, s18, s24
	s_mul_i32 s18, s22, s25
	s_sub_i32 s17, s17, s18
	s_mul_hi_u32 s18, s17, s26
	s_add_i32 s18, s17, s18
	s_lshr_b32 s18, s18, s27
	s_mul_i32 s16, s18, s16
	s_lshl_b32 s24, s18, 2
	s_sub_i32 s16, s17, s16
	s_mul_hi_u32 s17, s16, s12
	s_add_i32 s16, s16, s17
	s_lshr_b32 s23, s16, s13
	s_lshl_b32 s16, s23, 2
	s_add_i32 s16, s16, s7
	s_cmp_lt_i32 s16, s0
	s_cselect_b32 s16, -1, 0
	s_add_i32 s17, s24, s8
	s_cmp_lt_i32 s17, s2
	s_cselect_b32 s17, -1, 0
	s_and_b32 s16, s16, s17
	s_andn2_b32 vcc_lo, exec_lo, s16
	s_cbranch_vccnz .LBB26_24
; %bb.8:
	s_load_dwordx4 s[16:19], s[4:5], 0x0
	s_mov_b32 s4, 0
	s_lshl_b32 s20, s9, 6
	s_mov_b32 s21, s4
	s_lshl_b32 s5, s7, 2
	s_lshl_b64 s[20:21], s[20:21], 2
	s_mul_i32 s0, s15, s0
	s_add_i32 s15, s5, s8
	s_mul_i32 s22, s22, s2
	v_cvt_f32_u32_e32 v4, s9
	v_rcp_iflag_f32_e32 v4, v4
	s_waitcnt lgkmcnt(0)
	s_add_u32 s20, s18, s20
	s_addc_u32 s21, s19, s21
	s_add_i32 s0, s0, s7
	s_mul_i32 s0, s0, s1
	s_mul_i32 s1, s1, s23
	s_add_i32 s0, s0, s8
	s_lshl_b32 s1, s1, 9
	s_add_i32 s0, s0, s22
	v_mul_f32_e32 v4, 0x4f7ffffe, v4
	s_add_i32 s0, s0, s24
	s_lshl_b32 s0, s0, 7
	s_add_i32 s1, s1, s0
	s_lshl_b32 s0, s6, 4
	v_or_b32_e32 v1, s1, v0
	s_add_i32 s0, s15, s0
	v_lshl_or_b32 v0, s15, 7, v0
	s_ashr_i32 s1, s0, 31
	v_cvt_u32_f32_e32 v4, v4
	v_ashrrev_i32_e32 v2, 31, v1
	s_lshl_b64 s[0:1], s[0:1], 3
	s_add_u32 s0, s18, s0
	s_addc_u32 s1, s19, s1
	v_lshlrev_b64 v[1:2], 2, v[1:2]
	s_load_dwordx2 s[0:1], s[0:1], 0x0
	s_add_i32 s8, s6, -1
	s_sub_i32 s2, 0, s9
	v_add_co_u32 v1, vcc_lo, s16, v1
	v_add_co_ci_u32_e64 v2, null, s17, v2, vcc_lo
	global_load_dword v3, v[1:2], off
	s_waitcnt lgkmcnt(0)
	v_mov_b32_e32 v5, s1
	v_mov_b32_e32 v6, s0
.LBB26_9:                               ; =>This Inner Loop Header: Depth=1
	s_mul_hi_i32 s5, s8, s3
	s_mul_i32 s6, s8, s3
	s_cmp_lg_u64 s[4:5], 0
	s_mov_b32 s7, -1
                                        ; implicit-def: $sgpr0_sgpr1
	s_cbranch_scc0 .LBB26_11
; %bb.10:                               ;   in Loop: Header=BB26_9 Depth=1
	s_add_u32 s0, s9, 0
	s_addc_u32 s1, 0, 0
	s_xor_b64 s[0:1], s[0:1], 0
	v_cvt_f32_u32_e32 v7, s0
	v_cvt_f32_u32_e32 v8, s1
	s_sub_u32 s17, 0, s0
	s_subb_u32 s22, 0, s1
	v_fmac_f32_e32 v7, 0x4f800000, v8
	v_rcp_f32_e32 v7, v7
	v_mul_f32_e32 v7, 0x5f7ffffc, v7
	v_mul_f32_e32 v8, 0x2f800000, v7
	v_trunc_f32_e32 v8, v8
	v_fmac_f32_e32 v7, 0xcf800000, v8
	v_cvt_u32_f32_e32 v8, v8
	v_cvt_u32_f32_e32 v7, v7
	v_readfirstlane_b32 s7, v8
	v_readfirstlane_b32 s16, v7
	s_mul_i32 s23, s17, s7
	s_mul_hi_u32 s25, s17, s16
	s_mul_i32 s24, s22, s16
	s_add_i32 s23, s25, s23
	s_mul_i32 s26, s17, s16
	s_add_i32 s23, s23, s24
	s_mul_hi_u32 s25, s16, s26
	s_mul_i32 s28, s16, s23
	s_mul_hi_u32 s27, s7, s26
	s_mul_i32 s24, s7, s26
	s_mul_hi_u32 s26, s16, s23
	s_add_u32 s25, s25, s28
	s_addc_u32 s26, 0, s26
	s_mul_hi_u32 s29, s7, s23
	s_add_u32 s24, s25, s24
	s_mul_i32 s23, s7, s23
	s_addc_u32 s24, s26, s27
	s_addc_u32 s25, s29, 0
	s_add_u32 s23, s24, s23
	s_addc_u32 s24, 0, s25
	s_add_u32 s16, s16, s23
	s_cselect_b32 s23, -1, 0
	s_mul_hi_u32 s25, s17, s16
	s_cmp_lg_u32 s23, 0
	s_mul_i32 s23, s17, s16
	s_addc_u32 s7, s7, s24
	s_mul_i32 s22, s22, s16
	s_mul_i32 s17, s17, s7
	s_mul_hi_u32 s24, s16, s23
	s_add_i32 s17, s25, s17
	s_mul_hi_u32 s25, s7, s23
	s_add_i32 s17, s17, s22
	s_mul_i32 s22, s7, s23
	s_mul_i32 s27, s16, s17
	s_mul_hi_u32 s26, s16, s17
	s_add_u32 s24, s24, s27
	s_addc_u32 s26, 0, s26
	s_mul_hi_u32 s23, s7, s17
	s_add_u32 s22, s24, s22
	s_mul_i32 s17, s7, s17
	s_addc_u32 s22, s26, s25
	s_addc_u32 s23, s23, 0
	s_add_u32 s17, s22, s17
	s_addc_u32 s22, 0, s23
	s_add_u32 s24, s16, s17
	s_cselect_b32 s16, -1, 0
	s_cmp_lg_u32 s16, 0
	s_addc_u32 s7, s7, s22
	s_ashr_i32 s16, s5, 31
	s_add_u32 s22, s6, s16
	s_mov_b32 s17, s16
	s_addc_u32 s23, s5, s16
	s_xor_b64 s[22:23], s[22:23], s[16:17]
	s_mul_i32 s25, s22, s7
	s_mul_hi_u32 s26, s22, s24
	s_mul_hi_u32 s5, s22, s7
	;; [unrolled: 1-line block ×3, first 2 shown]
	s_mul_i32 s24, s23, s24
	s_add_u32 s25, s26, s25
	s_addc_u32 s5, 0, s5
	s_mul_hi_u32 s27, s23, s7
	s_add_u32 s24, s25, s24
	s_mul_i32 s7, s23, s7
	s_addc_u32 s5, s5, s28
	s_addc_u32 s24, s27, 0
	s_add_u32 s5, s5, s7
	s_addc_u32 s7, 0, s24
	s_mul_hi_u32 s24, s0, s5
	s_mul_i32 s25, s0, s7
	s_mul_i32 s26, s1, s5
	s_add_i32 s24, s24, s25
	s_mul_i32 s25, s0, s5
	s_add_i32 s24, s24, s26
	s_sub_i32 s26, s23, s24
	s_sub_u32 s22, s22, s25
	s_cselect_b32 s25, -1, 0
	s_cmp_lg_u32 s25, 0
	s_subb_u32 s26, s26, s1
	s_sub_u32 s27, s22, s0
	s_cselect_b32 s28, -1, 0
	s_cmp_lg_u32 s28, 0
	s_subb_u32 s26, s26, 0
	s_cmp_ge_u32 s26, s1
	s_cselect_b32 s28, -1, 0
	s_cmp_ge_u32 s27, s0
	s_cselect_b32 s27, -1, 0
	s_cmp_eq_u32 s26, s1
	s_cselect_b32 s26, s27, s28
	s_add_u32 s27, s5, 1
	s_addc_u32 s28, s7, 0
	s_add_u32 s29, s5, 2
	s_addc_u32 s30, s7, 0
	s_cmp_lg_u32 s26, 0
	s_cselect_b32 s26, s29, s27
	s_cselect_b32 s27, s30, s28
	s_cmp_lg_u32 s25, 0
	s_subb_u32 s23, s23, s24
	s_cmp_ge_u32 s23, s1
	s_cselect_b32 s24, -1, 0
	s_cmp_ge_u32 s22, s0
	s_cselect_b32 s0, -1, 0
	s_cmp_eq_u32 s23, s1
	s_cselect_b32 s0, s0, s24
	s_cmp_lg_u32 s0, 0
	s_cselect_b32 s1, s27, s7
	s_cselect_b32 s0, s26, s5
	s_xor_b64 s[16:17], s[16:17], 0
	s_mov_b32 s7, 0
	s_xor_b64 s[0:1], s[0:1], s[16:17]
	s_sub_u32 s0, s0, s16
.LBB26_11:                              ;   in Loop: Header=BB26_9 Depth=1
	s_andn2_b32 vcc_lo, exec_lo, s7
	s_cbranch_vccnz .LBB26_13
; %bb.12:                               ;   in Loop: Header=BB26_9 Depth=1
	v_readfirstlane_b32 s0, v4
	s_mul_i32 s1, s2, s0
	s_mul_hi_u32 s1, s0, s1
	s_add_i32 s0, s0, s1
	s_mul_hi_u32 s0, s6, s0
	s_mul_i32 s1, s0, s9
	s_add_i32 s5, s0, 1
	s_sub_i32 s1, s6, s1
	s_sub_i32 s6, s1, s9
	s_cmp_ge_u32 s1, s9
	s_cselect_b32 s0, s5, s0
	s_cselect_b32 s1, s6, s1
	s_add_i32 s5, s0, 1
	s_cmp_ge_u32 s1, s9
	s_cselect_b32 s0, s5, s0
.LBB26_13:                              ;   in Loop: Header=BB26_9 Depth=1
	s_cmp_lg_u32 s10, s0
	s_mov_b32 s6, -1
                                        ; implicit-def: $sgpr5
                                        ; implicit-def: $vgpr8
                                        ; implicit-def: $vgpr7
                                        ; implicit-def: $vgpr9
                                        ; implicit-def: $sgpr1
                                        ; implicit-def: $sgpr16
	s_cbranch_scc0 .LBB26_18
; %bb.14:                               ;   in Loop: Header=BB26_9 Depth=1
	s_add_i32 s1, s8, s9
	s_mov_b32 s7, s4
	s_lshl_b32 s1, s1, 4
	s_mov_b32 s16, s10
	s_add_i32 s6, s1, s15
	s_mul_hi_u32 s1, s0, s12
	s_lshl_b64 s[6:7], s[6:7], 3
	s_add_u32 s6, s18, s6
	s_addc_u32 s7, s19, s7
	s_add_i32 s1, s1, s0
	s_lshr_b32 s1, s1, s13
	s_mul_i32 s5, s1, s14
	s_cmp_eq_u32 s5, s0
	s_cselect_b32 s5, -1, 0
	s_cmp_lt_u32 s1, s11
	s_cselect_b32 s1, -1, 0
	s_or_b32 s1, s1, s5
	s_mov_b32 s5, -1
	s_and_b32 vcc_lo, exec_lo, s1
	s_mov_b32 s1, s8
	s_cbranch_vccnz .LBB26_16
; %bb.15:                               ;   in Loop: Header=BB26_9 Depth=1
	s_add_i32 s1, s8, -1
	s_mov_b32 s5, 0
	s_mov_b32 s16, s0
.LBB26_16:                              ;   in Loop: Header=BB26_9 Depth=1
	v_lshl_add_u32 v7, s8, 11, v0
	s_load_dwordx2 s[6:7], s[6:7], 0x0
	v_ashrrev_i32_e32 v8, 31, v7
	v_lshlrev_b64 v[7:8], 2, v[7:8]
	v_add_co_u32 v7, vcc_lo, s20, v7
	v_add_co_ci_u32_e64 v8, null, s21, v8, vcc_lo
	s_waitcnt lgkmcnt(0)
	v_max_f32_e64 v9, s6, s6
	global_load_dword v8, v[7:8], off
	v_max_f32_e32 v7, v6, v6
	v_max_f32_e32 v7, v7, v9
	v_sub_f32_e32 v9, s6, v7
	v_sub_f32_e32 v10, v6, v7
	v_mul_f32_e32 v11, 0x3fb8aa3b, v9
	v_mul_f32_e32 v12, 0x3fb8aa3b, v10
	v_cmp_ngt_f32_e32 vcc_lo, 0xc2ce8ed0, v9
	v_fma_f32 v13, 0x3fb8aa3b, v9, -v11
	v_rndne_f32_e32 v14, v11
	v_fma_f32 v15, 0x3fb8aa3b, v10, -v12
	v_rndne_f32_e32 v16, v12
	v_fmac_f32_e32 v13, 0x32a5705f, v9
	v_sub_f32_e32 v11, v11, v14
	v_fmac_f32_e32 v15, 0x32a5705f, v10
	v_sub_f32_e32 v12, v12, v16
	v_add_f32_e32 v11, v11, v13
	v_cvt_i32_f32_e32 v13, v14
	v_add_f32_e32 v12, v12, v15
	v_cvt_i32_f32_e32 v14, v16
	v_exp_f32_e32 v11, v11
	v_exp_f32_e32 v12, v12
	v_ldexp_f32 v11, v11, v13
	v_ldexp_f32 v12, v12, v14
	v_cndmask_b32_e32 v11, 0, v11, vcc_lo
	v_cmp_ngt_f32_e32 vcc_lo, 0xc2ce8ed0, v10
	v_cndmask_b32_e32 v12, 0, v12, vcc_lo
	v_cmp_nlt_f32_e32 vcc_lo, 0x42b17218, v9
	v_cndmask_b32_e32 v11, 0x7f800000, v11, vcc_lo
	v_cmp_nlt_f32_e32 vcc_lo, 0x42b17218, v10
	v_cndmask_b32_e32 v12, 0x7f800000, v12, vcc_lo
	v_cmp_le_f32_e32 vcc_lo, 0xc1a00000, v9
	v_cndmask_b32_e32 v9, 0, v11, vcc_lo
	v_cmp_le_f32_e32 vcc_lo, 0xc1a00000, v10
	v_cndmask_b32_e32 v10, 0, v12, vcc_lo
	s_waitcnt vmcnt(0)
	v_mul_f32_e32 v8, v8, v9
	v_mul_f32_e32 v9, s7, v9
	v_fmac_f32_e32 v8, v3, v10
	v_fmac_f32_e32 v9, v5, v10
	s_cbranch_execz .LBB26_19
.LBB26_17:                              ;   in Loop: Header=BB26_9 Depth=1
	s_andn2_b32 vcc_lo, exec_lo, s5
	s_cbranch_vccnz .LBB26_20
	s_branch .LBB26_23
.LBB26_18:                              ;   in Loop: Header=BB26_9 Depth=1
	s_andn2_b32 vcc_lo, exec_lo, s6
	s_cbranch_vccnz .LBB26_17
.LBB26_19:                              ;   in Loop: Header=BB26_9 Depth=1
	v_mov_b32_e32 v9, v5
	v_mov_b32_e32 v7, v6
	s_waitcnt vmcnt(0)
	v_mov_b32_e32 v8, v3
	s_add_i32 s1, s8, -1
	s_mov_b32 s16, s10
	s_cbranch_execz .LBB26_23
.LBB26_20:                              ;   in Loop: Header=BB26_9 Depth=1
	v_mov_b32_e32 v5, v9
	v_mov_b32_e32 v6, v7
	s_waitcnt vmcnt(0)
	v_mov_b32_e32 v3, v8
	s_mov_b32 s10, s16
	s_mov_b32 s8, s1
	s_branch .LBB26_9
.LBB26_21:
                                        ; implicit-def: $sgpr10_sgpr11
	s_load_dwordx4 s[12:15], s[4:5], 0x44
	s_branch .LBB26_2
.LBB26_22:
                                        ; implicit-def: $sgpr18_sgpr19
	s_branch .LBB26_5
.LBB26_23:
	v_div_scale_f32 v0, null, v9, v9, v8
	s_waitcnt vmcnt(0)
	v_rcp_f32_e32 v3, v0
	v_fma_f32 v4, -v0, v3, 1.0
	v_fmac_f32_e32 v3, v4, v3
	v_div_scale_f32 v4, vcc_lo, v8, v9, v8
	v_mul_f32_e32 v5, v4, v3
	v_fma_f32 v6, -v0, v5, v4
	v_fmac_f32_e32 v5, v6, v3
	v_fma_f32 v0, -v0, v5, v4
	v_div_fmas_f32 v0, v0, v3, v5
	v_div_fixup_f32 v0, v0, v9, v8
	global_store_dword v[1:2], v0, off
.LBB26_24:
	s_endpgm
	.section	.rodata,"a",@progbits
	.p2align	6, 0x0
	.amdhsa_kernel _ZL33flash_attn_stream_k_fixup_generalILi128ELi4ELi4EEvPfPK15HIP_vector_typeIfLj2EEiiiiS1_IjLj3EES5_S5_S5_
		.amdhsa_group_segment_fixed_size 0
		.amdhsa_private_segment_fixed_size 0
		.amdhsa_kernarg_size 336
		.amdhsa_user_sgpr_count 6
		.amdhsa_user_sgpr_private_segment_buffer 1
		.amdhsa_user_sgpr_dispatch_ptr 0
		.amdhsa_user_sgpr_queue_ptr 0
		.amdhsa_user_sgpr_kernarg_segment_ptr 1
		.amdhsa_user_sgpr_dispatch_id 0
		.amdhsa_user_sgpr_flat_scratch_init 0
		.amdhsa_user_sgpr_private_segment_size 0
		.amdhsa_wavefront_size32 1
		.amdhsa_uses_dynamic_stack 0
		.amdhsa_system_sgpr_private_segment_wavefront_offset 0
		.amdhsa_system_sgpr_workgroup_id_x 1
		.amdhsa_system_sgpr_workgroup_id_y 1
		.amdhsa_system_sgpr_workgroup_id_z 1
		.amdhsa_system_sgpr_workgroup_info 0
		.amdhsa_system_vgpr_workitem_id 0
		.amdhsa_next_free_vgpr 17
		.amdhsa_next_free_sgpr 31
		.amdhsa_reserve_vcc 1
		.amdhsa_reserve_flat_scratch 0
		.amdhsa_float_round_mode_32 0
		.amdhsa_float_round_mode_16_64 0
		.amdhsa_float_denorm_mode_32 3
		.amdhsa_float_denorm_mode_16_64 3
		.amdhsa_dx10_clamp 1
		.amdhsa_ieee_mode 1
		.amdhsa_fp16_overflow 0
		.amdhsa_workgroup_processor_mode 1
		.amdhsa_memory_ordered 1
		.amdhsa_forward_progress 1
		.amdhsa_shared_vgpr_count 0
		.amdhsa_exception_fp_ieee_invalid_op 0
		.amdhsa_exception_fp_denorm_src 0
		.amdhsa_exception_fp_ieee_div_zero 0
		.amdhsa_exception_fp_ieee_overflow 0
		.amdhsa_exception_fp_ieee_underflow 0
		.amdhsa_exception_fp_ieee_inexact 0
		.amdhsa_exception_int_div_zero 0
	.end_amdhsa_kernel
	.section	.text._ZL33flash_attn_stream_k_fixup_generalILi128ELi4ELi4EEvPfPK15HIP_vector_typeIfLj2EEiiiiS1_IjLj3EES5_S5_S5_,"axG",@progbits,_ZL33flash_attn_stream_k_fixup_generalILi128ELi4ELi4EEvPfPK15HIP_vector_typeIfLj2EEiiiiS1_IjLj3EES5_S5_S5_,comdat
.Lfunc_end26:
	.size	_ZL33flash_attn_stream_k_fixup_generalILi128ELi4ELi4EEvPfPK15HIP_vector_typeIfLj2EEiiiiS1_IjLj3EES5_S5_S5_, .Lfunc_end26-_ZL33flash_attn_stream_k_fixup_generalILi128ELi4ELi4EEvPfPK15HIP_vector_typeIfLj2EEiiiiS1_IjLj3EES5_S5_S5_
                                        ; -- End function
	.set _ZL33flash_attn_stream_k_fixup_generalILi128ELi4ELi4EEvPfPK15HIP_vector_typeIfLj2EEiiiiS1_IjLj3EES5_S5_S5_.num_vgpr, 17
	.set _ZL33flash_attn_stream_k_fixup_generalILi128ELi4ELi4EEvPfPK15HIP_vector_typeIfLj2EEiiiiS1_IjLj3EES5_S5_S5_.num_agpr, 0
	.set _ZL33flash_attn_stream_k_fixup_generalILi128ELi4ELi4EEvPfPK15HIP_vector_typeIfLj2EEiiiiS1_IjLj3EES5_S5_S5_.numbered_sgpr, 31
	.set _ZL33flash_attn_stream_k_fixup_generalILi128ELi4ELi4EEvPfPK15HIP_vector_typeIfLj2EEiiiiS1_IjLj3EES5_S5_S5_.num_named_barrier, 0
	.set _ZL33flash_attn_stream_k_fixup_generalILi128ELi4ELi4EEvPfPK15HIP_vector_typeIfLj2EEiiiiS1_IjLj3EES5_S5_S5_.private_seg_size, 0
	.set _ZL33flash_attn_stream_k_fixup_generalILi128ELi4ELi4EEvPfPK15HIP_vector_typeIfLj2EEiiiiS1_IjLj3EES5_S5_S5_.uses_vcc, 1
	.set _ZL33flash_attn_stream_k_fixup_generalILi128ELi4ELi4EEvPfPK15HIP_vector_typeIfLj2EEiiiiS1_IjLj3EES5_S5_S5_.uses_flat_scratch, 0
	.set _ZL33flash_attn_stream_k_fixup_generalILi128ELi4ELi4EEvPfPK15HIP_vector_typeIfLj2EEiiiiS1_IjLj3EES5_S5_S5_.has_dyn_sized_stack, 0
	.set _ZL33flash_attn_stream_k_fixup_generalILi128ELi4ELi4EEvPfPK15HIP_vector_typeIfLj2EEiiiiS1_IjLj3EES5_S5_S5_.has_recursion, 0
	.set _ZL33flash_attn_stream_k_fixup_generalILi128ELi4ELi4EEvPfPK15HIP_vector_typeIfLj2EEiiiiS1_IjLj3EES5_S5_S5_.has_indirect_call, 0
	.section	.AMDGPU.csdata,"",@progbits
; Kernel info:
; codeLenInByte = 2944
; TotalNumSgprs: 33
; NumVgprs: 17
; ScratchSize: 0
; MemoryBound: 0
; FloatMode: 240
; IeeeMode: 1
; LDSByteSize: 0 bytes/workgroup (compile time only)
; SGPRBlocks: 0
; VGPRBlocks: 2
; NumSGPRsForWavesPerEU: 33
; NumVGPRsForWavesPerEU: 17
; Occupancy: 16
; WaveLimiterHint : 0
; COMPUTE_PGM_RSRC2:SCRATCH_EN: 0
; COMPUTE_PGM_RSRC2:USER_SGPR: 6
; COMPUTE_PGM_RSRC2:TRAP_HANDLER: 0
; COMPUTE_PGM_RSRC2:TGID_X_EN: 1
; COMPUTE_PGM_RSRC2:TGID_Y_EN: 1
; COMPUTE_PGM_RSRC2:TGID_Z_EN: 1
; COMPUTE_PGM_RSRC2:TIDIG_COMP_CNT: 0
	.section	.text._ZL15flash_attn_tileILi128ELi128ELi2ELi4ELb0EEvPKcS1_S1_S1_S1_PKiPfP15HIP_vector_typeIfLj2EEffffjfiS5_IjLj3EEiiiiiiiiiiiliiliiiiil,"axG",@progbits,_ZL15flash_attn_tileILi128ELi128ELi2ELi4ELb0EEvPKcS1_S1_S1_S1_PKiPfP15HIP_vector_typeIfLj2EEffffjfiS5_IjLj3EEiiiiiiiiiiiliiliiiiil,comdat
	.globl	_ZL15flash_attn_tileILi128ELi128ELi2ELi4ELb0EEvPKcS1_S1_S1_S1_PKiPfP15HIP_vector_typeIfLj2EEffffjfiS5_IjLj3EEiiiiiiiiiiiliiliiiiil ; -- Begin function _ZL15flash_attn_tileILi128ELi128ELi2ELi4ELb0EEvPKcS1_S1_S1_S1_PKiPfP15HIP_vector_typeIfLj2EEffffjfiS5_IjLj3EEiiiiiiiiiiiliiliiiiil
	.p2align	8
	.type	_ZL15flash_attn_tileILi128ELi128ELi2ELi4ELb0EEvPKcS1_S1_S1_S1_PKiPfP15HIP_vector_typeIfLj2EEffffjfiS5_IjLj3EEiiiiiiiiiiiliiliiiiil,@function
_ZL15flash_attn_tileILi128ELi128ELi2ELi4ELb0EEvPKcS1_S1_S1_S1_PKiPfP15HIP_vector_typeIfLj2EEffffjfiS5_IjLj3EEiiiiiiiiiiiliiliiiiil: ; @_ZL15flash_attn_tileILi128ELi128ELi2ELi4ELb0EEvPKcS1_S1_S1_S1_PKiPfP15HIP_vector_typeIfLj2EEffffjfiS5_IjLj3EEiiiiiiiiiiiliiliiiiil
; %bb.0:
	s_clause 0x1
	s_load_dwordx4 s[24:27], s[4:5], 0x5c
	s_load_dwordx2 s[30:31], s[4:5], 0x80
	s_mov_b32 s28, s7
	s_mov_b64 s[34:35], 0
	s_waitcnt lgkmcnt(0)
	s_ashr_i32 s0, s27, 31
	s_lshr_b32 s0, s0, 30
	s_add_i32 s0, s27, s0
	s_ashr_i32 s0, s0, 2
	v_cvt_f32_u32_e32 v2, s0
	s_sub_i32 s2, 0, s0
	v_rcp_iflag_f32_e32 v2, v2
	v_mul_f32_e32 v2, 0x4f7ffffe, v2
	v_cvt_u32_f32_e32 v2, v2
	v_readfirstlane_b32 s1, v2
	s_mul_i32 s2, s2, s1
	s_mul_hi_u32 s2, s1, s2
	s_add_i32 s1, s1, s2
	s_mul_hi_u32 s1, s8, s1
	s_mul_i32 s2, s1, s0
	s_add_i32 s3, s1, 1
	s_sub_i32 s2, s8, s2
	s_sub_i32 s7, s2, s0
	s_cmp_ge_u32 s2, s0
	s_cselect_b32 s1, s3, s1
	s_cselect_b32 s2, s7, s2
	s_add_i32 s3, s1, 1
	s_cmp_ge_u32 s2, s0
	s_cselect_b32 s29, s3, s1
	s_abs_i32 s0, s31
	s_lshl_b32 s3, s8, 2
	v_cvt_f32_u32_e32 v2, s0
	s_sub_i32 s2, 0, s0
	s_abs_i32 s8, s27
	s_mul_i32 s7, s29, s27
	v_rcp_iflag_f32_e32 v2, v2
	s_sub_i32 s33, s3, s7
	v_mul_f32_e32 v2, 0x4f7ffffe, v2
	v_cvt_u32_f32_e32 v2, v2
	v_readfirstlane_b32 s1, v2
	s_mul_i32 s2, s2, s1
	s_mul_hi_u32 s2, s1, s2
	s_add_i32 s1, s1, s2
	s_xor_b32 s2, s27, s31
	s_mul_hi_u32 s1, s8, s1
	s_ashr_i32 s2, s2, 31
	s_mul_i32 s3, s1, s0
	s_add_i32 s7, s1, 1
	s_sub_i32 s3, s8, s3
	s_sub_i32 s8, s3, s0
	s_cmp_ge_u32 s3, s0
	s_cselect_b32 s1, s7, s1
	s_cselect_b32 s3, s8, s3
	s_add_i32 s7, s1, 1
	s_cmp_ge_u32 s3, s0
	s_clause 0x1
	s_load_dwordx16 s[8:23], s[4:5], 0x0
	s_load_dwordx2 s[36:37], s[4:5], 0xb8
	s_cselect_b32 s0, s7, s1
	s_xor_b32 s0, s0, s2
	s_sub_i32 s31, s0, s2
	s_abs_i32 s7, s31
	v_cvt_f32_u32_e32 v2, s7
	v_rcp_iflag_f32_e32 v2, v2
	s_waitcnt lgkmcnt(0)
	s_cmp_eq_u64 s[14:15], 0
	v_mul_f32_e32 v2, 0x4f7ffffe, v2
	v_cvt_u32_f32_e32 v2, v2
	v_readfirstlane_b32 s38, v2
	s_cbranch_scc1 .LBB27_2
; %bb.1:
	s_abs_i32 s2, s36
	s_abs_i32 s3, s29
	v_cvt_f32_u32_e32 v2, s2
	s_sub_i32 s1, 0, s2
	v_rcp_iflag_f32_e32 v2, v2
	v_mul_f32_e32 v2, 0x4f7ffffe, v2
	v_cvt_u32_f32_e32 v2, v2
	v_readfirstlane_b32 s0, v2
	s_mul_i32 s1, s1, s0
	s_mul_hi_u32 s1, s0, s1
	s_add_i32 s0, s0, s1
	s_mul_hi_u32 s34, s3, s0
	s_load_dwordx2 s[0:1], s[4:5], 0xc8
	s_mul_i32 s34, s34, s2
	s_sub_i32 s3, s3, s34
	s_ashr_i32 s34, s29, 31
	s_sub_i32 s35, s3, s2
	s_cmp_ge_u32 s3, s2
	s_cselect_b32 s3, s35, s3
	s_sub_i32 s35, s3, s2
	s_cmp_ge_u32 s3, s2
	s_cselect_b32 s2, s35, s3
	s_xor_b32 s2, s2, s34
	s_sub_i32 s2, s2, s34
	s_ashr_i32 s3, s2, 31
	s_waitcnt lgkmcnt(0)
	s_mul_hi_u32 s34, s0, s2
	s_mul_i32 s3, s0, s3
	s_mul_i32 s1, s1, s2
	s_add_i32 s3, s34, s3
	s_mul_i32 s0, s0, s2
	s_add_i32 s3, s3, s1
	s_add_u32 s34, s14, s0
	s_addc_u32 s35, s15, s3
.LBB27_2:
	v_lshrrev_b32_e32 v2, 1, v1
	s_load_dwordx4 s[0:3], s[4:5], 0x70
	v_lshlrev_b32_e32 v4, 1, v1
	v_lshlrev_b32_e32 v32, 3, v0
	v_lshl_add_u32 v2, s6, 1, v2
	v_or_b32_e32 v14, 1, v4
	v_and_b32_e32 v30, 2, v4
	v_or_b32_e32 v15, 0x2400, v32
	v_mul_hi_u32 v3, s24, v2
	v_and_b32_e32 v11, 3, v14
	v_add_nc_u32_e32 v3, v2, v3
	s_waitcnt lgkmcnt(0)
	s_mul_i32 s3, s29, s2
	s_mul_i32 s14, s33, s1
	v_lshrrev_b32_e32 v3, s25, v3
	s_ashr_i32 s15, s3, 31
	s_add_u32 s3, s8, s3
	s_addc_u32 s8, s9, s15
	s_ashr_i32 s9, s14, 31
	v_mul_lo_u32 v3, v3, s26
	s_add_u32 s14, s3, s14
	s_mov_b32 s2, s1
	s_addc_u32 s15, s8, s9
	s_ashr_i32 s3, s1, 31
	s_ashr_i32 s1, s0, 31
	s_lshr_b64 s[8:9], s[0:1], 2
	v_sub_nc_u32_e32 v3, v2, v3
	s_lshr_b32 s1, s1, 2
	s_lshr_b32 s0, s3, 2
	v_mul_lo_u32 v12, s0, v30
	v_mad_u64_u32 v[5:6], null, s8, v3, 0
	s_lshr_b64 s[8:9], s[2:3], 2
	s_cmp_eq_u64 s[18:19], 0
	v_mad_u64_u32 v[9:10], null, s8, v30, 0
	v_mad_u64_u32 v[6:7], null, s1, v3, v[6:7]
	;; [unrolled: 1-line block ×3, first 2 shown]
	v_or_b32_e32 v10, v10, v12
	v_lshlrev_b64 v[5:6], 2, v[5:6]
	v_mad_u64_u32 v[11:12], null, s0, v11, v[8:9]
	v_lshlrev_b32_e32 v12, 4, v0
	v_lshlrev_b64 v[9:10], 2, v[9:10]
	v_add_co_u32 v5, vcc_lo, s14, v5
	v_add_co_ci_u32_e64 v6, null, s15, v6, vcc_lo
	v_mov_b32_e32 v8, v11
	v_add_co_u32 v11, vcc_lo, v5, v12
	v_add_co_ci_u32_e64 v12, null, 0, v6, vcc_lo
	v_lshlrev_b64 v[5:6], 2, v[7:8]
	v_add_co_u32 v7, vcc_lo, v11, v9
	v_add_co_ci_u32_e64 v8, null, v12, v10, vcc_lo
	s_load_dword s0, s[4:5], 0x40
	v_add_co_u32 v10, vcc_lo, v11, v5
	v_add_co_ci_u32_e64 v11, null, v12, v6, vcc_lo
	v_lshlrev_b32_e32 v5, 9, v1
	s_clause 0x1
	global_load_dwordx4 v[6:9], v[7:8], off
	global_load_dwordx4 v[10:13], v[10:11], off
	v_add_nc_u32_e32 v16, v15, v5
	s_waitcnt vmcnt(1) lgkmcnt(0)
	v_fma_mixlo_f16 v6, s0, v6, 0
	v_fma_mixlo_f16 v7, s0, v7, 0
	s_waitcnt vmcnt(0)
	v_fma_mixlo_f16 v10, s0, v10, 0
	v_fma_mixlo_f16 v11, s0, v11, 0
	;; [unrolled: 1-line block ×4, first 2 shown]
	v_lshlrev_b32_e32 v7, 16, v7
	v_and_b32_e32 v6, 0xffff, v6
	v_fma_mixlo_f16 v12, s0, v12, 0
	v_fma_mixlo_f16 v13, s0, v13, 0
	v_lshlrev_b32_e32 v11, 16, v11
	v_and_b32_e32 v10, 0xffff, v10
	v_lshlrev_b32_e32 v9, 16, v9
	v_and_b32_e32 v8, 0xffff, v8
	v_or_b32_e32 v6, v7, v6
	v_lshlrev_b32_e32 v13, 16, v13
	v_and_b32_e32 v12, 0xffff, v12
	v_or_b32_e32 v10, v11, v10
	v_or3_b32 v7, v9, v8, 0
	v_or3_b32 v6, 0, 0, v6
	v_lshl_add_u32 v11, v14, 8, v15
	v_or3_b32 v9, v13, v12, 0
	v_or3_b32 v8, 0, 0, v10
	ds_write_b64 v16, v[6:7]
	ds_write_b64 v11, v[8:9]
	s_waitcnt lgkmcnt(0)
	s_barrier
	buffer_gl0_inv
	s_cbranch_scc1 .LBB27_4
; %bb.3:
	s_load_dword s0, s[4:5], 0xd0
	s_mov_b32 s1, 0
	s_waitcnt lgkmcnt(0)
	s_mul_i32 s0, s0, s29
	s_add_i32 s0, s0, s6
	s_lshl_b64 s[0:1], s[0:1], 2
	s_add_u32 s0, s18, s0
	s_addc_u32 s1, s19, s1
	s_load_dword s30, s[0:1], 0x0
.LBB27_4:
	v_mbcnt_lo_u32_b32 v33, -1, 0
	s_lshl_b32 s18, s28, 6
	s_waitcnt lgkmcnt(0)
	s_cmp_lt_i32 s18, s30
	s_cbranch_scc1 .LBB27_7
; %bb.5:
	v_mbcnt_lo_u32_b32 v7, -1, 0
	v_mov_b32_e32 v6, 32
	v_xor_b32_e32 v38, 16, v7
	v_xor_b32_e32 v37, 8, v7
	;; [unrolled: 1-line block ×5, first 2 shown]
	v_lshlrev_b32_e32 v31, 2, v0
	s_cbranch_execz .LBB27_8
; %bb.6:
	v_mov_b32_e32 v60, 0
	v_mov_b32_e32 v1, 0
	;; [unrolled: 1-line block ×8, first 2 shown]
	s_branch .LBB27_11
.LBB27_7:
                                        ; implicit-def: $vgpr7
                                        ; implicit-def: $vgpr6
                                        ; implicit-def: $vgpr38
                                        ; implicit-def: $vgpr37
                                        ; implicit-def: $vgpr36
                                        ; implicit-def: $vgpr35
                                        ; implicit-def: $vgpr34
	v_lshlrev_b32_e32 v31, 2, v0
.LBB27_8:
	s_clause 0x1
	s_load_dwordx4 s[0:3], s[4:5], 0x98
	s_load_dwordx2 s[8:9], s[4:5], 0x8c
	s_sub_i32 s6, 0, s7
	s_abs_i32 s25, s33
	s_mul_i32 s6, s6, s38
	s_ashr_i32 s36, s33, 31
	s_mul_hi_u32 s6, s38, s6
	s_ashr_i32 s31, s31, 31
	s_add_i32 s38, s38, s6
	s_ashr_i32 s6, s37, 1
	s_mul_hi_u32 s37, s25, s38
	s_ashr_i32 s38, s29, 31
	s_load_dwordx2 s[14:15], s[4:5], 0xa8
	s_mul_i32 s39, s37, s7
	v_lshrrev_b32_e32 v6, 3, v0
	v_and_b32_e32 v23, 28, v31
	v_lshrrev_b32_e32 v9, 4, v0
	v_and_b32_e32 v24, 60, v31
	v_lshl_add_u32 v47, v1, 8, 0x2c00
	v_lshl_add_u32 v7, v1, 2, v6
	s_waitcnt lgkmcnt(0)
	s_ashr_i32 s19, s2, 2
	s_ashr_i32 s24, s8, 2
	s_mul_hi_u32 s2, s0, s29
	s_mul_i32 s8, s0, s38
	s_mul_i32 s1, s1, s29
	s_add_i32 s2, s2, s8
	s_mul_i32 s0, s0, s29
	s_add_i32 s2, s2, s1
	s_add_u32 s0, s10, s0
	s_addc_u32 s1, s11, s2
	s_sub_i32 s8, s25, s39
	s_xor_b32 s2, s36, s31
	s_add_i32 s10, s37, 1
	s_sub_i32 s11, s8, s7
	s_cmp_ge_u32 s8, s7
	v_mul_lo_u32 v6, s24, v7
	s_cselect_b32 s10, s10, s37
	s_cselect_b32 s8, s11, s8
	s_add_i32 s11, s10, 1
	s_cmp_ge_u32 s8, s7
	s_mul_hi_u32 s8, s14, s29
	s_cselect_b32 s7, s11, s10
	s_mul_i32 s10, s15, s29
	s_xor_b32 s7, s7, s2
	v_lshlrev_b32_e32 v8, 2, v23
	s_sub_i32 s2, s7, s2
	s_mul_i32 s7, s14, s38
	s_mul_i32 s9, s2, s9
	;; [unrolled: 1-line block ×3, first 2 shown]
	s_ashr_i32 s11, s9, 31
	s_add_u32 s25, s0, s9
	s_addc_u32 s31, s1, s11
	s_add_i32 s0, s8, s7
	s_mul_i32 s1, s14, s29
	s_add_i32 s0, s0, s10
	s_add_u32 s1, s12, s1
	s_addc_u32 s0, s13, s0
	s_ashr_i32 s3, s2, 31
	s_add_u32 s13, s1, s2
	s_addc_u32 s36, s0, s3
	s_lshl_b32 s0, s24, 4
	v_add_nc_u32_e32 v4, v9, v4
	v_mad_u32_u24 v39, 0x90, v7, v8
	v_add_nc_u32_e32 v8, s0, v6
	v_lshlrev_b32_e32 v13, 2, v24
	v_ashrrev_i32_e32 v7, 31, v6
	v_mul_lo_u32 v12, s19, v4
	v_add_nc_u32_e32 v44, 0x2400, v5
	v_add_nc_u32_e32 v10, s0, v8
	v_ashrrev_i32_e32 v9, 31, v8
	v_lshl_or_b32 v46, v4, 8, v13
	v_mad_u64_u32 v[3:4], null, v3, s6, v[0:1]
	v_add_nc_u32_e32 v14, s0, v10
	s_lshl_b32 s0, s19, 3
	v_ashrrev_i32_e32 v11, 31, v10
	v_add_nc_u32_e32 v16, s0, v12
	v_ashrrev_i32_e32 v13, 31, v12
	v_ashrrev_i32_e32 v15, 31, v14
	v_lshlrev_b64 v[4:5], 2, v[6:7]
	v_lshlrev_b64 v[6:7], 2, v[8:9]
	v_add_nc_u32_e32 v18, s0, v16
	v_ashrrev_i32_e32 v17, 31, v16
	v_lshlrev_b64 v[8:9], 2, v[10:11]
	v_lshlrev_b64 v[10:11], 2, v[14:15]
	;; [unrolled: 1-line block ×3, first 2 shown]
	v_add_nc_u32_e32 v21, s0, v18
	v_ashrrev_i32_e32 v19, 31, v18
	v_lshlrev_b64 v[14:15], 2, v[16:17]
	v_mov_b32_e32 v58, 0
	v_add_nc_u32_e32 v41, 0x900, v39
	v_ashrrev_i32_e32 v22, 31, v21
	v_lshlrev_b64 v[16:17], 2, v[18:19]
	v_add_nc_u32_e32 v42, 0x1200, v39
	v_add_nc_u32_e32 v43, 0x1b00, v39
	v_mul_u32_u24_e32 v45, 0x90, v0
	v_lshlrev_b64 v[18:19], 2, v[21:22]
	v_add_nc_u32_e32 v48, 0x800, v46
	v_add_nc_u32_e32 v49, 0x1000, v46
	;; [unrolled: 1-line block ×3, first 2 shown]
	v_mov_b32_e32 v20, 0xfeffffff
	v_lshlrev_b32_e32 v51, 2, v23
	v_xor_b32_e32 v38, 16, v33
	v_xor_b32_e32 v37, 8, v33
	;; [unrolled: 1-line block ×5, first 2 shown]
	v_add_nc_u32_e32 v52, v47, v31
	v_lshlrev_b32_e32 v53, 2, v24
	v_mov_b32_e32 v54, 0x10001
	v_add_nc_u32_e32 v55, 0x800, v32
	v_add_nc_u32_e32 v56, 0x1000, v32
	;; [unrolled: 1-line block ×3, first 2 shown]
	v_mov_b32_e32 v59, 0
	v_mov_b32_e32 v61, 0
	;; [unrolled: 1-line block ×6, first 2 shown]
	s_add_u32 s14, s4, 0xd0
	s_addc_u32 s15, s5, 0
.LBB27_9:                               ; =>This Inner Loop Header: Depth=1
	s_mul_hi_i32 s7, s18, s24
	s_mul_i32 s6, s18, s24
	v_cmp_gt_i32_e64 s3, 32, v35
	v_cmp_gt_i32_e64 s0, 32, v38
	s_lshl_b64 s[6:7], s[6:7], 2
	v_cmp_gt_i32_e64 s1, 32, v37
	v_cmp_gt_i32_e64 s2, 32, v36
	s_add_u32 s6, s25, s6
	v_mov_b32_e32 v62, v21
	v_cndmask_b32_e64 v25, v33, v35, s3
	s_addc_u32 s7, s31, s7
	v_add_co_u32 v21, s3, s6, v4
	v_cndmask_b32_e64 v22, v33, v38, s0
	v_add_co_u32 v27, s0, s6, v6
	v_cndmask_b32_e64 v23, v33, v37, s1
	v_add_co_u32 v29, s1, s6, v8
	v_add_co_ci_u32_e64 v26, null, s7, v5, s3
	v_cndmask_b32_e64 v24, v33, v36, s2
	v_add_co_u32 v69, s2, s6, v10
	v_add_co_ci_u32_e64 v28, null, s7, v7, s0
	v_add_co_ci_u32_e64 v68, null, s7, v9, s1
	;; [unrolled: 1-line block ×3, first 2 shown]
	v_add_co_u32 v87, s3, v21, v51
	v_add_co_u32 v81, s0, v27, v51
	;; [unrolled: 1-line block ×3, first 2 shown]
	v_add_co_ci_u32_e64 v88, null, 0, v26, s3
	v_add_co_u32 v85, s2, v69, v51
	v_add_co_ci_u32_e64 v82, null, 0, v28, s0
	v_add_co_ci_u32_e64 v84, null, 0, v68, s1
	;; [unrolled: 1-line block ×3, first 2 shown]
	s_clause 0x3
	global_load_dwordx4 v[26:29], v[87:88], off
	global_load_dwordx4 v[68:71], v[81:82], off
	;; [unrolled: 1-line block ×4, first 2 shown]
	v_mov_b32_e32 v64, 0
	v_mov_b32_e32 v65, 0
	;; [unrolled: 1-line block ×5, first 2 shown]
	v_add_nc_u32_e32 v20, s18, v3
	v_cmp_gt_i32_e32 vcc_lo, 32, v34
	s_mul_hi_i32 s9, s18, s19
	s_mul_i32 s8, s18, s19
	s_waitcnt vmcnt(3)
	ds_write_b128 v39, v[26:29]
	s_waitcnt vmcnt(2)
	ds_write_b128 v41, v[68:71]
	;; [unrolled: 2-line block ×4, first 2 shown]
	s_waitcnt lgkmcnt(0)
	s_barrier
	buffer_gl0_inv
	ds_read_b128 v[26:29], v45
	ds_read_b128 v[68:71], v44
	ds_read_b128 v[72:75], v44 offset:256
	ds_read_b128 v[76:79], v45 offset:4608
	s_waitcnt lgkmcnt(2)
	;;#ASMSTART
	v_dot2_f32_f16 v64, v26, v68, v64
	;;#ASMEND
	;;#ASMSTART
	v_dot2_f32_f16 v64, v27, v69, v64
	;;#ASMEND
	;;#ASMSTART
	v_dot2_f32_f16 v64, v28, v70, v64
	;;#ASMEND
	;;#ASMSTART
	v_dot2_f32_f16 v64, v29, v71, v64
	;;#ASMEND
	s_waitcnt lgkmcnt(1)
	;;#ASMSTART
	v_dot2_f32_f16 v65, v26, v72, v65
	;;#ASMEND
	;;#ASMSTART
	v_dot2_f32_f16 v65, v27, v73, v65
	;;#ASMEND
	;;#ASMSTART
	v_dot2_f32_f16 v65, v28, v74, v65
	;;#ASMEND
	;;#ASMSTART
	v_dot2_f32_f16 v65, v29, v75, v65
	;;#ASMEND
	s_waitcnt lgkmcnt(0)
	;;#ASMSTART
	v_dot2_f32_f16 v66, v76, v68, v66
	;;#ASMEND
	;;#ASMSTART
	v_dot2_f32_f16 v66, v77, v69, v66
	;;#ASMEND
	;;#ASMSTART
	v_dot2_f32_f16 v66, v78, v70, v66
	;;#ASMEND
	;;#ASMSTART
	v_dot2_f32_f16 v66, v79, v71, v66
	;;#ASMEND
	;;#ASMSTART
	v_dot2_f32_f16 v67, v76, v72, v67
	;;#ASMEND
	;;#ASMSTART
	v_dot2_f32_f16 v67, v77, v73, v67
	;;#ASMEND
	;;#ASMSTART
	v_dot2_f32_f16 v67, v78, v74, v67
	;;#ASMEND
	;;#ASMSTART
	v_dot2_f32_f16 v67, v79, v75, v67
	;;#ASMEND
	ds_read_b128 v[26:29], v45 offset:16
	ds_read_b128 v[68:71], v44 offset:16
	ds_read_b128 v[72:75], v44 offset:272
	ds_read_b128 v[76:79], v45 offset:4624
	s_waitcnt lgkmcnt(2)
	;;#ASMSTART
	v_dot2_f32_f16 v64, v26, v68, v64
	;;#ASMEND
	;;#ASMSTART
	v_dot2_f32_f16 v64, v27, v69, v64
	;;#ASMEND
	;;#ASMSTART
	v_dot2_f32_f16 v64, v28, v70, v64
	;;#ASMEND
	;;#ASMSTART
	v_dot2_f32_f16 v64, v29, v71, v64
	;;#ASMEND
	s_waitcnt lgkmcnt(1)
	;;#ASMSTART
	v_dot2_f32_f16 v65, v26, v72, v65
	;;#ASMEND
	;;#ASMSTART
	v_dot2_f32_f16 v65, v27, v73, v65
	;;#ASMEND
	;;#ASMSTART
	v_dot2_f32_f16 v65, v28, v74, v65
	;;#ASMEND
	;;#ASMSTART
	v_dot2_f32_f16 v65, v29, v75, v65
	;;#ASMEND
	s_waitcnt lgkmcnt(0)
	;;#ASMSTART
	v_dot2_f32_f16 v66, v76, v68, v66
	;;#ASMEND
	;;#ASMSTART
	v_dot2_f32_f16 v66, v77, v69, v66
	;;#ASMEND
	;;#ASMSTART
	v_dot2_f32_f16 v66, v78, v70, v66
	;;#ASMEND
	;;#ASMSTART
	v_dot2_f32_f16 v66, v79, v71, v66
	;;#ASMEND
	;;#ASMSTART
	v_dot2_f32_f16 v67, v76, v72, v67
	;;#ASMEND
	;;#ASMSTART
	v_dot2_f32_f16 v67, v77, v73, v67
	;;#ASMEND
	;;#ASMSTART
	v_dot2_f32_f16 v67, v78, v74, v67
	;;#ASMEND
	;;#ASMSTART
	v_dot2_f32_f16 v67, v79, v75, v67
	;;#ASMEND
	ds_read_b128 v[26:29], v45 offset:32
	ds_read_b128 v[68:71], v44 offset:32
	;; [unrolled: 55-line block ×7, first 2 shown]
	ds_read_b128 v[73:76], v44 offset:368
	ds_read_b128 v[77:80], v45 offset:4720
	s_waitcnt lgkmcnt(2)
	;;#ASMSTART
	v_dot2_f32_f16 v64, v26, v68, v64
	;;#ASMEND
	;;#ASMSTART
	v_dot2_f32_f16 v64, v27, v69, v64
	;;#ASMEND
	;; [unrolled: 3-line block ×4, first 2 shown]
	s_waitcnt lgkmcnt(1)
	;;#ASMSTART
	v_dot2_f32_f16 v65, v26, v73, v65
	;;#ASMEND
	;;#ASMSTART
	v_dot2_f32_f16 v65, v27, v74, v65
	;;#ASMEND
	;; [unrolled: 3-line block ×4, first 2 shown]
	s_waitcnt lgkmcnt(0)
	;;#ASMSTART
	v_dot2_f32_f16 v66, v77, v68, v66
	;;#ASMEND
	v_cndmask_b32_e32 v26, v33, v34, vcc_lo
	v_ashrrev_i32_e32 v21, 31, v20
	;;#ASMSTART
	v_dot2_f32_f16 v66, v78, v69, v66
	;;#ASMEND
	;;#ASMSTART
	v_dot2_f32_f16 v66, v79, v70, v66
	;;#ASMEND
	;; [unrolled: 3-line block ×6, first 2 shown]
	v_lshlrev_b32_e32 v72, 2, v22
	v_lshlrev_b32_e32 v71, 2, v23
	;; [unrolled: 1-line block ×5, first 2 shown]
	v_lshlrev_b64 v[28:29], 1, v[20:21]
	;;#ASMSTART
	v_dot2_f32_f16 v67, v80, v76, v67
	;;#ASMEND
	s_barrier
	buffer_gl0_inv
	s_clause 0x3
	global_load_dwordx4 v[20:23], v[87:88], off offset:128
	global_load_dwordx4 v[24:27], v[81:82], off offset:128
	;; [unrolled: 1-line block ×4, first 2 shown]
	s_lshl_b64 s[0:1], s[8:9], 2
	s_waitcnt vmcnt(3)
	ds_write_b128 v39, v[20:23]
	s_waitcnt vmcnt(2)
	ds_write_b128 v41, v[24:27]
	;; [unrolled: 2-line block ×4, first 2 shown]
	s_waitcnt lgkmcnt(0)
	s_barrier
	buffer_gl0_inv
	ds_read_b128 v[20:23], v45
	ds_read_b128 v[24:27], v44 offset:128
	ds_read_b128 v[73:76], v44 offset:384
	ds_read_b128 v[77:80], v45 offset:4608
	s_waitcnt lgkmcnt(2)
	;;#ASMSTART
	v_dot2_f32_f16 v64, v20, v24, v64
	;;#ASMEND
	;;#ASMSTART
	v_dot2_f32_f16 v64, v21, v25, v64
	;;#ASMEND
	;;#ASMSTART
	v_dot2_f32_f16 v64, v22, v26, v64
	;;#ASMEND
	;;#ASMSTART
	v_dot2_f32_f16 v64, v23, v27, v64
	;;#ASMEND
	s_waitcnt lgkmcnt(1)
	;;#ASMSTART
	v_dot2_f32_f16 v65, v20, v73, v65
	;;#ASMEND
	;;#ASMSTART
	v_dot2_f32_f16 v65, v21, v74, v65
	;;#ASMEND
	;;#ASMSTART
	v_dot2_f32_f16 v65, v22, v75, v65
	;;#ASMEND
	;;#ASMSTART
	v_dot2_f32_f16 v65, v23, v76, v65
	;;#ASMEND
	s_waitcnt lgkmcnt(0)
	;;#ASMSTART
	v_dot2_f32_f16 v66, v77, v24, v66
	;;#ASMEND
	;;#ASMSTART
	v_dot2_f32_f16 v66, v78, v25, v66
	;;#ASMEND
	;;#ASMSTART
	v_dot2_f32_f16 v66, v79, v26, v66
	;;#ASMEND
	;;#ASMSTART
	v_dot2_f32_f16 v66, v80, v27, v66
	;;#ASMEND
	;;#ASMSTART
	v_dot2_f32_f16 v67, v77, v73, v67
	;;#ASMEND
	;;#ASMSTART
	v_dot2_f32_f16 v67, v78, v74, v67
	;;#ASMEND
	;;#ASMSTART
	v_dot2_f32_f16 v67, v79, v75, v67
	;;#ASMEND
	;;#ASMSTART
	v_dot2_f32_f16 v67, v80, v76, v67
	;;#ASMEND
	ds_read_b128 v[20:23], v45 offset:16
	ds_read_b128 v[24:27], v44 offset:144
	ds_read_b128 v[73:76], v44 offset:400
	ds_read_b128 v[77:80], v45 offset:4624
	s_waitcnt lgkmcnt(2)
	;;#ASMSTART
	v_dot2_f32_f16 v64, v20, v24, v64
	;;#ASMEND
	;;#ASMSTART
	v_dot2_f32_f16 v64, v21, v25, v64
	;;#ASMEND
	;;#ASMSTART
	v_dot2_f32_f16 v64, v22, v26, v64
	;;#ASMEND
	;;#ASMSTART
	v_dot2_f32_f16 v64, v23, v27, v64
	;;#ASMEND
	s_waitcnt lgkmcnt(1)
	;;#ASMSTART
	v_dot2_f32_f16 v65, v20, v73, v65
	;;#ASMEND
	;;#ASMSTART
	v_dot2_f32_f16 v65, v21, v74, v65
	;;#ASMEND
	;;#ASMSTART
	v_dot2_f32_f16 v65, v22, v75, v65
	;;#ASMEND
	;;#ASMSTART
	v_dot2_f32_f16 v65, v23, v76, v65
	;;#ASMEND
	s_waitcnt lgkmcnt(0)
	;;#ASMSTART
	v_dot2_f32_f16 v66, v77, v24, v66
	;;#ASMEND
	;;#ASMSTART
	v_dot2_f32_f16 v66, v78, v25, v66
	;;#ASMEND
	;;#ASMSTART
	v_dot2_f32_f16 v66, v79, v26, v66
	;;#ASMEND
	;;#ASMSTART
	v_dot2_f32_f16 v66, v80, v27, v66
	;;#ASMEND
	;;#ASMSTART
	v_dot2_f32_f16 v67, v77, v73, v67
	;;#ASMEND
	;;#ASMSTART
	v_dot2_f32_f16 v67, v78, v74, v67
	;;#ASMEND
	;;#ASMSTART
	v_dot2_f32_f16 v67, v79, v75, v67
	;;#ASMEND
	;;#ASMSTART
	v_dot2_f32_f16 v67, v80, v76, v67
	;;#ASMEND
	ds_read_b128 v[20:23], v45 offset:32
	;; [unrolled: 55-line block ×7, first 2 shown]
	ds_read_b128 v[24:27], v44 offset:240
	ds_read_b128 v[73:76], v44 offset:496
	;; [unrolled: 1-line block ×3, first 2 shown]
	s_add_u32 s2, s13, s0
	s_waitcnt lgkmcnt(2)
	;;#ASMSTART
	v_dot2_f32_f16 v64, v20, v24, v64
	;;#ASMEND
	s_addc_u32 s3, s36, s1
	v_add_co_u32 v89, vcc_lo, s2, v12
	;;#ASMSTART
	v_dot2_f32_f16 v64, v21, v25, v64
	;;#ASMEND
	s_or_b32 s6, s18, 32
	;;#ASMSTART
	v_dot2_f32_f16 v64, v22, v26, v64
	;;#ASMEND
	v_add_co_u32 v90, s0, s2, v14
	v_add_co_u32 v91, s1, s2, v16
	;; [unrolled: 1-line block ×3, first 2 shown]
	v_add_co_ci_u32_e64 v93, null, s3, v13, vcc_lo
	;;#ASMSTART
	v_dot2_f32_f16 v64, v23, v27, v64
	;;#ASMEND
	s_waitcnt lgkmcnt(1)
	;;#ASMSTART
	v_dot2_f32_f16 v65, v20, v73, v65
	;;#ASMEND
	s_mul_hi_i32 s7, s6, s19
	s_mul_i32 s6, s6, s19
	;;#ASMSTART
	v_dot2_f32_f16 v65, v21, v74, v65
	;;#ASMEND
	v_add_co_ci_u32_e64 v95, null, s3, v17, s1
	;;#ASMSTART
	v_dot2_f32_f16 v65, v22, v75, v65
	;;#ASMEND
	v_add_co_ci_u32_e64 v22, null, s3, v19, s2
	v_add_co_ci_u32_e64 v94, null, s3, v15, s0
	s_lshl_b64 s[2:3], s[6:7], 2
	v_add_co_u32 v20, s0, v89, v53
	v_add_co_u32 v81, vcc_lo, v92, v53
	s_add_u32 s6, s13, s2
	v_add_co_ci_u32_e64 v21, null, 0, v93, s0
	v_add_co_u32 v85, s0, v91, v53
	;;#ASMSTART
	v_dot2_f32_f16 v65, v23, v76, v65
	;;#ASMEND
	v_add_co_u32 v83, s1, v90, v53
	s_addc_u32 s7, s36, s3
	v_add_co_ci_u32_e64 v86, null, 0, v95, s0
	v_add_co_ci_u32_e64 v82, null, 0, v22, vcc_lo
	v_add_co_u32 v87, vcc_lo, s34, v28
	v_add_co_u32 v23, s0, s6, v14
	s_waitcnt lgkmcnt(0)
	;;#ASMSTART
	v_dot2_f32_f16 v66, v77, v24, v66
	;;#ASMEND
	v_add_co_u32 v24, s3, s6, v12
	v_add_co_ci_u32_e64 v84, null, 0, v94, s1
	;;#ASMSTART
	v_dot2_f32_f16 v66, v78, v25, v66
	;;#ASMEND
	v_add_co_u32 v25, s1, s6, v16
	v_add_co_ci_u32_e64 v88, null, s35, v29, vcc_lo
	v_add_co_ci_u32_e64 v89, null, s7, v15, s0
	;;#ASMSTART
	v_dot2_f32_f16 v66, v79, v26, v66
	;;#ASMEND
	;;#ASMSTART
	v_dot2_f32_f16 v66, v80, v27, v66
	;;#ASMEND
	;; [unrolled: 3-line block ×3, first 2 shown]
	v_add_co_u32 v22, s2, s6, v18
	v_add_co_ci_u32_e64 v90, null, s7, v17, s1
	;;#ASMSTART
	v_dot2_f32_f16 v67, v78, v74, v67
	;;#ASMEND
	v_add_co_u32 v28, s0, v24, v53
	v_add_co_u32 v24, s1, v23, v53
	;;#ASMSTART
	v_dot2_f32_f16 v67, v79, v75, v67
	;;#ASMEND
	;;#ASMSTART
	v_dot2_f32_f16 v67, v80, v76, v67
	;;#ASMEND
	v_add_co_ci_u32_e64 v73, null, s7, v19, s2
	v_add_co_u32 v26, s2, v25, v53
	v_add_co_ci_u32_e64 v25, null, 0, v89, s1
	s_clause 0x1
	global_load_ushort v89, v[87:88], off
	global_load_ushort v87, v[87:88], off offset:64
	v_add_co_u32 v22, vcc_lo, v22, v53
	v_add_co_ci_u32_e64 v23, null, 0, v73, vcc_lo
	s_waitcnt vmcnt(0)
	s_barrier
	buffer_gl0_inv
	s_clause 0x1
	global_load_dwordx4 v[73:76], v[20:21], off
	global_load_dwordx4 v[77:80], v[83:84], off
	v_add_co_ci_u32_e64 v27, null, s7, v13, s3
	v_add_co_ci_u32_e64 v29, null, 0, v27, s0
	;; [unrolled: 1-line block ×3, first 2 shown]
	v_cvt_f32_f16_e32 v20, v89
	v_cvt_f32_f16_e32 v21, v87
	v_add_f32_e32 v64, v64, v20
	v_add_f32_e32 v66, v66, v21
	;; [unrolled: 1-line block ×8, first 2 shown]
	v_max3_f32 v20, v63, v20, v21
	v_max3_f32 v21, v62, v83, v84
	ds_bpermute_b32 v83, v72, v20
	ds_bpermute_b32 v72, v72, v21
	s_waitcnt lgkmcnt(1)
	v_max_f32_e32 v83, v83, v83
	s_waitcnt lgkmcnt(0)
	v_max_f32_e32 v72, v72, v72
	v_max_f32_e32 v20, v20, v83
	v_max_f32_e32 v21, v21, v72
	ds_bpermute_b32 v72, v71, v20
	ds_bpermute_b32 v71, v71, v21
	s_waitcnt lgkmcnt(1)
	v_max_f32_e32 v72, v72, v72
	s_waitcnt lgkmcnt(0)
	v_max_f32_e32 v71, v71, v71
	v_max_f32_e32 v20, v20, v72
	v_max_f32_e32 v21, v21, v71
	;; [unrolled: 8-line block ×5, first 2 shown]
	v_sub_f32_e32 v64, v64, v20
	v_sub_f32_e32 v63, v63, v20
	;; [unrolled: 1-line block ×5, first 2 shown]
	v_mul_f32_e32 v68, 0x3fb8aa3b, v64
	v_mul_f32_e32 v70, 0x3fb8aa3b, v63
	;; [unrolled: 1-line block ×3, first 2 shown]
	v_sub_f32_e32 v62, v62, v21
	v_mul_f32_e32 v71, 0x3fb8aa3b, v65
	v_fma_f32 v84, 0x3fb8aa3b, v64, -v68
	v_mul_f32_e32 v72, 0x3fb8aa3b, v67
	v_cmp_ngt_f32_e64 s6, 0xc2ce8ed0, v64
	v_cmp_nlt_f32_e64 s12, 0x42b17218, v64
	v_fma_f32 v87, 0x3fb8aa3b, v66, -v69
	v_fmac_f32_e32 v84, 0x32a5705f, v64
	v_fma_f32 v64, 0x3fb8aa3b, v63, -v70
	v_mul_f32_e32 v83, 0x3fb8aa3b, v62
	v_cmp_ngt_f32_e32 vcc_lo, 0xc2ce8ed0, v66
	v_cmp_ngt_f32_e64 s0, 0xc2ce8ed0, v63
	v_cmp_nlt_f32_e64 s7, 0x42b17218, v66
	v_cmp_nlt_f32_e64 s8, 0x42b17218, v63
	v_fmac_f32_e32 v87, 0x32a5705f, v66
	v_fma_f32 v66, 0x3fb8aa3b, v65, -v71
	v_fmac_f32_e32 v64, 0x32a5705f, v63
	v_fma_f32 v63, 0x3fb8aa3b, v67, -v72
	v_cmp_ngt_f32_e64 s1, 0xc2ce8ed0, v65
	v_cmp_ngt_f32_e64 s2, 0xc2ce8ed0, v67
	v_cmp_nlt_f32_e64 s9, 0x42b17218, v65
	v_cmp_nlt_f32_e64 s10, 0x42b17218, v67
	v_fmac_f32_e32 v66, 0x32a5705f, v65
	v_fma_f32 v65, 0x3fb8aa3b, v62, -v83
	v_fmac_f32_e32 v63, 0x32a5705f, v67
	v_rndne_f32_e32 v67, v68
	v_cmp_ngt_f32_e64 s3, 0xc2ce8ed0, v62
	v_cmp_nlt_f32_e64 s11, 0x42b17218, v62
	v_fmac_f32_e32 v65, 0x32a5705f, v62
	v_rndne_f32_e32 v62, v69
	v_sub_f32_e32 v68, v68, v67
	v_rndne_f32_e32 v88, v70
	v_rndne_f32_e32 v89, v71
	;; [unrolled: 1-line block ×4, first 2 shown]
	v_add_f32_e32 v84, v68, v84
	v_sub_f32_e32 v68, v69, v62
	v_cvt_i32_f32_e32 v62, v62
	v_sub_f32_e32 v69, v83, v91
	v_cvt_i32_f32_e32 v67, v67
	v_add_f32_e32 v87, v68, v87
	v_sub_f32_e32 v68, v70, v88
	v_add_f32_e32 v65, v69, v65
	v_exp_f32_e32 v83, v87
	v_add_f32_e32 v64, v68, v64
	v_sub_f32_e32 v68, v71, v89
	v_exp_f32_e32 v65, v65
	v_cvt_i32_f32_e32 v87, v91
	v_exp_f32_e32 v64, v64
	v_add_f32_e32 v66, v68, v66
	v_sub_f32_e32 v68, v72, v90
	v_exp_f32_e32 v72, v84
	v_ldexp_f32 v62, v83, v62
	global_load_dwordx4 v[81:84], v[81:82], off
	v_exp_f32_e32 v66, v66
	v_add_f32_e32 v63, v68, v63
	global_load_dwordx4 v[68:71], v[85:86], off
	v_cvt_i32_f32_e32 v85, v89
	v_cvt_i32_f32_e32 v86, v90
	v_ldexp_f32 v65, v65, v87
	v_exp_f32_e32 v63, v63
	v_ldexp_f32 v67, v72, v67
	v_cvt_i32_f32_e32 v72, v88
	v_ldexp_f32 v66, v66, v85
	v_cndmask_b32_e64 v65, 0, v65, s3
	v_cndmask_b32_e64 v67, 0, v67, s6
	v_ldexp_f32 v64, v64, v72
	v_cndmask_b32_e32 v72, 0, v62, vcc_lo
	v_ldexp_f32 v63, v63, v86
	v_cndmask_b32_e64 v62, 0x7f800000, v67, s12
	v_cndmask_b32_e64 v85, 0, v64, s0
	;; [unrolled: 1-line block ×8, first 2 shown]
	v_cvt_f16_f32_e32 v72, v62
	v_cndmask_b32_e64 v67, 0x7f800000, v86, s10
	v_cvt_f16_f32_e32 v86, v63
	v_cvt_f16_f32_e32 v85, v64
	;; [unrolled: 1-line block ×3, first 2 shown]
	v_pack_b32_f16 v72, v72, v85
	v_cvt_f16_f32_e32 v85, v66
	v_pack_b32_f16 v86, v86, v87
	v_cvt_f16_f32_e32 v87, v65
	ds_write2_b32 v52, v72, v86 offset1:32
	s_waitcnt vmcnt(3)
	ds_write_b128 v46, v[73:76]
	s_waitcnt vmcnt(2)
	ds_write_b128 v48, v[77:80]
	;; [unrolled: 2-line block ×3, first 2 shown]
	ds_write_b128 v50, v[81:84]
	s_waitcnt lgkmcnt(0)
	s_barrier
	buffer_gl0_inv
	ds_read_b128 v[68:71], v47
	ds_read2_b64 v[72:75], v32 offset1:32
	v_mul_u32_u24_sdwa v87, v87, v54 dst_sel:DWORD dst_unused:UNUSED_PAD src0_sel:WORD_0 src1_sel:DWORD
	v_mul_u32_u24_sdwa v85, v85, v54 dst_sel:DWORD dst_unused:UNUSED_PAD src0_sel:WORD_0 src1_sel:DWORD
	ds_read_b128 v[76:79], v47 offset:16
	ds_read2_b64 v[80:83], v32 offset0:64 offset1:96
	v_pk_mul_f16 v58, v58, v87
	v_pk_mul_f16 v61, v61, v85
	s_waitcnt lgkmcnt(3)
	v_mul_u32_u24_sdwa v84, v68, v54 dst_sel:DWORD dst_unused:UNUSED_PAD src0_sel:WORD_0 src1_sel:DWORD
	v_mul_u32_u24_sdwa v68, v68, v54 dst_sel:DWORD dst_unused:UNUSED_PAD src0_sel:WORD_1 src1_sel:DWORD
	s_waitcnt lgkmcnt(2)
	v_pk_mul_f16 v86, v72, v84
	v_pk_fma_f16 v58, v73, v68, v58
	v_pk_mul_f16 v68, v72, v68
	v_pk_fma_f16 v61, v73, v84, v61
	v_mul_u32_u24_sdwa v84, v70, v54 dst_sel:DWORD dst_unused:UNUSED_PAD src0_sel:WORD_0 src1_sel:DWORD
	v_pk_fma_f16 v60, v60, v85, v86
	v_mul_u32_u24_sdwa v85, v69, v54 dst_sel:DWORD dst_unused:UNUSED_PAD src0_sel:WORD_0 src1_sel:DWORD
	v_mul_u32_u24_sdwa v69, v69, v54 dst_sel:DWORD dst_unused:UNUSED_PAD src0_sel:WORD_1 src1_sel:DWORD
	v_pk_fma_f16 v59, v59, v87, v68
	v_mul_u32_u24_sdwa v86, v71, v54 dst_sel:DWORD dst_unused:UNUSED_PAD src0_sel:WORD_0 src1_sel:DWORD
	v_mul_u32_u24_sdwa v87, v71, v54 dst_sel:DWORD dst_unused:UNUSED_PAD src0_sel:WORD_1 src1_sel:DWORD
	v_pk_fma_f16 v72, v75, v85, v61
	v_pk_fma_f16 v73, v75, v69, v58
	;; [unrolled: 1-line block ×4, first 2 shown]
	ds_read2_b64 v[58:61], v32 offset0:128 offset1:160
	v_mul_u32_u24_sdwa v85, v70, v54 dst_sel:DWORD dst_unused:UNUSED_PAD src0_sel:WORD_1 src1_sel:DWORD
	s_waitcnt lgkmcnt(1)
	v_pk_fma_f16 v72, v81, v84, v72
	v_pk_fma_f16 v75, v80, v84, v75
	v_mul_u32_u24_sdwa v84, v76, v54 dst_sel:DWORD dst_unused:UNUSED_PAD src0_sel:WORD_0 src1_sel:DWORD
	v_mul_u32_u24_sdwa v76, v76, v54 dst_sel:DWORD dst_unused:UNUSED_PAD src0_sel:WORD_1 src1_sel:DWORD
	v_pk_fma_f16 v73, v81, v85, v73
	v_pk_fma_f16 v74, v80, v85, v74
	;; [unrolled: 1-line block ×3, first 2 shown]
	ds_read_b128 v[68:71], v47 offset:32
	v_mul_u32_u24_sdwa v85, v77, v54 dst_sel:DWORD dst_unused:UNUSED_PAD src0_sel:WORD_0 src1_sel:DWORD
	v_pk_fma_f16 v81, v83, v87, v73
	v_pk_fma_f16 v83, v82, v86, v75
	v_pk_fma_f16 v82, v82, v87, v74
	ds_read2_b64 v[72:75], v32 offset0:192 offset1:224
	v_mul_u32_u24_sdwa v77, v77, v54 dst_sel:DWORD dst_unused:UNUSED_PAD src0_sel:WORD_1 src1_sel:DWORD
	v_mul_u32_u24_sdwa v86, v79, v54 dst_sel:DWORD dst_unused:UNUSED_PAD src0_sel:WORD_0 src1_sel:DWORD
	v_mul_u32_u24_sdwa v87, v79, v54 dst_sel:DWORD dst_unused:UNUSED_PAD src0_sel:WORD_1 src1_sel:DWORD
	s_waitcnt lgkmcnt(2)
	v_pk_fma_f16 v80, v59, v84, v80
	v_pk_fma_f16 v59, v59, v76, v81
	;; [unrolled: 1-line block ×4, first 2 shown]
	v_mul_u32_u24_sdwa v84, v78, v54 dst_sel:DWORD dst_unused:UNUSED_PAD src0_sel:WORD_0 src1_sel:DWORD
	v_pk_fma_f16 v80, v61, v85, v80
	v_pk_fma_f16 v82, v61, v77, v59
	;; [unrolled: 1-line block ×4, first 2 shown]
	ds_read2_b64 v[58:61], v55 offset1:32
	v_mul_u32_u24_sdwa v85, v78, v54 dst_sel:DWORD dst_unused:UNUSED_PAD src0_sel:WORD_1 src1_sel:DWORD
	ds_read_b128 v[76:79], v47 offset:48
	s_waitcnt lgkmcnt(2)
	v_pk_fma_f16 v80, v73, v84, v80
	v_pk_fma_f16 v73, v73, v85, v82
	;; [unrolled: 1-line block ×4, first 2 shown]
	v_mul_u32_u24_sdwa v84, v68, v54 dst_sel:DWORD dst_unused:UNUSED_PAD src0_sel:WORD_0 src1_sel:DWORD
	v_pk_fma_f16 v80, v75, v86, v80
	v_pk_fma_f16 v82, v75, v87, v73
	;; [unrolled: 1-line block ×4, first 2 shown]
	ds_read2_b64 v[72:75], v55 offset0:64 offset1:96
	v_mul_u32_u24_sdwa v68, v68, v54 dst_sel:DWORD dst_unused:UNUSED_PAD src0_sel:WORD_1 src1_sel:DWORD
	v_mul_u32_u24_sdwa v85, v69, v54 dst_sel:DWORD dst_unused:UNUSED_PAD src0_sel:WORD_0 src1_sel:DWORD
	v_mul_u32_u24_sdwa v69, v69, v54 dst_sel:DWORD dst_unused:UNUSED_PAD src0_sel:WORD_1 src1_sel:DWORD
	v_mul_u32_u24_sdwa v86, v71, v54 dst_sel:DWORD dst_unused:UNUSED_PAD src0_sel:WORD_0 src1_sel:DWORD
	v_mul_u32_u24_sdwa v87, v71, v54 dst_sel:DWORD dst_unused:UNUSED_PAD src0_sel:WORD_1 src1_sel:DWORD
	s_waitcnt lgkmcnt(2)
	v_pk_fma_f16 v80, v59, v84, v80
	v_pk_fma_f16 v59, v59, v68, v82
	;; [unrolled: 1-line block ×4, first 2 shown]
	v_mul_u32_u24_sdwa v84, v70, v54 dst_sel:DWORD dst_unused:UNUSED_PAD src0_sel:WORD_0 src1_sel:DWORD
	v_pk_fma_f16 v80, v61, v85, v80
	v_pk_fma_f16 v82, v61, v69, v59
	;; [unrolled: 1-line block ×4, first 2 shown]
	ds_read2_b64 v[58:61], v55 offset0:128 offset1:160
	v_mul_u32_u24_sdwa v85, v70, v54 dst_sel:DWORD dst_unused:UNUSED_PAD src0_sel:WORD_1 src1_sel:DWORD
	ds_read2_b64 v[68:71], v55 offset0:192 offset1:224
	s_waitcnt lgkmcnt(2)
	v_pk_fma_f16 v80, v73, v84, v80
	v_pk_fma_f16 v73, v73, v85, v82
	;; [unrolled: 1-line block ×4, first 2 shown]
	v_mul_u32_u24_sdwa v84, v76, v54 dst_sel:DWORD dst_unused:UNUSED_PAD src0_sel:WORD_0 src1_sel:DWORD
	v_pk_fma_f16 v80, v75, v86, v80
	v_pk_fma_f16 v82, v75, v87, v73
	;; [unrolled: 1-line block ×4, first 2 shown]
	v_mul_u32_u24_sdwa v76, v76, v54 dst_sel:DWORD dst_unused:UNUSED_PAD src0_sel:WORD_1 src1_sel:DWORD
	ds_read_b128 v[72:75], v47 offset:64
	v_mul_u32_u24_sdwa v85, v77, v54 dst_sel:DWORD dst_unused:UNUSED_PAD src0_sel:WORD_0 src1_sel:DWORD
	v_mul_u32_u24_sdwa v77, v77, v54 dst_sel:DWORD dst_unused:UNUSED_PAD src0_sel:WORD_1 src1_sel:DWORD
	v_mul_u32_u24_sdwa v86, v79, v54 dst_sel:DWORD dst_unused:UNUSED_PAD src0_sel:WORD_0 src1_sel:DWORD
	v_mul_u32_u24_sdwa v87, v79, v54 dst_sel:DWORD dst_unused:UNUSED_PAD src0_sel:WORD_1 src1_sel:DWORD
	s_waitcnt lgkmcnt(2)
	v_pk_fma_f16 v80, v59, v84, v80
	v_pk_fma_f16 v59, v59, v76, v82
	;; [unrolled: 1-line block ×4, first 2 shown]
	v_mul_u32_u24_sdwa v84, v78, v54 dst_sel:DWORD dst_unused:UNUSED_PAD src0_sel:WORD_0 src1_sel:DWORD
	v_pk_fma_f16 v80, v61, v85, v80
	v_pk_fma_f16 v82, v61, v77, v59
	;; [unrolled: 1-line block ×4, first 2 shown]
	ds_read2_b64 v[58:61], v56 offset1:32
	v_mul_u32_u24_sdwa v85, v78, v54 dst_sel:DWORD dst_unused:UNUSED_PAD src0_sel:WORD_1 src1_sel:DWORD
	s_waitcnt lgkmcnt(2)
	v_pk_fma_f16 v80, v69, v84, v80
	v_pk_fma_f16 v81, v68, v84, v81
	ds_read2_b64 v[76:79], v56 offset0:64 offset1:96
	v_pk_fma_f16 v69, v69, v85, v82
	v_pk_fma_f16 v68, v68, v85, v83
	;; [unrolled: 1-line block ×6, first 2 shown]
	ds_read_b128 v[68:71], v47 offset:80
	s_waitcnt lgkmcnt(3)
	v_mul_u32_u24_sdwa v84, v72, v54 dst_sel:DWORD dst_unused:UNUSED_PAD src0_sel:WORD_0 src1_sel:DWORD
	v_mul_u32_u24_sdwa v72, v72, v54 dst_sel:DWORD dst_unused:UNUSED_PAD src0_sel:WORD_1 src1_sel:DWORD
	v_mul_u32_u24_sdwa v85, v73, v54 dst_sel:DWORD dst_unused:UNUSED_PAD src0_sel:WORD_0 src1_sel:DWORD
	v_mul_u32_u24_sdwa v73, v73, v54 dst_sel:DWORD dst_unused:UNUSED_PAD src0_sel:WORD_1 src1_sel:DWORD
	;; [unrolled: 2-line block ×3, first 2 shown]
	s_waitcnt lgkmcnt(2)
	v_pk_fma_f16 v80, v59, v84, v80
	v_pk_fma_f16 v59, v59, v72, v82
	;; [unrolled: 1-line block ×4, first 2 shown]
	v_mul_u32_u24_sdwa v84, v74, v54 dst_sel:DWORD dst_unused:UNUSED_PAD src0_sel:WORD_0 src1_sel:DWORD
	v_pk_fma_f16 v80, v61, v85, v80
	v_pk_fma_f16 v82, v61, v73, v59
	;; [unrolled: 1-line block ×4, first 2 shown]
	ds_read2_b64 v[58:61], v56 offset0:128 offset1:160
	v_mul_u32_u24_sdwa v85, v74, v54 dst_sel:DWORD dst_unused:UNUSED_PAD src0_sel:WORD_1 src1_sel:DWORD
	s_waitcnt lgkmcnt(2)
	v_pk_fma_f16 v80, v77, v84, v80
	v_pk_fma_f16 v81, v76, v84, v81
	ds_read2_b64 v[72:75], v56 offset0:192 offset1:224
	s_waitcnt lgkmcnt(2)
	v_mul_u32_u24_sdwa v84, v68, v54 dst_sel:DWORD dst_unused:UNUSED_PAD src0_sel:WORD_0 src1_sel:DWORD
	v_pk_fma_f16 v77, v77, v85, v82
	v_pk_fma_f16 v76, v76, v85, v83
	;; [unrolled: 1-line block ×4, first 2 shown]
	v_mul_u32_u24_sdwa v68, v68, v54 dst_sel:DWORD dst_unused:UNUSED_PAD src0_sel:WORD_1 src1_sel:DWORD
	v_pk_fma_f16 v82, v79, v87, v77
	v_pk_fma_f16 v83, v78, v87, v76
	ds_read_b128 v[76:79], v47 offset:96
	v_mul_u32_u24_sdwa v85, v69, v54 dst_sel:DWORD dst_unused:UNUSED_PAD src0_sel:WORD_0 src1_sel:DWORD
	v_mul_u32_u24_sdwa v69, v69, v54 dst_sel:DWORD dst_unused:UNUSED_PAD src0_sel:WORD_1 src1_sel:DWORD
	v_mul_u32_u24_sdwa v86, v71, v54 dst_sel:DWORD dst_unused:UNUSED_PAD src0_sel:WORD_0 src1_sel:DWORD
	v_mul_u32_u24_sdwa v87, v71, v54 dst_sel:DWORD dst_unused:UNUSED_PAD src0_sel:WORD_1 src1_sel:DWORD
	s_waitcnt lgkmcnt(2)
	v_pk_fma_f16 v80, v59, v84, v80
	v_pk_fma_f16 v59, v59, v68, v82
	;; [unrolled: 1-line block ×4, first 2 shown]
	v_mul_u32_u24_sdwa v84, v70, v54 dst_sel:DWORD dst_unused:UNUSED_PAD src0_sel:WORD_0 src1_sel:DWORD
	v_pk_fma_f16 v80, v61, v85, v80
	v_pk_fma_f16 v82, v61, v69, v59
	;; [unrolled: 1-line block ×4, first 2 shown]
	ds_read2_b64 v[58:61], v57 offset1:32
	v_mul_u32_u24_sdwa v85, v70, v54 dst_sel:DWORD dst_unused:UNUSED_PAD src0_sel:WORD_1 src1_sel:DWORD
	s_waitcnt lgkmcnt(2)
	v_pk_fma_f16 v80, v73, v84, v80
	v_pk_fma_f16 v81, v72, v84, v81
	s_waitcnt lgkmcnt(1)
	v_mul_u32_u24_sdwa v84, v76, v54 dst_sel:DWORD dst_unused:UNUSED_PAD src0_sel:WORD_0 src1_sel:DWORD
	v_mul_u32_u24_sdwa v76, v76, v54 dst_sel:DWORD dst_unused:UNUSED_PAD src0_sel:WORD_1 src1_sel:DWORD
	v_pk_fma_f16 v73, v73, v85, v82
	v_pk_fma_f16 v72, v72, v85, v83
	;; [unrolled: 1-line block ×4, first 2 shown]
	ds_read2_b64 v[68:71], v57 offset0:64 offset1:96
	v_pk_fma_f16 v82, v75, v87, v73
	v_pk_fma_f16 v83, v74, v87, v72
	v_mul_u32_u24_sdwa v85, v77, v54 dst_sel:DWORD dst_unused:UNUSED_PAD src0_sel:WORD_0 src1_sel:DWORD
	v_mul_u32_u24_sdwa v77, v77, v54 dst_sel:DWORD dst_unused:UNUSED_PAD src0_sel:WORD_1 src1_sel:DWORD
	ds_read2_b64 v[72:75], v57 offset0:128 offset1:160
	v_mul_u32_u24_sdwa v86, v79, v54 dst_sel:DWORD dst_unused:UNUSED_PAD src0_sel:WORD_0 src1_sel:DWORD
	v_mul_u32_u24_sdwa v87, v79, v54 dst_sel:DWORD dst_unused:UNUSED_PAD src0_sel:WORD_1 src1_sel:DWORD
	s_waitcnt lgkmcnt(2)
	v_pk_fma_f16 v80, v59, v84, v80
	v_pk_fma_f16 v59, v59, v76, v82
	;; [unrolled: 1-line block ×4, first 2 shown]
	v_mul_u32_u24_sdwa v84, v78, v54 dst_sel:DWORD dst_unused:UNUSED_PAD src0_sel:WORD_0 src1_sel:DWORD
	v_pk_fma_f16 v80, v61, v85, v80
	v_pk_fma_f16 v82, v61, v77, v59
	v_pk_fma_f16 v81, v60, v85, v81
	v_pk_fma_f16 v83, v60, v77, v58
	ds_read_b128 v[58:61], v47 offset:112
	v_mul_u32_u24_sdwa v85, v78, v54 dst_sel:DWORD dst_unused:UNUSED_PAD src0_sel:WORD_1 src1_sel:DWORD
	s_waitcnt lgkmcnt(2)
	v_pk_fma_f16 v88, v69, v84, v80
	v_pk_fma_f16 v84, v68, v84, v81
	ds_read2_b64 v[76:79], v57 offset0:192 offset1:224
	s_waitcnt lgkmcnt(0)
	v_pk_fma_f16 v69, v69, v85, v82
	v_pk_fma_f16 v68, v68, v85, v83
	s_barrier
	buffer_gl0_inv
	global_load_dwordx4 v[80:83], v[28:29], off
	v_pk_fma_f16 v28, v71, v86, v88
	v_pk_fma_f16 v29, v71, v87, v69
	v_pk_fma_f16 v84, v70, v86, v84
	v_pk_fma_f16 v85, v70, v87, v68
	s_clause 0x1
	global_load_dwordx4 v[68:71], v[24:25], off
	global_load_dwordx4 v[24:27], v[26:27], off
	v_mul_u32_u24_sdwa v86, v58, v54 dst_sel:DWORD dst_unused:UNUSED_PAD src0_sel:WORD_0 src1_sel:DWORD
	v_mul_u32_u24_sdwa v58, v58, v54 dst_sel:DWORD dst_unused:UNUSED_PAD src0_sel:WORD_1 src1_sel:DWORD
	v_pk_fma_f16 v28, v73, v86, v28
	v_pk_fma_f16 v84, v72, v86, v84
	v_mul_u32_u24_sdwa v86, v59, v54 dst_sel:DWORD dst_unused:UNUSED_PAD src0_sel:WORD_0 src1_sel:DWORD
	v_pk_fma_f16 v29, v73, v58, v29
	v_pk_fma_f16 v58, v72, v58, v85
	v_mul_u32_u24_sdwa v59, v59, v54 dst_sel:DWORD dst_unused:UNUSED_PAD src0_sel:WORD_1 src1_sel:DWORD
	v_pk_fma_f16 v28, v75, v86, v28
	v_pk_fma_f16 v84, v74, v86, v84
	;; [unrolled: 1-line block ×4, first 2 shown]
	global_load_dwordx4 v[72:75], v[22:23], off
	v_mul_u32_u24_sdwa v22, v60, v54 dst_sel:DWORD dst_unused:UNUSED_PAD src0_sel:WORD_0 src1_sel:DWORD
	v_mul_u32_u24_sdwa v23, v60, v54 dst_sel:DWORD dst_unused:UNUSED_PAD src0_sel:WORD_1 src1_sel:DWORD
	v_mul_u32_u24_sdwa v59, v61, v54 dst_sel:DWORD dst_unused:UNUSED_PAD src0_sel:WORD_0 src1_sel:DWORD
	v_mul_u32_u24_sdwa v60, v61, v54 dst_sel:DWORD dst_unused:UNUSED_PAD src0_sel:WORD_1 src1_sel:DWORD
	s_waitcnt vmcnt(3)
	ds_write_b128 v46, v[80:83]
	s_waitcnt vmcnt(2)
	ds_write_b128 v48, v[68:71]
	;; [unrolled: 2-line block ×4, first 2 shown]
	v_pk_fma_f16 v28, v77, v22, v28
	v_pk_fma_f16 v29, v77, v23, v29
	;; [unrolled: 1-line block ×4, first 2 shown]
	s_waitcnt lgkmcnt(0)
	v_pk_fma_f16 v84, v79, v59, v28
	v_pk_fma_f16 v85, v79, v60, v29
	;; [unrolled: 1-line block ×4, first 2 shown]
	s_barrier
	buffer_gl0_inv
	ds_read_b128 v[22:25], v47 offset:128
	ds_read2_b64 v[26:29], v32 offset1:32
	ds_read_b128 v[58:61], v47 offset:144
	ds_read_b128 v[68:71], v47 offset:160
	;; [unrolled: 1-line block ×3, first 2 shown]
	ds_read2_b64 v[76:79], v32 offset0:64 offset1:96
	s_waitcnt lgkmcnt(5)
	v_mul_u32_u24_sdwa v80, v22, v54 dst_sel:DWORD dst_unused:UNUSED_PAD src0_sel:WORD_0 src1_sel:DWORD
	v_mul_u32_u24_sdwa v22, v22, v54 dst_sel:DWORD dst_unused:UNUSED_PAD src0_sel:WORD_1 src1_sel:DWORD
	v_mul_u32_u24_sdwa v81, v23, v54 dst_sel:DWORD dst_unused:UNUSED_PAD src0_sel:WORD_0 src1_sel:DWORD
	v_mul_u32_u24_sdwa v23, v23, v54 dst_sel:DWORD dst_unused:UNUSED_PAD src0_sel:WORD_1 src1_sel:DWORD
	s_waitcnt lgkmcnt(4)
	v_pk_fma_f16 v82, v26, v80, v86
	v_pk_fma_f16 v80, v27, v80, v84
	;; [unrolled: 1-line block ×4, first 2 shown]
	v_mul_u32_u24_sdwa v84, v24, v54 dst_sel:DWORD dst_unused:UNUSED_PAD src0_sel:WORD_0 src1_sel:DWORD
	v_pk_fma_f16 v82, v28, v81, v82
	v_pk_fma_f16 v80, v29, v81, v80
	v_pk_fma_f16 v81, v28, v23, v26
	v_pk_fma_f16 v83, v29, v23, v22
	ds_read2_b64 v[26:29], v32 offset0:128 offset1:160
	v_mul_u32_u24_sdwa v85, v24, v54 dst_sel:DWORD dst_unused:UNUSED_PAD src0_sel:WORD_1 src1_sel:DWORD
	v_mul_u32_u24_sdwa v86, v25, v54 dst_sel:DWORD dst_unused:UNUSED_PAD src0_sel:WORD_0 src1_sel:DWORD
	v_mul_u32_u24_sdwa v87, v25, v54 dst_sel:DWORD dst_unused:UNUSED_PAD src0_sel:WORD_1 src1_sel:DWORD
	ds_read2_b64 v[22:25], v32 offset0:192 offset1:224
	s_waitcnt lgkmcnt(2)
	v_pk_fma_f16 v82, v76, v84, v82
	v_pk_fma_f16 v80, v77, v84, v80
	;; [unrolled: 1-line block ×4, first 2 shown]
	v_mul_u32_u24_sdwa v84, v58, v54 dst_sel:DWORD dst_unused:UNUSED_PAD src0_sel:WORD_0 src1_sel:DWORD
	v_mul_u32_u24_sdwa v81, v58, v54 dst_sel:DWORD dst_unused:UNUSED_PAD src0_sel:WORD_1 src1_sel:DWORD
	v_pk_fma_f16 v82, v78, v86, v82
	v_pk_fma_f16 v80, v79, v86, v80
	;; [unrolled: 1-line block ×4, first 2 shown]
	v_mul_u32_u24_sdwa v83, v59, v54 dst_sel:DWORD dst_unused:UNUSED_PAD src0_sel:WORD_0 src1_sel:DWORD
	v_mul_u32_u24_sdwa v78, v59, v54 dst_sel:DWORD dst_unused:UNUSED_PAD src0_sel:WORD_1 src1_sel:DWORD
	v_mul_u32_u24_sdwa v79, v60, v54 dst_sel:DWORD dst_unused:UNUSED_PAD src0_sel:WORD_0 src1_sel:DWORD
	v_mul_u32_u24_sdwa v85, v60, v54 dst_sel:DWORD dst_unused:UNUSED_PAD src0_sel:WORD_1 src1_sel:DWORD
	;; [unrolled: 2-line block ×3, first 2 shown]
	ds_read2_b64 v[58:61], v55 offset1:32
	s_waitcnt lgkmcnt(2)
	v_pk_fma_f16 v82, v26, v84, v82
	v_pk_fma_f16 v80, v27, v84, v80
	;; [unrolled: 1-line block ×4, first 2 shown]
	v_mul_u32_u24_sdwa v84, v68, v54 dst_sel:DWORD dst_unused:UNUSED_PAD src0_sel:WORD_0 src1_sel:DWORD
	v_pk_fma_f16 v76, v28, v83, v82
	v_pk_fma_f16 v77, v29, v83, v80
	;; [unrolled: 1-line block ×4, first 2 shown]
	ds_read_b128 v[26:29], v47 offset:192
	s_waitcnt lgkmcnt(2)
	v_pk_fma_f16 v76, v22, v79, v76
	v_pk_fma_f16 v77, v23, v79, v77
	;; [unrolled: 1-line block ×4, first 2 shown]
	v_mul_u32_u24_sdwa v68, v68, v54 dst_sel:DWORD dst_unused:UNUSED_PAD src0_sel:WORD_1 src1_sel:DWORD
	v_pk_fma_f16 v76, v24, v86, v76
	v_pk_fma_f16 v77, v25, v86, v77
	v_pk_fma_f16 v81, v24, v87, v22
	v_pk_fma_f16 v85, v25, v87, v23
	v_mul_u32_u24_sdwa v80, v69, v54 dst_sel:DWORD dst_unused:UNUSED_PAD src0_sel:WORD_0 src1_sel:DWORD
	v_mul_u32_u24_sdwa v69, v69, v54 dst_sel:DWORD dst_unused:UNUSED_PAD src0_sel:WORD_1 src1_sel:DWORD
	ds_read2_b64 v[22:25], v55 offset0:64 offset1:96
	s_waitcnt lgkmcnt(2)
	v_pk_fma_f16 v76, v58, v84, v76
	v_pk_fma_f16 v77, v59, v84, v77
	;; [unrolled: 1-line block ×4, first 2 shown]
	v_mul_u32_u24_sdwa v82, v70, v54 dst_sel:DWORD dst_unused:UNUSED_PAD src0_sel:WORD_0 src1_sel:DWORD
	v_pk_fma_f16 v76, v60, v80, v76
	v_pk_fma_f16 v77, v61, v80, v77
	s_waitcnt lgkmcnt(1)
	v_mul_u32_u24_sdwa v84, v26, v54 dst_sel:DWORD dst_unused:UNUSED_PAD src0_sel:WORD_0 src1_sel:DWORD
	v_mul_u32_u24_sdwa v68, v26, v54 dst_sel:DWORD dst_unused:UNUSED_PAD src0_sel:WORD_1 src1_sel:DWORD
	v_mul_u32_u24_sdwa v80, v27, v54 dst_sel:DWORD dst_unused:UNUSED_PAD src0_sel:WORD_0 src1_sel:DWORD
	v_pk_fma_f16 v58, v60, v69, v58
	v_pk_fma_f16 v59, v61, v69, v59
	v_mul_u32_u24_sdwa v69, v27, v54 dst_sel:DWORD dst_unused:UNUSED_PAD src0_sel:WORD_1 src1_sel:DWORD
	v_mul_u32_u24_sdwa v81, v28, v54 dst_sel:DWORD dst_unused:UNUSED_PAD src0_sel:WORD_0 src1_sel:DWORD
	v_mul_u32_u24_sdwa v85, v28, v54 dst_sel:DWORD dst_unused:UNUSED_PAD src0_sel:WORD_1 src1_sel:DWORD
	v_mul_u32_u24_sdwa v88, v29, v54 dst_sel:DWORD dst_unused:UNUSED_PAD src0_sel:WORD_0 src1_sel:DWORD
	v_mul_u32_u24_sdwa v89, v29, v54 dst_sel:DWORD dst_unused:UNUSED_PAD src0_sel:WORD_1 src1_sel:DWORD
	ds_read_b128 v[26:29], v47 offset:208
	v_mul_u32_u24_sdwa v70, v70, v54 dst_sel:DWORD dst_unused:UNUSED_PAD src0_sel:WORD_1 src1_sel:DWORD
	v_mul_u32_u24_sdwa v83, v71, v54 dst_sel:DWORD dst_unused:UNUSED_PAD src0_sel:WORD_0 src1_sel:DWORD
	v_mul_u32_u24_sdwa v71, v71, v54 dst_sel:DWORD dst_unused:UNUSED_PAD src0_sel:WORD_1 src1_sel:DWORD
	s_waitcnt lgkmcnt(1)
	v_pk_fma_f16 v60, v22, v82, v76
	v_pk_fma_f16 v61, v23, v82, v77
	;; [unrolled: 1-line block ×4, first 2 shown]
	v_mul_u32_u24_sdwa v79, v72, v54 dst_sel:DWORD dst_unused:UNUSED_PAD src0_sel:WORD_0 src1_sel:DWORD
	v_mul_u32_u24_sdwa v72, v72, v54 dst_sel:DWORD dst_unused:UNUSED_PAD src0_sel:WORD_1 src1_sel:DWORD
	v_pk_fma_f16 v58, v25, v83, v61
	v_pk_fma_f16 v59, v24, v71, v22
	v_mul_u32_u24_sdwa v78, v73, v54 dst_sel:DWORD dst_unused:UNUSED_PAD src0_sel:WORD_0 src1_sel:DWORD
	v_mul_u32_u24_sdwa v73, v73, v54 dst_sel:DWORD dst_unused:UNUSED_PAD src0_sel:WORD_1 src1_sel:DWORD
	v_mul_u32_u24_sdwa v86, v74, v54 dst_sel:DWORD dst_unused:UNUSED_PAD src0_sel:WORD_0 src1_sel:DWORD
	v_mul_u32_u24_sdwa v74, v74, v54 dst_sel:DWORD dst_unused:UNUSED_PAD src0_sel:WORD_1 src1_sel:DWORD
	;; [unrolled: 2-line block ×3, first 2 shown]
	s_waitcnt lgkmcnt(0)
	v_mul_u32_u24_sdwa v76, v26, v54 dst_sel:DWORD dst_unused:UNUSED_PAD src0_sel:WORD_0 src1_sel:DWORD
	v_mul_u32_u24_sdwa v70, v26, v54 dst_sel:DWORD dst_unused:UNUSED_PAD src0_sel:WORD_1 src1_sel:DWORD
	v_pk_fma_f16 v26, v24, v83, v60
	v_pk_fma_f16 v60, v25, v71, v23
	ds_read_b128 v[22:25], v47 offset:224
	v_mul_u32_u24_sdwa v77, v27, v54 dst_sel:DWORD dst_unused:UNUSED_PAD src0_sel:WORD_0 src1_sel:DWORD
	v_mul_u32_u24_sdwa v71, v27, v54 dst_sel:DWORD dst_unused:UNUSED_PAD src0_sel:WORD_1 src1_sel:DWORD
	v_mul_u32_u24_sdwa v82, v28, v54 dst_sel:DWORD dst_unused:UNUSED_PAD src0_sel:WORD_0 src1_sel:DWORD
	v_mul_u32_u24_sdwa v83, v28, v54 dst_sel:DWORD dst_unused:UNUSED_PAD src0_sel:WORD_1 src1_sel:DWORD
	;; [unrolled: 2-line block ×3, first 2 shown]
	s_waitcnt lgkmcnt(0)
	v_mul_u32_u24_sdwa v92, v22, v54 dst_sel:DWORD dst_unused:UNUSED_PAD src0_sel:WORD_0 src1_sel:DWORD
	v_mul_u32_u24_sdwa v93, v22, v54 dst_sel:DWORD dst_unused:UNUSED_PAD src0_sel:WORD_1 src1_sel:DWORD
	v_mov_b32_e32 v22, v40
	v_add_f32_e32 v40, v62, v63
	v_mul_u32_u24_sdwa v94, v23, v54 dst_sel:DWORD dst_unused:UNUSED_PAD src0_sel:WORD_0 src1_sel:DWORD
	v_mul_u32_u24_sdwa v95, v23, v54 dst_sel:DWORD dst_unused:UNUSED_PAD src0_sel:WORD_1 src1_sel:DWORD
	v_mov_b32_e32 v23, v1
	v_mul_u32_u24_sdwa v96, v24, v54 dst_sel:DWORD dst_unused:UNUSED_PAD src0_sel:WORD_0 src1_sel:DWORD
	v_fmac_f32_e32 v40, v22, v66
	v_add_f32_e32 v22, v64, v67
	v_mul_u32_u24_sdwa v97, v24, v54 dst_sel:DWORD dst_unused:UNUSED_PAD src0_sel:WORD_1 src1_sel:DWORD
	v_mul_u32_u24_sdwa v98, v25, v54 dst_sel:DWORD dst_unused:UNUSED_PAD src0_sel:WORD_0 src1_sel:DWORD
	v_mul_u32_u24_sdwa v99, v25, v54 dst_sel:DWORD dst_unused:UNUSED_PAD src0_sel:WORD_1 src1_sel:DWORD
	v_mov_b32_e32 v1, v22
	v_fmac_f32_e32 v1, v23, v65
	ds_read2_b64 v[22:25], v55 offset0:128 offset1:160
	s_waitcnt lgkmcnt(0)
	v_pk_fma_f16 v26, v22, v79, v26
	v_pk_fma_f16 v27, v23, v79, v58
	;; [unrolled: 1-line block ×8, first 2 shown]
	ds_read2_b64 v[22:25], v55 offset0:192 offset1:224
	s_waitcnt lgkmcnt(0)
	v_pk_fma_f16 v58, v22, v86, v26
	v_pk_fma_f16 v59, v23, v86, v27
	;; [unrolled: 1-line block ×4, first 2 shown]
	ds_read2_b64 v[26:29], v56 offset1:32
	v_pk_fma_f16 v58, v24, v87, v58
	v_pk_fma_f16 v59, v25, v87, v59
	;; [unrolled: 1-line block ×4, first 2 shown]
	ds_read2_b64 v[22:25], v56 offset0:64 offset1:96
	s_waitcnt lgkmcnt(1)
	v_pk_fma_f16 v62, v26, v84, v58
	v_pk_fma_f16 v63, v27, v84, v59
	;; [unrolled: 1-line block ×4, first 2 shown]
	ds_read2_b64 v[58:61], v56 offset0:128 offset1:160
	v_pk_fma_f16 v62, v28, v80, v62
	v_pk_fma_f16 v63, v29, v80, v63
	;; [unrolled: 1-line block ×4, first 2 shown]
	ds_read2_b64 v[26:29], v56 offset0:192 offset1:224
	s_waitcnt lgkmcnt(2)
	v_pk_fma_f16 v66, v22, v81, v62
	v_pk_fma_f16 v67, v23, v81, v63
	;; [unrolled: 1-line block ×4, first 2 shown]
	ds_read_b128 v[62:65], v47 offset:240
	v_pk_fma_f16 v66, v24, v88, v66
	v_pk_fma_f16 v67, v25, v88, v67
	;; [unrolled: 1-line block ×4, first 2 shown]
	ds_read2_b64 v[22:25], v57 offset1:32
	s_waitcnt lgkmcnt(3)
	v_pk_fma_f16 v72, v58, v76, v66
	v_pk_fma_f16 v58, v58, v70, v68
	;; [unrolled: 1-line block ×4, first 2 shown]
	ds_read2_b64 v[66:69], v57 offset0:64 offset1:96
	v_pk_fma_f16 v70, v60, v77, v72
	v_pk_fma_f16 v72, v60, v71, v58
	;; [unrolled: 1-line block ×4, first 2 shown]
	ds_read2_b64 v[58:61], v57 offset0:128 offset1:160
	s_waitcnt lgkmcnt(4)
	v_pk_fma_f16 v74, v26, v82, v70
	v_pk_fma_f16 v26, v26, v83, v72
	v_pk_fma_f16 v75, v27, v82, v73
	v_pk_fma_f16 v27, v27, v83, v71
	s_waitcnt lgkmcnt(3)
	v_mul_u32_u24_sdwa v76, v62, v54 dst_sel:DWORD dst_unused:UNUSED_PAD src0_sel:WORD_0 src1_sel:DWORD
	v_pk_fma_f16 v74, v28, v90, v74
	v_pk_fma_f16 v26, v28, v91, v26
	;; [unrolled: 1-line block ×4, first 2 shown]
	v_mul_u32_u24_sdwa v28, v62, v54 dst_sel:DWORD dst_unused:UNUSED_PAD src0_sel:WORD_1 src1_sel:DWORD
	s_waitcnt lgkmcnt(2)
	v_pk_fma_f16 v62, v22, v92, v74
	v_pk_fma_f16 v22, v22, v93, v26
	v_pk_fma_f16 v26, v23, v92, v75
	v_pk_fma_f16 v23, v23, v93, v27
	ds_read2_b64 v[70:73], v57 offset0:192 offset1:224
	v_pk_fma_f16 v62, v24, v94, v62
	v_pk_fma_f16 v22, v24, v95, v22
	;; [unrolled: 1-line block ×4, first 2 shown]
	s_waitcnt lgkmcnt(0)
	v_pk_fma_f16 v26, v66, v96, v62
	v_pk_fma_f16 v22, v66, v97, v22
	;; [unrolled: 1-line block ×4, first 2 shown]
	s_barrier
	buffer_gl0_inv
	s_load_dword s0, s[14:15], 0x4
	v_pk_fma_f16 v26, v68, v98, v26
	v_pk_fma_f16 v22, v68, v99, v22
	v_pk_fma_f16 v24, v69, v98, v24
	v_pk_fma_f16 v23, v69, v99, v23
	v_mul_u32_u24_sdwa v29, v63, v54 dst_sel:DWORD dst_unused:UNUSED_PAD src0_sel:WORD_0 src1_sel:DWORD
	v_mul_u32_u24_sdwa v27, v63, v54 dst_sel:DWORD dst_unused:UNUSED_PAD src0_sel:WORD_1 src1_sel:DWORD
	v_pk_fma_f16 v26, v58, v76, v26
	v_pk_fma_f16 v22, v58, v28, v22
	v_pk_fma_f16 v24, v59, v76, v24
	v_pk_fma_f16 v23, v59, v28, v23
	v_mul_u32_u24_sdwa v25, v64, v54 dst_sel:DWORD dst_unused:UNUSED_PAD src0_sel:WORD_0 src1_sel:DWORD
	v_mul_u32_u24_sdwa v62, v64, v54 dst_sel:DWORD dst_unused:UNUSED_PAD src0_sel:WORD_1 src1_sel:DWORD
	;; [unrolled: 6-line block ×3, first 2 shown]
	v_pk_fma_f16 v26, v70, v25, v26
	v_pk_fma_f16 v22, v70, v62, v22
	;; [unrolled: 1-line block ×4, first 2 shown]
	s_waitcnt lgkmcnt(0)
	s_lshl_b32 s0, s0, 6
	v_pk_fma_f16 v60, v72, v63, v26
	v_pk_fma_f16 v59, v72, v28, v22
	;; [unrolled: 1-line block ×4, first 2 shown]
	s_add_i32 s18, s0, s18
	s_cmp_ge_i32 s18, s30
	s_cbranch_scc0 .LBB27_9
; %bb.10:
	v_mov_b32_e32 v6, 32
	v_mov_b32_e32 v7, v33
.LBB27_11:
	v_cmp_lt_i32_e32 vcc_lo, v38, v6
	s_cmp_lg_u64 s[16:17], 0
	s_cselect_b32 s0, -1, 0
	s_cmp_eq_u32 s28, 0
	v_cndmask_b32_e32 v3, v7, v38, vcc_lo
	v_cmp_lt_i32_e32 vcc_lo, v37, v6
	s_cselect_b32 s1, -1, 0
	s_and_b32 s0, s1, s0
	v_lshlrev_b32_e32 v3, 2, v3
	v_cndmask_b32_e32 v5, v7, v37, vcc_lo
	v_cmp_lt_i32_e32 vcc_lo, v36, v6
	ds_bpermute_b32 v4, v3, v40
	ds_bpermute_b32 v3, v3, v1
	v_lshlrev_b32_e32 v5, 2, v5
	v_cndmask_b32_e32 v8, v7, v36, vcc_lo
	v_cmp_lt_i32_e32 vcc_lo, v35, v6
	v_lshlrev_b32_e32 v8, 2, v8
	s_waitcnt lgkmcnt(1)
	v_add_f32_e32 v4, v40, v4
	s_waitcnt lgkmcnt(0)
	v_add_f32_e32 v1, v1, v3
	ds_bpermute_b32 v3, v5, v4
	ds_bpermute_b32 v5, v5, v1
	s_waitcnt lgkmcnt(1)
	v_add_f32_e32 v3, v4, v3
	s_waitcnt lgkmcnt(0)
	v_add_f32_e32 v1, v1, v5
	ds_bpermute_b32 v4, v8, v3
	ds_bpermute_b32 v5, v8, v1
	v_cndmask_b32_e32 v8, v7, v35, vcc_lo
	v_cmp_lt_i32_e32 vcc_lo, v34, v6
	v_lshlrev_b32_e32 v8, 2, v8
	v_cndmask_b32_e32 v6, v7, v34, vcc_lo
	s_and_b32 vcc_lo, exec_lo, s0
	v_lshlrev_b32_e32 v6, 2, v6
	s_waitcnt lgkmcnt(1)
	v_add_f32_e32 v3, v3, v4
	s_waitcnt lgkmcnt(0)
	v_add_f32_e32 v1, v1, v5
	ds_bpermute_b32 v4, v8, v3
	ds_bpermute_b32 v5, v8, v1
	s_waitcnt lgkmcnt(1)
	v_add_f32_e32 v3, v3, v4
	s_waitcnt lgkmcnt(0)
	v_add_f32_e32 v1, v1, v5
	ds_bpermute_b32 v4, v6, v3
	ds_bpermute_b32 v5, v6, v1
	s_waitcnt lgkmcnt(1)
	v_add_f32_e32 v3, v3, v4
	s_waitcnt lgkmcnt(0)
	v_add_f32_e32 v4, v1, v5
	s_cbranch_vccz .LBB27_14
; %bb.12:
	v_add_nc_u32_e32 v5, s33, v30
	v_max_f32_e32 v1, v20, v20
	v_max_f32_e32 v8, v21, v21
	v_ashrrev_i32_e32 v6, 31, v5
	v_lshlrev_b64 v[5:6], 2, v[5:6]
	v_add_co_u32 v5, vcc_lo, s16, v5
	v_add_co_ci_u32_e64 v6, null, s17, v6, vcc_lo
	global_load_dwordx2 v[5:6], v[5:6], off
	s_waitcnt vmcnt(0)
	v_max_f32_e32 v7, v5, v5
	v_max_f32_e32 v9, v6, v6
	v_max_f32_e32 v7, v1, v7
	v_max_f32_e32 v8, v8, v9
	v_sub_f32_e32 v1, v20, v7
	v_sub_f32_e32 v9, v21, v8
	;; [unrolled: 1-line block ×4, first 2 shown]
	v_mul_f32_e32 v10, 0x3fb8aa3b, v1
	v_mul_f32_e32 v12, 0x3fb8aa3b, v9
	;; [unrolled: 1-line block ×4, first 2 shown]
	v_cmp_ngt_f32_e32 vcc_lo, 0xc2ce8ed0, v1
	v_fma_f32 v14, 0x3fb8aa3b, v1, -v10
	v_rndne_f32_e32 v15, v10
	v_fma_f32 v18, 0x3fb8aa3b, v9, -v12
	v_rndne_f32_e32 v19, v12
	v_fma_f32 v16, 0x3fb8aa3b, v5, -v11
	v_fmac_f32_e32 v14, 0x32a5705f, v1
	v_sub_f32_e32 v10, v10, v15
	v_rndne_f32_e32 v17, v11
	v_fmac_f32_e32 v18, 0x32a5705f, v9
	v_sub_f32_e32 v12, v12, v19
	v_fmac_f32_e32 v16, 0x32a5705f, v5
	v_add_f32_e32 v10, v10, v14
	v_sub_f32_e32 v11, v11, v17
	v_cvt_i32_f32_e32 v14, v15
	v_add_f32_e32 v12, v12, v18
	v_fma_f32 v20, 0x3fb8aa3b, v6, -v13
	v_exp_f32_e32 v10, v10
	v_add_f32_e32 v11, v11, v16
	v_rndne_f32_e32 v21, v13
	v_exp_f32_e32 v12, v12
	v_cvt_i32_f32_e32 v16, v19
	v_fmac_f32_e32 v20, 0x32a5705f, v6
	v_exp_f32_e32 v11, v11
	v_sub_f32_e32 v13, v13, v21
	v_cvt_i32_f32_e32 v15, v17
	v_cvt_i32_f32_e32 v17, v21
	v_ldexp_f32 v10, v10, v14
	v_mov_b32_e32 v18, 0x10001
	v_add_f32_e32 v13, v13, v20
	v_ldexp_f32 v12, v12, v16
	v_mov_b32_e32 v21, v8
	v_cndmask_b32_e32 v10, 0, v10, vcc_lo
	v_cmp_ngt_f32_e32 vcc_lo, 0xc2ce8ed0, v9
	v_ldexp_f32 v11, v11, v15
	v_exp_f32_e32 v13, v13
	v_mov_b32_e32 v20, v7
	v_cndmask_b32_e32 v12, 0, v12, vcc_lo
	v_cmp_ngt_f32_e32 vcc_lo, 0xc2ce8ed0, v5
	v_cndmask_b32_e32 v11, 0, v11, vcc_lo
	v_cmp_nlt_f32_e32 vcc_lo, 0x42b17218, v1
	v_ldexp_f32 v13, v13, v17
	v_cndmask_b32_e32 v1, 0x7f800000, v10, vcc_lo
	v_cmp_nlt_f32_e32 vcc_lo, 0x42b17218, v9
	v_cndmask_b32_e32 v9, 0x7f800000, v12, vcc_lo
	v_cmp_ngt_f32_e32 vcc_lo, 0xc2ce8ed0, v6
	v_cvt_f16_f32_e32 v12, v9
	v_cndmask_b32_e32 v10, 0, v13, vcc_lo
	v_cmp_nlt_f32_e32 vcc_lo, 0x42b17218, v5
	v_mul_u32_u24_sdwa v7, v12, v18 dst_sel:DWORD dst_unused:UNUSED_PAD src0_sel:WORD_0 src1_sel:DWORD
	v_cndmask_b32_e32 v5, 0x7f800000, v11, vcc_lo
	v_cmp_nlt_f32_e32 vcc_lo, 0x42b17218, v6
	v_cvt_f16_f32_e32 v11, v1
	v_pk_mul_f16 v59, v59, v7
	v_pk_mul_f16 v58, v58, v7
	v_fmac_f32_e32 v5, v3, v1
	v_cndmask_b32_e32 v6, 0x7f800000, v10, vcc_lo
	v_mul_u32_u24_sdwa v1, v11, v18 dst_sel:DWORD dst_unused:UNUSED_PAD src0_sel:WORD_0 src1_sel:DWORD
	v_mov_b32_e32 v3, v5
	v_fmac_f32_e32 v6, v4, v9
	v_pk_mul_f16 v60, v60, v1
	v_pk_mul_f16 v61, v61, v1
	v_mov_b32_e32 v4, v6
	s_mov_b32 s0, exec_lo
	v_cmpx_gt_i32_e64 s26, v2
	s_cbranch_execnz .LBB27_15
.LBB27_13:
	s_endpgm
.LBB27_14:
	v_mov_b32_e32 v6, v4
	v_mov_b32_e32 v5, v3
	s_mov_b32 s0, exec_lo
	v_cmpx_gt_i32_e64 s26, v2
	s_cbranch_execz .LBB27_13
.LBB27_15:
	s_load_dword s1, s[4:5], 0xd4
	v_mov_b32_e32 v7, 1.0
	s_waitcnt lgkmcnt(0)
	s_cmp_lg_u32 s1, 1
	s_cselect_b32 s3, -1, 0
	s_cmp_eq_u32 s1, 1
	s_cselect_b32 s2, -1, 0
	s_and_b32 vcc_lo, exec_lo, s3
	s_cbranch_vccnz .LBB27_17
; %bb.16:
	v_div_scale_f32 v1, null, v3, v3, 1.0
	v_rcp_f32_e32 v7, v1
	v_fma_f32 v8, -v1, v7, 1.0
	v_fmac_f32_e32 v7, v8, v7
	v_div_scale_f32 v8, vcc_lo, 1.0, v3, 1.0
	v_mul_f32_e32 v9, v8, v7
	v_fma_f32 v10, -v1, v9, v8
	v_fmac_f32_e32 v9, v10, v7
	v_fma_f32 v1, -v1, v9, v8
	v_div_fmas_f32 v1, v1, v7, v9
	v_div_fixup_f32 v7, v1, v3, 1.0
.LBB27_17:
	v_mad_u64_u32 v[1:2], null, s29, s26, v[2:3]
	v_mov_b32_e32 v3, 0
	v_cmp_eq_u32_e32 vcc_lo, 0, v0
	v_cvt_f32_f16_e32 v0, v60
	v_cvt_f32_f16_sdwa v9, v60 dst_sel:DWORD dst_unused:UNUSED_PAD src0_sel:WORD_1
	v_cvt_f32_f16_e32 v10, v61
	v_cvt_f32_f16_sdwa v11, v61 dst_sel:DWORD dst_unused:UNUSED_PAD src0_sel:WORD_1
	v_mul_lo_u32 v1, v1, s27
	v_mul_f32_e32 v8, v7, v0
	v_mul_f32_e32 v9, v7, v9
	;; [unrolled: 1-line block ×4, first 2 shown]
	v_add3_u32 v1, s33, v30, v1
	v_mad_u64_u32 v[1:2], null, s1, v1, s[28:29]
	v_lshl_add_u32 v2, v1, 7, v31
	v_lshlrev_b64 v[2:3], 2, v[2:3]
	v_add_co_u32 v2, s0, s20, v2
	v_add_co_ci_u32_e64 v3, null, s21, v3, s0
	s_and_b32 s0, vcc_lo, s3
	global_store_dwordx4 v[2:3], v[8:11], off
	s_and_saveexec_b32 s3, s0
	s_cbranch_execz .LBB27_19
; %bb.18:
	v_ashrrev_i32_e32 v2, 31, v1
	v_mov_b32_e32 v7, v20
	v_mov_b32_e32 v8, v5
	v_lshlrev_b64 v[2:3], 3, v[1:2]
	v_add_co_u32 v2, vcc_lo, s22, v2
	v_add_co_ci_u32_e64 v3, null, s23, v3, vcc_lo
	global_store_dwordx2 v[2:3], v[7:8], off
.LBB27_19:
	s_or_b32 exec_lo, exec_lo, s3
	v_mov_b32_e32 v2, 1.0
	s_andn2_b32 vcc_lo, exec_lo, s2
	s_cbranch_vccnz .LBB27_21
; %bb.20:
	v_div_scale_f32 v0, null, v4, v4, 1.0
	v_rcp_f32_e32 v2, v0
	v_fma_f32 v3, -v0, v2, 1.0
	v_fmac_f32_e32 v2, v3, v2
	v_div_scale_f32 v3, vcc_lo, 1.0, v4, 1.0
	v_mul_f32_e32 v5, v3, v2
	v_fma_f32 v7, -v0, v5, v3
	v_fmac_f32_e32 v5, v7, v2
	v_fma_f32 v0, -v0, v5, v3
	v_div_fmas_f32 v0, v0, v2, v5
	v_div_fixup_f32 v2, v0, v4, 1.0
.LBB27_21:
	v_add_nc_u32_e32 v0, s1, v1
	v_mov_b32_e32 v4, 0
	v_cvt_f32_f16_e32 v1, v59
	v_cvt_f32_f16_sdwa v5, v59 dst_sel:DWORD dst_unused:UNUSED_PAD src0_sel:WORD_1
	v_cvt_f32_f16_e32 v9, v58
	v_lshl_add_u32 v3, v0, 7, v31
	v_cvt_f32_f16_sdwa v10, v58 dst_sel:DWORD dst_unused:UNUSED_PAD src0_sel:WORD_1
	v_mul_f32_e32 v7, v2, v1
	v_mul_f32_e32 v8, v2, v5
	;; [unrolled: 1-line block ×3, first 2 shown]
	v_lshlrev_b64 v[3:4], 2, v[3:4]
	v_mul_f32_e32 v10, v2, v10
	v_add_co_u32 v1, vcc_lo, s20, v3
	v_add_co_ci_u32_e64 v2, null, s21, v4, vcc_lo
	global_store_dwordx4 v[1:2], v[7:10], off
	s_and_b32 exec_lo, exec_lo, s0
	s_cbranch_execz .LBB27_13
; %bb.22:
	v_ashrrev_i32_e32 v1, 31, v0
	v_mov_b32_e32 v5, v21
	v_lshlrev_b64 v[0:1], 3, v[0:1]
	v_add_co_u32 v0, vcc_lo, s22, v0
	v_add_co_ci_u32_e64 v1, null, s23, v1, vcc_lo
	global_store_dwordx2 v[0:1], v[5:6], off
	s_endpgm
	.section	.rodata,"a",@progbits
	.p2align	6, 0x0
	.amdhsa_kernel _ZL15flash_attn_tileILi128ELi128ELi2ELi4ELb0EEvPKcS1_S1_S1_S1_PKiPfP15HIP_vector_typeIfLj2EEffffjfiS5_IjLj3EEiiiiiiiiiiiliiliiiiil
		.amdhsa_group_segment_fixed_size 12288
		.amdhsa_private_segment_fixed_size 0
		.amdhsa_kernarg_size 464
		.amdhsa_user_sgpr_count 6
		.amdhsa_user_sgpr_private_segment_buffer 1
		.amdhsa_user_sgpr_dispatch_ptr 0
		.amdhsa_user_sgpr_queue_ptr 0
		.amdhsa_user_sgpr_kernarg_segment_ptr 1
		.amdhsa_user_sgpr_dispatch_id 0
		.amdhsa_user_sgpr_flat_scratch_init 0
		.amdhsa_user_sgpr_private_segment_size 0
		.amdhsa_wavefront_size32 1
		.amdhsa_uses_dynamic_stack 0
		.amdhsa_system_sgpr_private_segment_wavefront_offset 0
		.amdhsa_system_sgpr_workgroup_id_x 1
		.amdhsa_system_sgpr_workgroup_id_y 1
		.amdhsa_system_sgpr_workgroup_id_z 1
		.amdhsa_system_sgpr_workgroup_info 0
		.amdhsa_system_vgpr_workitem_id 1
		.amdhsa_next_free_vgpr 100
		.amdhsa_next_free_sgpr 40
		.amdhsa_reserve_vcc 1
		.amdhsa_reserve_flat_scratch 0
		.amdhsa_float_round_mode_32 0
		.amdhsa_float_round_mode_16_64 0
		.amdhsa_float_denorm_mode_32 3
		.amdhsa_float_denorm_mode_16_64 3
		.amdhsa_dx10_clamp 1
		.amdhsa_ieee_mode 1
		.amdhsa_fp16_overflow 0
		.amdhsa_workgroup_processor_mode 1
		.amdhsa_memory_ordered 1
		.amdhsa_forward_progress 1
		.amdhsa_shared_vgpr_count 0
		.amdhsa_exception_fp_ieee_invalid_op 0
		.amdhsa_exception_fp_denorm_src 0
		.amdhsa_exception_fp_ieee_div_zero 0
		.amdhsa_exception_fp_ieee_overflow 0
		.amdhsa_exception_fp_ieee_underflow 0
		.amdhsa_exception_fp_ieee_inexact 0
		.amdhsa_exception_int_div_zero 0
	.end_amdhsa_kernel
	.section	.text._ZL15flash_attn_tileILi128ELi128ELi2ELi4ELb0EEvPKcS1_S1_S1_S1_PKiPfP15HIP_vector_typeIfLj2EEffffjfiS5_IjLj3EEiiiiiiiiiiiliiliiiiil,"axG",@progbits,_ZL15flash_attn_tileILi128ELi128ELi2ELi4ELb0EEvPKcS1_S1_S1_S1_PKiPfP15HIP_vector_typeIfLj2EEffffjfiS5_IjLj3EEiiiiiiiiiiiliiliiiiil,comdat
.Lfunc_end27:
	.size	_ZL15flash_attn_tileILi128ELi128ELi2ELi4ELb0EEvPKcS1_S1_S1_S1_PKiPfP15HIP_vector_typeIfLj2EEffffjfiS5_IjLj3EEiiiiiiiiiiiliiliiiiil, .Lfunc_end27-_ZL15flash_attn_tileILi128ELi128ELi2ELi4ELb0EEvPKcS1_S1_S1_S1_PKiPfP15HIP_vector_typeIfLj2EEffffjfiS5_IjLj3EEiiiiiiiiiiiliiliiiiil
                                        ; -- End function
	.set _ZL15flash_attn_tileILi128ELi128ELi2ELi4ELb0EEvPKcS1_S1_S1_S1_PKiPfP15HIP_vector_typeIfLj2EEffffjfiS5_IjLj3EEiiiiiiiiiiiliiliiiiil.num_vgpr, 100
	.set _ZL15flash_attn_tileILi128ELi128ELi2ELi4ELb0EEvPKcS1_S1_S1_S1_PKiPfP15HIP_vector_typeIfLj2EEffffjfiS5_IjLj3EEiiiiiiiiiiiliiliiiiil.num_agpr, 0
	.set _ZL15flash_attn_tileILi128ELi128ELi2ELi4ELb0EEvPKcS1_S1_S1_S1_PKiPfP15HIP_vector_typeIfLj2EEffffjfiS5_IjLj3EEiiiiiiiiiiiliiliiiiil.numbered_sgpr, 40
	.set _ZL15flash_attn_tileILi128ELi128ELi2ELi4ELb0EEvPKcS1_S1_S1_S1_PKiPfP15HIP_vector_typeIfLj2EEffffjfiS5_IjLj3EEiiiiiiiiiiiliiliiiiil.num_named_barrier, 0
	.set _ZL15flash_attn_tileILi128ELi128ELi2ELi4ELb0EEvPKcS1_S1_S1_S1_PKiPfP15HIP_vector_typeIfLj2EEffffjfiS5_IjLj3EEiiiiiiiiiiiliiliiiiil.private_seg_size, 0
	.set _ZL15flash_attn_tileILi128ELi128ELi2ELi4ELb0EEvPKcS1_S1_S1_S1_PKiPfP15HIP_vector_typeIfLj2EEffffjfiS5_IjLj3EEiiiiiiiiiiiliiliiiiil.uses_vcc, 1
	.set _ZL15flash_attn_tileILi128ELi128ELi2ELi4ELb0EEvPKcS1_S1_S1_S1_PKiPfP15HIP_vector_typeIfLj2EEffffjfiS5_IjLj3EEiiiiiiiiiiiliiliiiiil.uses_flat_scratch, 0
	.set _ZL15flash_attn_tileILi128ELi128ELi2ELi4ELb0EEvPKcS1_S1_S1_S1_PKiPfP15HIP_vector_typeIfLj2EEffffjfiS5_IjLj3EEiiiiiiiiiiiliiliiiiil.has_dyn_sized_stack, 0
	.set _ZL15flash_attn_tileILi128ELi128ELi2ELi4ELb0EEvPKcS1_S1_S1_S1_PKiPfP15HIP_vector_typeIfLj2EEffffjfiS5_IjLj3EEiiiiiiiiiiiliiliiiiil.has_recursion, 0
	.set _ZL15flash_attn_tileILi128ELi128ELi2ELi4ELb0EEvPKcS1_S1_S1_S1_PKiPfP15HIP_vector_typeIfLj2EEffffjfiS5_IjLj3EEiiiiiiiiiiiliiliiiiil.has_indirect_call, 0
	.section	.AMDGPU.csdata,"",@progbits
; Kernel info:
; codeLenInByte = 14632
; TotalNumSgprs: 42
; NumVgprs: 100
; ScratchSize: 0
; MemoryBound: 0
; FloatMode: 240
; IeeeMode: 1
; LDSByteSize: 12288 bytes/workgroup (compile time only)
; SGPRBlocks: 0
; VGPRBlocks: 12
; NumSGPRsForWavesPerEU: 42
; NumVGPRsForWavesPerEU: 100
; Occupancy: 9
; WaveLimiterHint : 1
; COMPUTE_PGM_RSRC2:SCRATCH_EN: 0
; COMPUTE_PGM_RSRC2:USER_SGPR: 6
; COMPUTE_PGM_RSRC2:TRAP_HANDLER: 0
; COMPUTE_PGM_RSRC2:TGID_X_EN: 1
; COMPUTE_PGM_RSRC2:TGID_Y_EN: 1
; COMPUTE_PGM_RSRC2:TGID_Z_EN: 1
; COMPUTE_PGM_RSRC2:TIDIG_COMP_CNT: 1
	.section	.text._ZL33flash_attn_stream_k_fixup_uniformILi128ELi2ELi4EEvPfPK15HIP_vector_typeIfLj2EEiiiiiiS1_IjLj3EES5_S5_,"axG",@progbits,_ZL33flash_attn_stream_k_fixup_uniformILi128ELi2ELi4EEvPfPK15HIP_vector_typeIfLj2EEiiiiiiS1_IjLj3EES5_S5_,comdat
	.globl	_ZL33flash_attn_stream_k_fixup_uniformILi128ELi2ELi4EEvPfPK15HIP_vector_typeIfLj2EEiiiiiiS1_IjLj3EES5_S5_ ; -- Begin function _ZL33flash_attn_stream_k_fixup_uniformILi128ELi2ELi4EEvPfPK15HIP_vector_typeIfLj2EEiiiiiiS1_IjLj3EES5_S5_
	.p2align	8
	.type	_ZL33flash_attn_stream_k_fixup_uniformILi128ELi2ELi4EEvPfPK15HIP_vector_typeIfLj2EEiiiiiiS1_IjLj3EES5_S5_,@function
_ZL33flash_attn_stream_k_fixup_uniformILi128ELi2ELi4EEvPfPK15HIP_vector_typeIfLj2EEiiiiiiS1_IjLj3EES5_S5_: ; @_ZL33flash_attn_stream_k_fixup_uniformILi128ELi2ELi4EEvPfPK15HIP_vector_typeIfLj2EEiiiiiiS1_IjLj3EES5_S5_
; %bb.0:
	s_clause 0x2
	s_load_dwordx8 s[12:19], s[4:5], 0x1c
	s_load_dwordx4 s[20:23], s[4:5], 0x3c
	s_load_dwordx2 s[10:11], s[4:5], 0x10
	s_waitcnt lgkmcnt(0)
	s_mul_hi_u32 s0, s15, s6
	s_add_i32 s0, s6, s0
	s_lshr_b32 s0, s0, s16
	s_mul_i32 s1, s0, s17
	s_sub_i32 s2, s6, s1
	s_mul_hi_u32 s1, s2, s18
	s_add_i32 s1, s2, s1
	s_lshr_b32 s1, s1, s19
	s_mul_i32 s3, s1, s20
	s_sub_i32 s2, s2, s3
	s_mul_hi_u32 s3, s2, s21
	s_add_i32 s3, s2, s3
	s_lshr_b32 s3, s3, s22
	s_mul_i32 s9, s3, s23
	s_lshl_b32 s15, s3, 2
	s_sub_i32 s9, s2, s9
	s_lshl_b32 s2, s9, 1
	s_add_i32 s2, s2, s7
	s_cmp_lt_i32 s2, s10
	s_cselect_b32 s2, -1, 0
	s_add_i32 s3, s15, s8
	s_cmp_lt_i32 s3, s13
	s_cselect_b32 s3, -1, 0
	s_and_b32 s2, s2, s3
	s_andn2_b32 vcc_lo, exec_lo, s2
	s_cbranch_vccnz .LBB28_6
; %bb.1:
	s_mul_i32 s0, s0, s10
	s_mul_i32 s10, s1, s13
	s_add_i32 s0, s0, s7
	s_mul_i32 s0, s0, s11
	s_add_i32 s13, s0, s8
	s_load_dwordx4 s[0:3], s[4:5], 0x0
	s_add_i32 s4, s13, s10
	s_mul_i32 s5, s11, s9
	s_add_i32 s4, s4, s15
	s_lshl_b32 s5, s5, 8
	s_lshl_b32 s4, s4, 7
	;; [unrolled: 1-line block ×3, first 2 shown]
	s_add_i32 s5, s5, s4
	s_mul_i32 s4, s14, s6
	v_or_b32_e32 v1, s5, v0
	s_add_i32 s11, s4, s14
	v_ashrrev_i32_e32 v2, 31, v1
	v_lshlrev_b64 v[1:2], 2, v[1:2]
	s_waitcnt lgkmcnt(0)
	v_add_co_u32 v1, vcc_lo, s0, v1
	v_add_co_ci_u32_e64 v2, null, s1, v2, vcc_lo
	s_add_i32 s0, s10, s8
	s_lshl_b32 s1, s11, 3
	s_add_i32 s0, s0, s1
	global_load_dword v5, v[1:2], off
	s_add_i32 s0, s0, -8
	s_ashr_i32 s1, s0, 31
	s_lshl_b64 s[0:1], s[0:1], 3
	s_add_u32 s0, s2, s0
	s_addc_u32 s1, s3, s1
	s_add_i32 s5, s11, -2
	s_load_dword s13, s[0:1], 0x4
	s_cmp_lt_i32 s5, s4
	s_cbranch_scc1 .LBB28_4
; %bb.2:
	s_lshl_b32 s16, s12, 5
	s_load_dword s15, s[0:1], 0x0
	s_ashr_i32 s17, s16, 31
	s_waitcnt lgkmcnt(0)
	v_mov_b32_e32 v6, s13
	s_lshl_b64 s[0:1], s[16:17], 2
	s_add_u32 s5, s2, s0
	s_addc_u32 s9, s3, s1
	s_add_i32 s6, s6, 1
	s_lshl_b32 s0, s7, 9
	s_lshl_b32 s1, s8, 7
	s_mul_i32 s6, s14, s6
	s_add_i32 s0, s1, s0
	s_lshl_b32 s1, s6, 10
	s_add_i32 s0, s0, s1
	s_lshl_b32 s1, s6, 3
	v_or_b32_e32 v0, s0, v0
	s_lshl_b32 s0, s12, 3
	s_add_i32 s1, s8, s1
	s_add_i32 s6, s11, -1
	s_add_i32 s0, s1, s0
	v_add_nc_u32_e32 v3, 0xfffff800, v0
	v_mov_b32_e32 v0, s15
	s_add_i32 s0, s0, s10
	s_add_i32 s0, s0, -16
.LBB28_3:                               ; =>This Inner Loop Header: Depth=1
	v_ashrrev_i32_e32 v4, 31, v3
	s_ashr_i32 s1, s0, 31
	s_lshl_b64 s[10:11], s[0:1], 3
	s_add_u32 s10, s2, s10
	v_lshlrev_b64 v[7:8], 2, v[3:4]
	s_addc_u32 s11, s3, s11
	v_add_nc_u32_e32 v3, 0xfffffc00, v3
	s_add_i32 s6, s6, -1
	s_add_i32 s0, s0, -8
	s_cmp_le_i32 s6, s4
	v_add_co_u32 v7, vcc_lo, s5, v7
	v_add_co_ci_u32_e64 v8, null, s9, v8, vcc_lo
	s_load_dwordx2 s[10:11], s[10:11], 0x0
	global_load_dword v4, v[7:8], off
	v_max_f32_e32 v7, v0, v0
	s_waitcnt lgkmcnt(0)
	v_max_f32_e64 v8, s10, s10
	v_max_f32_e32 v7, v7, v8
	v_sub_f32_e32 v8, s10, v7
	v_sub_f32_e32 v0, v0, v7
	v_mul_f32_e32 v9, 0x3fb8aa3b, v8
	v_mul_f32_e32 v12, 0x3fb8aa3b, v0
	v_cmp_ngt_f32_e32 vcc_lo, 0xc2ce8ed0, v8
	v_fma_f32 v10, 0x3fb8aa3b, v8, -v9
	v_rndne_f32_e32 v11, v9
	v_fma_f32 v13, 0x3fb8aa3b, v0, -v12
	v_rndne_f32_e32 v14, v12
	v_fmac_f32_e32 v10, 0x32a5705f, v8
	v_sub_f32_e32 v9, v9, v11
	v_fmac_f32_e32 v13, 0x32a5705f, v0
	v_cvt_i32_f32_e32 v11, v11
	v_add_f32_e32 v9, v9, v10
	v_sub_f32_e32 v10, v12, v14
	v_exp_f32_e32 v9, v9
	v_add_f32_e32 v10, v10, v13
	v_exp_f32_e32 v10, v10
	v_ldexp_f32 v9, v9, v11
	v_cvt_i32_f32_e32 v11, v14
	v_cndmask_b32_e32 v9, 0, v9, vcc_lo
	v_cmp_nlt_f32_e32 vcc_lo, 0x42b17218, v8
	v_ldexp_f32 v10, v10, v11
	v_mov_b32_e32 v11, v6
	v_cndmask_b32_e32 v9, 0x7f800000, v9, vcc_lo
	v_cmp_ngt_f32_e32 vcc_lo, 0xc2ce8ed0, v0
	v_cndmask_b32_e32 v10, 0, v10, vcc_lo
	v_cmp_le_f32_e32 vcc_lo, 0xc1a00000, v8
	v_cndmask_b32_e32 v8, 0, v9, vcc_lo
	v_cmp_nlt_f32_e32 vcc_lo, 0x42b17218, v0
	s_waitcnt vmcnt(1)
	v_mov_b32_e32 v9, v5
	v_cndmask_b32_e32 v5, 0x7f800000, v10, vcc_lo
	v_mul_f32_e32 v10, s11, v8
	v_cmp_le_f32_e32 vcc_lo, 0xc1a00000, v0
	v_mov_b32_e32 v0, v7
	v_mov_b32_e32 v6, v10
	v_cndmask_b32_e32 v12, 0, v5, vcc_lo
	v_fmac_f32_e32 v6, v11, v12
	s_waitcnt vmcnt(0)
	v_mul_f32_e32 v5, v4, v8
	v_fmac_f32_e32 v5, v9, v12
	s_cbranch_scc0 .LBB28_3
	s_branch .LBB28_5
.LBB28_4:
	s_waitcnt lgkmcnt(0)
	v_mov_b32_e32 v6, s13
.LBB28_5:
	s_waitcnt vmcnt(0)
	v_div_scale_f32 v0, null, v6, v6, v5
	v_rcp_f32_e32 v3, v0
	v_fma_f32 v4, -v0, v3, 1.0
	v_fmac_f32_e32 v3, v4, v3
	v_div_scale_f32 v4, vcc_lo, v5, v6, v5
	v_mul_f32_e32 v7, v4, v3
	v_fma_f32 v8, -v0, v7, v4
	v_fmac_f32_e32 v7, v8, v3
	v_fma_f32 v0, -v0, v7, v4
	v_div_fmas_f32 v0, v0, v3, v7
	v_div_fixup_f32 v0, v0, v6, v5
	global_store_dword v[1:2], v0, off
.LBB28_6:
	s_endpgm
	.section	.rodata,"a",@progbits
	.p2align	6, 0x0
	.amdhsa_kernel _ZL33flash_attn_stream_k_fixup_uniformILi128ELi2ELi4EEvPfPK15HIP_vector_typeIfLj2EEiiiiiiS1_IjLj3EES5_S5_
		.amdhsa_group_segment_fixed_size 0
		.amdhsa_private_segment_fixed_size 0
		.amdhsa_kernarg_size 76
		.amdhsa_user_sgpr_count 6
		.amdhsa_user_sgpr_private_segment_buffer 1
		.amdhsa_user_sgpr_dispatch_ptr 0
		.amdhsa_user_sgpr_queue_ptr 0
		.amdhsa_user_sgpr_kernarg_segment_ptr 1
		.amdhsa_user_sgpr_dispatch_id 0
		.amdhsa_user_sgpr_flat_scratch_init 0
		.amdhsa_user_sgpr_private_segment_size 0
		.amdhsa_wavefront_size32 1
		.amdhsa_uses_dynamic_stack 0
		.amdhsa_system_sgpr_private_segment_wavefront_offset 0
		.amdhsa_system_sgpr_workgroup_id_x 1
		.amdhsa_system_sgpr_workgroup_id_y 1
		.amdhsa_system_sgpr_workgroup_id_z 1
		.amdhsa_system_sgpr_workgroup_info 0
		.amdhsa_system_vgpr_workitem_id 0
		.amdhsa_next_free_vgpr 15
		.amdhsa_next_free_sgpr 24
		.amdhsa_reserve_vcc 1
		.amdhsa_reserve_flat_scratch 0
		.amdhsa_float_round_mode_32 0
		.amdhsa_float_round_mode_16_64 0
		.amdhsa_float_denorm_mode_32 3
		.amdhsa_float_denorm_mode_16_64 3
		.amdhsa_dx10_clamp 1
		.amdhsa_ieee_mode 1
		.amdhsa_fp16_overflow 0
		.amdhsa_workgroup_processor_mode 1
		.amdhsa_memory_ordered 1
		.amdhsa_forward_progress 1
		.amdhsa_shared_vgpr_count 0
		.amdhsa_exception_fp_ieee_invalid_op 0
		.amdhsa_exception_fp_denorm_src 0
		.amdhsa_exception_fp_ieee_div_zero 0
		.amdhsa_exception_fp_ieee_overflow 0
		.amdhsa_exception_fp_ieee_underflow 0
		.amdhsa_exception_fp_ieee_inexact 0
		.amdhsa_exception_int_div_zero 0
	.end_amdhsa_kernel
	.section	.text._ZL33flash_attn_stream_k_fixup_uniformILi128ELi2ELi4EEvPfPK15HIP_vector_typeIfLj2EEiiiiiiS1_IjLj3EES5_S5_,"axG",@progbits,_ZL33flash_attn_stream_k_fixup_uniformILi128ELi2ELi4EEvPfPK15HIP_vector_typeIfLj2EEiiiiiiS1_IjLj3EES5_S5_,comdat
.Lfunc_end28:
	.size	_ZL33flash_attn_stream_k_fixup_uniformILi128ELi2ELi4EEvPfPK15HIP_vector_typeIfLj2EEiiiiiiS1_IjLj3EES5_S5_, .Lfunc_end28-_ZL33flash_attn_stream_k_fixup_uniformILi128ELi2ELi4EEvPfPK15HIP_vector_typeIfLj2EEiiiiiiS1_IjLj3EES5_S5_
                                        ; -- End function
	.set _ZL33flash_attn_stream_k_fixup_uniformILi128ELi2ELi4EEvPfPK15HIP_vector_typeIfLj2EEiiiiiiS1_IjLj3EES5_S5_.num_vgpr, 15
	.set _ZL33flash_attn_stream_k_fixup_uniformILi128ELi2ELi4EEvPfPK15HIP_vector_typeIfLj2EEiiiiiiS1_IjLj3EES5_S5_.num_agpr, 0
	.set _ZL33flash_attn_stream_k_fixup_uniformILi128ELi2ELi4EEvPfPK15HIP_vector_typeIfLj2EEiiiiiiS1_IjLj3EES5_S5_.numbered_sgpr, 24
	.set _ZL33flash_attn_stream_k_fixup_uniformILi128ELi2ELi4EEvPfPK15HIP_vector_typeIfLj2EEiiiiiiS1_IjLj3EES5_S5_.num_named_barrier, 0
	.set _ZL33flash_attn_stream_k_fixup_uniformILi128ELi2ELi4EEvPfPK15HIP_vector_typeIfLj2EEiiiiiiS1_IjLj3EES5_S5_.private_seg_size, 0
	.set _ZL33flash_attn_stream_k_fixup_uniformILi128ELi2ELi4EEvPfPK15HIP_vector_typeIfLj2EEiiiiiiS1_IjLj3EES5_S5_.uses_vcc, 1
	.set _ZL33flash_attn_stream_k_fixup_uniformILi128ELi2ELi4EEvPfPK15HIP_vector_typeIfLj2EEiiiiiiS1_IjLj3EES5_S5_.uses_flat_scratch, 0
	.set _ZL33flash_attn_stream_k_fixup_uniformILi128ELi2ELi4EEvPfPK15HIP_vector_typeIfLj2EEiiiiiiS1_IjLj3EES5_S5_.has_dyn_sized_stack, 0
	.set _ZL33flash_attn_stream_k_fixup_uniformILi128ELi2ELi4EEvPfPK15HIP_vector_typeIfLj2EEiiiiiiS1_IjLj3EES5_S5_.has_recursion, 0
	.set _ZL33flash_attn_stream_k_fixup_uniformILi128ELi2ELi4EEvPfPK15HIP_vector_typeIfLj2EEiiiiiiS1_IjLj3EES5_S5_.has_indirect_call, 0
	.section	.AMDGPU.csdata,"",@progbits
; Kernel info:
; codeLenInByte = 848
; TotalNumSgprs: 26
; NumVgprs: 15
; ScratchSize: 0
; MemoryBound: 0
; FloatMode: 240
; IeeeMode: 1
; LDSByteSize: 0 bytes/workgroup (compile time only)
; SGPRBlocks: 0
; VGPRBlocks: 1
; NumSGPRsForWavesPerEU: 26
; NumVGPRsForWavesPerEU: 15
; Occupancy: 16
; WaveLimiterHint : 0
; COMPUTE_PGM_RSRC2:SCRATCH_EN: 0
; COMPUTE_PGM_RSRC2:USER_SGPR: 6
; COMPUTE_PGM_RSRC2:TRAP_HANDLER: 0
; COMPUTE_PGM_RSRC2:TGID_X_EN: 1
; COMPUTE_PGM_RSRC2:TGID_Y_EN: 1
; COMPUTE_PGM_RSRC2:TGID_Z_EN: 1
; COMPUTE_PGM_RSRC2:TIDIG_COMP_CNT: 0
	.section	.text._ZL33flash_attn_stream_k_fixup_generalILi128ELi2ELi4EEvPfPK15HIP_vector_typeIfLj2EEiiiiS1_IjLj3EES5_S5_S5_,"axG",@progbits,_ZL33flash_attn_stream_k_fixup_generalILi128ELi2ELi4EEvPfPK15HIP_vector_typeIfLj2EEiiiiS1_IjLj3EES5_S5_S5_,comdat
	.globl	_ZL33flash_attn_stream_k_fixup_generalILi128ELi2ELi4EEvPfPK15HIP_vector_typeIfLj2EEiiiiS1_IjLj3EES5_S5_S5_ ; -- Begin function _ZL33flash_attn_stream_k_fixup_generalILi128ELi2ELi4EEvPfPK15HIP_vector_typeIfLj2EEiiiiS1_IjLj3EES5_S5_S5_
	.p2align	8
	.type	_ZL33flash_attn_stream_k_fixup_generalILi128ELi2ELi4EEvPfPK15HIP_vector_typeIfLj2EEiiiiS1_IjLj3EES5_S5_S5_,@function
_ZL33flash_attn_stream_k_fixup_generalILi128ELi2ELi4EEvPfPK15HIP_vector_typeIfLj2EEiiiiS1_IjLj3EES5_S5_S5_: ; @_ZL33flash_attn_stream_k_fixup_generalILi128ELi2ELi4EEvPfPK15HIP_vector_typeIfLj2EEiiiiS1_IjLj3EES5_S5_S5_
; %bb.0:
	s_clause 0x1
	s_load_dwordx4 s[0:3], s[4:5], 0x10
	s_load_dword s9, s[4:5], 0x50
	s_mov_b32 s16, 0
	s_waitcnt lgkmcnt(0)
	s_mul_hi_i32 s17, s3, s6
	s_mul_i32 s18, s3, s6
	s_cmp_lg_u64 s[16:17], 0
	s_cbranch_scc0 .LBB29_21
; %bb.1:
	s_add_u32 s10, s9, 0
	s_addc_u32 s11, 0, 0
	s_xor_b64 s[10:11], s[10:11], 0
	v_cvt_f32_u32_e32 v1, s10
	v_cvt_f32_u32_e32 v2, s11
	s_sub_u32 s14, 0, s10
	s_subb_u32 s15, 0, s11
	v_fmamk_f32 v1, v2, 0x4f800000, v1
	v_rcp_f32_e32 v1, v1
	v_mul_f32_e32 v1, 0x5f7ffffc, v1
	v_mul_f32_e32 v2, 0x2f800000, v1
	v_trunc_f32_e32 v2, v2
	v_fmamk_f32 v1, v2, 0xcf800000, v1
	v_cvt_u32_f32_e32 v2, v2
	v_cvt_u32_f32_e32 v1, v1
	v_readfirstlane_b32 s12, v2
	v_readfirstlane_b32 s13, v1
	s_mul_i32 s19, s14, s12
	s_mul_hi_u32 s21, s14, s13
	s_mul_i32 s20, s15, s13
	s_add_i32 s19, s21, s19
	s_mul_i32 s22, s14, s13
	s_add_i32 s19, s19, s20
	s_mul_hi_u32 s21, s13, s22
	s_mul_i32 s24, s13, s19
	s_mul_hi_u32 s23, s12, s22
	s_mul_i32 s20, s12, s22
	s_mul_hi_u32 s22, s13, s19
	s_add_u32 s21, s21, s24
	s_addc_u32 s22, 0, s22
	s_mul_hi_u32 s25, s12, s19
	s_add_u32 s20, s21, s20
	s_mul_i32 s19, s12, s19
	s_addc_u32 s20, s22, s23
	s_addc_u32 s21, s25, 0
	s_add_u32 s19, s20, s19
	s_addc_u32 s20, 0, s21
	s_add_u32 s13, s13, s19
	s_cselect_b32 s19, -1, 0
	s_mul_hi_u32 s21, s14, s13
	s_cmp_lg_u32 s19, 0
	s_mul_i32 s19, s14, s13
	s_addc_u32 s12, s12, s20
	s_mul_i32 s15, s15, s13
	s_mul_i32 s14, s14, s12
	s_mul_hi_u32 s20, s13, s19
	s_add_i32 s14, s21, s14
	s_mul_hi_u32 s21, s12, s19
	s_add_i32 s14, s14, s15
	s_mul_i32 s15, s12, s19
	s_mul_i32 s23, s13, s14
	s_mul_hi_u32 s22, s13, s14
	s_add_u32 s20, s20, s23
	s_addc_u32 s22, 0, s22
	s_mul_hi_u32 s19, s12, s14
	s_add_u32 s15, s20, s15
	s_mul_i32 s14, s12, s14
	s_addc_u32 s15, s22, s21
	s_addc_u32 s19, s19, 0
	s_add_u32 s14, s15, s14
	s_addc_u32 s15, 0, s19
	s_add_u32 s19, s13, s14
	s_cselect_b32 s13, -1, 0
	s_cmp_lg_u32 s13, 0
	s_addc_u32 s20, s12, s15
	s_ashr_i32 s12, s17, 31
	s_add_u32 s14, s18, s12
	s_mov_b32 s13, s12
	s_addc_u32 s15, s17, s12
	s_xor_b64 s[14:15], s[14:15], s[12:13]
	s_mul_i32 s21, s14, s20
	s_mul_hi_u32 s22, s14, s19
	s_mul_hi_u32 s17, s14, s20
	;; [unrolled: 1-line block ×3, first 2 shown]
	s_mul_i32 s19, s15, s19
	s_add_u32 s21, s22, s21
	s_addc_u32 s17, 0, s17
	s_mul_hi_u32 s23, s15, s20
	s_add_u32 s19, s21, s19
	s_mul_i32 s20, s15, s20
	s_addc_u32 s17, s17, s24
	s_addc_u32 s19, s23, 0
	s_add_u32 s17, s17, s20
	s_addc_u32 s19, 0, s19
	s_mul_hi_u32 s20, s10, s17
	s_mul_i32 s21, s10, s19
	s_mul_i32 s22, s11, s17
	s_add_i32 s20, s20, s21
	s_mul_i32 s21, s10, s17
	s_add_i32 s20, s20, s22
	s_sub_i32 s22, s15, s20
	s_sub_u32 s14, s14, s21
	s_cselect_b32 s21, -1, 0
	s_cmp_lg_u32 s21, 0
	s_subb_u32 s22, s22, s11
	s_sub_u32 s23, s14, s10
	s_cselect_b32 s24, -1, 0
	s_cmp_lg_u32 s24, 0
	s_subb_u32 s22, s22, 0
	s_cmp_ge_u32 s22, s11
	s_cselect_b32 s24, -1, 0
	s_cmp_ge_u32 s23, s10
	s_cselect_b32 s23, -1, 0
	s_cmp_eq_u32 s22, s11
	s_cselect_b32 s22, s23, s24
	s_add_u32 s23, s17, 1
	s_addc_u32 s24, s19, 0
	s_add_u32 s25, s17, 2
	s_addc_u32 s26, s19, 0
	s_cmp_lg_u32 s22, 0
	s_cselect_b32 s22, s25, s23
	s_cselect_b32 s23, s26, s24
	s_cmp_lg_u32 s21, 0
	s_subb_u32 s15, s15, s20
	s_cmp_ge_u32 s15, s11
	s_cselect_b32 s20, -1, 0
	s_cmp_ge_u32 s14, s10
	s_cselect_b32 s10, -1, 0
	s_cmp_eq_u32 s15, s11
	s_cselect_b32 s10, s10, s20
	s_cmp_lg_u32 s10, 0
	s_cselect_b32 s11, s23, s19
	s_cselect_b32 s10, s22, s17
	s_xor_b64 s[12:13], s[12:13], 0
	s_xor_b64 s[10:11], s[10:11], s[12:13]
	s_sub_u32 s10, s10, s12
	s_load_dwordx4 s[12:15], s[4:5], 0x44
	s_andn2_b32 vcc_lo, exec_lo, s16
	s_cbranch_vccnz .LBB29_3
.LBB29_2:
	v_cvt_f32_u32_e32 v1, s9
	s_sub_i32 s11, 0, s9
	v_rcp_iflag_f32_e32 v1, v1
	v_mul_f32_e32 v1, 0x4f7ffffe, v1
	v_cvt_u32_f32_e32 v1, v1
	v_readfirstlane_b32 s10, v1
	s_mul_i32 s11, s11, s10
	s_mul_hi_u32 s11, s10, s11
	s_add_i32 s10, s10, s11
	s_mul_hi_u32 s10, s18, s10
	s_mul_i32 s11, s10, s9
	s_waitcnt lgkmcnt(0)
	s_add_i32 s15, s10, 1
	s_sub_i32 s11, s18, s11
	s_sub_i32 s16, s11, s9
	s_cmp_ge_u32 s11, s9
	s_cselect_b32 s10, s15, s10
	s_cselect_b32 s11, s16, s11
	s_add_i32 s15, s10, 1
	s_cmp_ge_u32 s11, s9
	s_cselect_b32 s10, s15, s10
.LBB29_3:
	s_add_i32 s11, s6, 1
	s_mov_b32 s16, 0
	s_mul_hi_i32 s17, s3, s11
	s_mul_i32 s11, s3, s11
	s_cmp_lg_u64 s[16:17], 0
	s_cbranch_scc0 .LBB29_22
; %bb.4:
	s_add_u32 s18, s9, 0
	s_addc_u32 s19, 0, 0
	s_xor_b64 s[18:19], s[18:19], 0
	v_cvt_f32_u32_e32 v1, s18
	v_cvt_f32_u32_e32 v2, s19
	s_sub_u32 s21, 0, s18
	s_subb_u32 s22, 0, s19
	v_fmamk_f32 v1, v2, 0x4f800000, v1
	v_rcp_f32_e32 v1, v1
	v_mul_f32_e32 v1, 0x5f7ffffc, v1
	v_mul_f32_e32 v2, 0x2f800000, v1
	v_trunc_f32_e32 v2, v2
	v_fmamk_f32 v1, v2, 0xcf800000, v1
	v_cvt_u32_f32_e32 v2, v2
	v_cvt_u32_f32_e32 v1, v1
	s_waitcnt lgkmcnt(0)
	v_readfirstlane_b32 s15, v2
	v_readfirstlane_b32 s20, v1
	s_mul_i32 s23, s21, s15
	s_mul_hi_u32 s25, s21, s20
	s_mul_i32 s24, s22, s20
	s_add_i32 s23, s25, s23
	s_mul_i32 s26, s21, s20
	s_add_i32 s23, s23, s24
	s_mul_hi_u32 s25, s20, s26
	s_mul_i32 s28, s20, s23
	s_mul_hi_u32 s27, s15, s26
	s_mul_i32 s24, s15, s26
	s_mul_hi_u32 s26, s20, s23
	s_add_u32 s25, s25, s28
	s_addc_u32 s26, 0, s26
	s_mul_hi_u32 s29, s15, s23
	s_add_u32 s24, s25, s24
	s_mul_i32 s23, s15, s23
	s_addc_u32 s24, s26, s27
	s_addc_u32 s25, s29, 0
	s_add_u32 s23, s24, s23
	s_addc_u32 s24, 0, s25
	s_add_u32 s20, s20, s23
	s_cselect_b32 s23, -1, 0
	s_mul_hi_u32 s25, s21, s20
	s_cmp_lg_u32 s23, 0
	s_mul_i32 s23, s21, s20
	s_addc_u32 s15, s15, s24
	s_mul_i32 s22, s22, s20
	s_mul_i32 s21, s21, s15
	s_mul_hi_u32 s24, s20, s23
	s_add_i32 s21, s25, s21
	s_mul_hi_u32 s25, s15, s23
	s_add_i32 s21, s21, s22
	s_mul_i32 s22, s15, s23
	s_mul_i32 s27, s20, s21
	s_mul_hi_u32 s26, s20, s21
	s_add_u32 s24, s24, s27
	s_addc_u32 s26, 0, s26
	s_mul_hi_u32 s23, s15, s21
	s_add_u32 s22, s24, s22
	s_mul_i32 s21, s15, s21
	s_addc_u32 s22, s26, s25
	s_addc_u32 s23, s23, 0
	s_add_u32 s21, s22, s21
	s_addc_u32 s22, 0, s23
	s_add_u32 s24, s20, s21
	s_cselect_b32 s20, -1, 0
	s_cmp_lg_u32 s20, 0
	s_addc_u32 s15, s15, s22
	s_ashr_i32 s20, s17, 31
	s_add_u32 s22, s11, s20
	s_mov_b32 s21, s20
	s_addc_u32 s23, s17, s20
	s_xor_b64 s[22:23], s[22:23], s[20:21]
	s_mul_i32 s25, s22, s15
	s_mul_hi_u32 s26, s22, s24
	s_mul_hi_u32 s17, s22, s15
	;; [unrolled: 1-line block ×3, first 2 shown]
	s_mul_i32 s24, s23, s24
	s_add_u32 s25, s26, s25
	s_addc_u32 s17, 0, s17
	s_mul_hi_u32 s27, s23, s15
	s_add_u32 s24, s25, s24
	s_mul_i32 s15, s23, s15
	s_addc_u32 s17, s17, s28
	s_addc_u32 s24, s27, 0
	s_add_u32 s15, s17, s15
	s_addc_u32 s17, 0, s24
	s_mul_hi_u32 s24, s18, s15
	s_mul_i32 s25, s18, s17
	s_mul_i32 s26, s19, s15
	s_add_i32 s24, s24, s25
	s_mul_i32 s25, s18, s15
	s_add_i32 s24, s24, s26
	s_sub_i32 s26, s23, s24
	s_sub_u32 s22, s22, s25
	s_cselect_b32 s25, -1, 0
	s_cmp_lg_u32 s25, 0
	s_subb_u32 s26, s26, s19
	s_sub_u32 s27, s22, s18
	s_cselect_b32 s28, -1, 0
	s_cmp_lg_u32 s28, 0
	s_subb_u32 s26, s26, 0
	s_cmp_ge_u32 s26, s19
	s_cselect_b32 s28, -1, 0
	s_cmp_ge_u32 s27, s18
	s_cselect_b32 s27, -1, 0
	s_cmp_eq_u32 s26, s19
	s_cselect_b32 s26, s27, s28
	s_add_u32 s27, s15, 1
	s_addc_u32 s28, s17, 0
	s_add_u32 s29, s15, 2
	s_addc_u32 s30, s17, 0
	s_cmp_lg_u32 s26, 0
	s_cselect_b32 s26, s29, s27
	s_cselect_b32 s27, s30, s28
	s_cmp_lg_u32 s25, 0
	s_subb_u32 s23, s23, s24
	s_cmp_ge_u32 s23, s19
	s_cselect_b32 s24, -1, 0
	s_cmp_ge_u32 s22, s18
	s_cselect_b32 s18, -1, 0
	s_cmp_eq_u32 s23, s19
	s_cselect_b32 s18, s18, s24
	s_cmp_lg_u32 s18, 0
	s_cselect_b32 s19, s27, s17
	s_cselect_b32 s18, s26, s15
	s_xor_b64 s[20:21], s[20:21], 0
	s_xor_b64 s[18:19], s[18:19], s[20:21]
	s_sub_u32 s18, s18, s20
	s_andn2_b32 vcc_lo, exec_lo, s16
	s_cbranch_vccnz .LBB29_6
.LBB29_5:
	v_cvt_f32_u32_e32 v1, s9
	s_sub_i32 s16, 0, s9
	v_rcp_iflag_f32_e32 v1, v1
	v_mul_f32_e32 v1, 0x4f7ffffe, v1
	v_cvt_u32_f32_e32 v1, v1
	s_waitcnt lgkmcnt(0)
	v_readfirstlane_b32 s15, v1
	s_mul_i32 s16, s16, s15
	s_mul_hi_u32 s16, s15, s16
	s_add_i32 s15, s15, s16
	s_mul_hi_u32 s15, s11, s15
	s_mul_i32 s16, s15, s9
	s_sub_i32 s11, s11, s16
	s_add_i32 s16, s15, 1
	s_sub_i32 s17, s11, s9
	s_cmp_ge_u32 s11, s9
	s_cselect_b32 s15, s16, s15
	s_cselect_b32 s11, s17, s11
	s_add_i32 s16, s15, 1
	s_cmp_ge_u32 s11, s9
	s_cselect_b32 s18, s16, s15
.LBB29_6:
	s_cmp_eq_u32 s10, s18
	s_waitcnt lgkmcnt(0)
	s_mul_hi_u32 s11, s10, s12
	s_cselect_b32 s15, -1, 0
	s_add_i32 s11, s11, s10
	s_lshr_b32 s11, s11, s13
	s_mul_i32 s16, s11, s14
	s_cmp_eq_u32 s16, s10
	s_mul_hi_u32 s16, s18, s12
	s_cselect_b32 s17, -1, 0
	s_add_i32 s16, s16, s18
	s_lshr_b32 s16, s16, s13
	s_cmp_eq_u32 s11, s16
	s_mul_i32 s16, s16, s14
	s_cselect_b32 s19, -1, 0
	s_cmp_lg_u32 s16, s18
	s_cselect_b32 s16, -1, 0
	s_or_b32 s15, s15, s17
	s_and_b32 s16, s19, s16
	s_or_b32 s15, s15, s16
	s_and_b32 vcc_lo, exec_lo, s15
	s_cbranch_vccnz .LBB29_24
; %bb.7:
	s_clause 0x1
	s_load_dwordx8 s[20:27], s[4:5], 0x20
	s_load_dword s16, s[4:5], 0x40
	s_waitcnt lgkmcnt(0)
	s_mul_hi_u32 s15, s10, s20
	s_add_i32 s15, s15, s10
	s_lshr_b32 s15, s15, s21
	s_mul_i32 s17, s15, s22
	s_sub_i32 s17, s10, s17
	s_mul_hi_u32 s18, s17, s23
	s_add_i32 s18, s17, s18
	s_lshr_b32 s22, s18, s24
	s_mul_i32 s18, s22, s25
	s_sub_i32 s17, s17, s18
	s_mul_hi_u32 s18, s17, s26
	s_add_i32 s18, s17, s18
	s_lshr_b32 s18, s18, s27
	s_mul_i32 s16, s18, s16
	s_lshl_b32 s24, s18, 2
	s_sub_i32 s16, s17, s16
	s_mul_hi_u32 s17, s16, s12
	s_add_i32 s16, s16, s17
	s_lshr_b32 s23, s16, s13
	s_lshl_b32 s16, s23, 1
	s_add_i32 s16, s16, s7
	s_cmp_lt_i32 s16, s0
	s_cselect_b32 s16, -1, 0
	s_add_i32 s17, s24, s8
	s_cmp_lt_i32 s17, s2
	s_cselect_b32 s17, -1, 0
	s_and_b32 s16, s16, s17
	s_andn2_b32 vcc_lo, exec_lo, s16
	s_cbranch_vccnz .LBB29_24
; %bb.8:
	s_load_dwordx4 s[16:19], s[4:5], 0x0
	s_mov_b32 s4, 0
	s_lshl_b32 s20, s9, 5
	s_mov_b32 s21, s4
	s_lshl_b32 s5, s7, 2
	s_lshl_b64 s[20:21], s[20:21], 2
	s_mul_i32 s0, s15, s0
	s_add_i32 s15, s5, s8
	s_mul_i32 s22, s22, s2
	v_cvt_f32_u32_e32 v4, s9
	v_rcp_iflag_f32_e32 v4, v4
	s_waitcnt lgkmcnt(0)
	s_add_u32 s20, s18, s20
	s_addc_u32 s21, s19, s21
	s_add_i32 s0, s0, s7
	s_mul_i32 s0, s0, s1
	s_mul_i32 s1, s1, s23
	s_add_i32 s0, s0, s8
	s_lshl_b32 s1, s1, 8
	s_add_i32 s0, s0, s22
	v_mul_f32_e32 v4, 0x4f7ffffe, v4
	s_add_i32 s0, s0, s24
	s_lshl_b32 s0, s0, 7
	s_add_i32 s1, s1, s0
	s_lshl_b32 s0, s6, 3
	v_or_b32_e32 v1, s1, v0
	s_add_i32 s0, s15, s0
	v_lshl_or_b32 v0, s15, 7, v0
	s_ashr_i32 s1, s0, 31
	v_cvt_u32_f32_e32 v4, v4
	v_ashrrev_i32_e32 v2, 31, v1
	s_lshl_b64 s[0:1], s[0:1], 3
	s_add_u32 s0, s18, s0
	s_addc_u32 s1, s19, s1
	v_lshlrev_b64 v[1:2], 2, v[1:2]
	s_load_dwordx2 s[0:1], s[0:1], 0x0
	s_add_i32 s8, s6, -1
	s_sub_i32 s2, 0, s9
	v_add_co_u32 v1, vcc_lo, s16, v1
	v_add_co_ci_u32_e64 v2, null, s17, v2, vcc_lo
	global_load_dword v3, v[1:2], off
	s_waitcnt lgkmcnt(0)
	v_mov_b32_e32 v5, s1
	v_mov_b32_e32 v6, s0
.LBB29_9:                               ; =>This Inner Loop Header: Depth=1
	s_mul_hi_i32 s5, s8, s3
	s_mul_i32 s6, s8, s3
	s_cmp_lg_u64 s[4:5], 0
	s_mov_b32 s7, -1
                                        ; implicit-def: $sgpr0_sgpr1
	s_cbranch_scc0 .LBB29_11
; %bb.10:                               ;   in Loop: Header=BB29_9 Depth=1
	s_add_u32 s0, s9, 0
	s_addc_u32 s1, 0, 0
	s_xor_b64 s[0:1], s[0:1], 0
	v_cvt_f32_u32_e32 v7, s0
	v_cvt_f32_u32_e32 v8, s1
	s_sub_u32 s17, 0, s0
	s_subb_u32 s22, 0, s1
	v_fmac_f32_e32 v7, 0x4f800000, v8
	v_rcp_f32_e32 v7, v7
	v_mul_f32_e32 v7, 0x5f7ffffc, v7
	v_mul_f32_e32 v8, 0x2f800000, v7
	v_trunc_f32_e32 v8, v8
	v_fmac_f32_e32 v7, 0xcf800000, v8
	v_cvt_u32_f32_e32 v8, v8
	v_cvt_u32_f32_e32 v7, v7
	v_readfirstlane_b32 s7, v8
	v_readfirstlane_b32 s16, v7
	s_mul_i32 s23, s17, s7
	s_mul_hi_u32 s25, s17, s16
	s_mul_i32 s24, s22, s16
	s_add_i32 s23, s25, s23
	s_mul_i32 s26, s17, s16
	s_add_i32 s23, s23, s24
	s_mul_hi_u32 s25, s16, s26
	s_mul_i32 s28, s16, s23
	s_mul_hi_u32 s27, s7, s26
	s_mul_i32 s24, s7, s26
	s_mul_hi_u32 s26, s16, s23
	s_add_u32 s25, s25, s28
	s_addc_u32 s26, 0, s26
	s_mul_hi_u32 s29, s7, s23
	s_add_u32 s24, s25, s24
	s_mul_i32 s23, s7, s23
	s_addc_u32 s24, s26, s27
	s_addc_u32 s25, s29, 0
	s_add_u32 s23, s24, s23
	s_addc_u32 s24, 0, s25
	s_add_u32 s16, s16, s23
	s_cselect_b32 s23, -1, 0
	s_mul_hi_u32 s25, s17, s16
	s_cmp_lg_u32 s23, 0
	s_mul_i32 s23, s17, s16
	s_addc_u32 s7, s7, s24
	s_mul_i32 s22, s22, s16
	s_mul_i32 s17, s17, s7
	s_mul_hi_u32 s24, s16, s23
	s_add_i32 s17, s25, s17
	s_mul_hi_u32 s25, s7, s23
	s_add_i32 s17, s17, s22
	s_mul_i32 s22, s7, s23
	s_mul_i32 s27, s16, s17
	s_mul_hi_u32 s26, s16, s17
	s_add_u32 s24, s24, s27
	s_addc_u32 s26, 0, s26
	s_mul_hi_u32 s23, s7, s17
	s_add_u32 s22, s24, s22
	s_mul_i32 s17, s7, s17
	s_addc_u32 s22, s26, s25
	s_addc_u32 s23, s23, 0
	s_add_u32 s17, s22, s17
	s_addc_u32 s22, 0, s23
	s_add_u32 s24, s16, s17
	s_cselect_b32 s16, -1, 0
	s_cmp_lg_u32 s16, 0
	s_addc_u32 s7, s7, s22
	s_ashr_i32 s16, s5, 31
	s_add_u32 s22, s6, s16
	s_mov_b32 s17, s16
	s_addc_u32 s23, s5, s16
	s_xor_b64 s[22:23], s[22:23], s[16:17]
	s_mul_i32 s25, s22, s7
	s_mul_hi_u32 s26, s22, s24
	s_mul_hi_u32 s5, s22, s7
	;; [unrolled: 1-line block ×3, first 2 shown]
	s_mul_i32 s24, s23, s24
	s_add_u32 s25, s26, s25
	s_addc_u32 s5, 0, s5
	s_mul_hi_u32 s27, s23, s7
	s_add_u32 s24, s25, s24
	s_mul_i32 s7, s23, s7
	s_addc_u32 s5, s5, s28
	s_addc_u32 s24, s27, 0
	s_add_u32 s5, s5, s7
	s_addc_u32 s7, 0, s24
	s_mul_hi_u32 s24, s0, s5
	s_mul_i32 s25, s0, s7
	s_mul_i32 s26, s1, s5
	s_add_i32 s24, s24, s25
	s_mul_i32 s25, s0, s5
	s_add_i32 s24, s24, s26
	s_sub_i32 s26, s23, s24
	s_sub_u32 s22, s22, s25
	s_cselect_b32 s25, -1, 0
	s_cmp_lg_u32 s25, 0
	s_subb_u32 s26, s26, s1
	s_sub_u32 s27, s22, s0
	s_cselect_b32 s28, -1, 0
	s_cmp_lg_u32 s28, 0
	s_subb_u32 s26, s26, 0
	s_cmp_ge_u32 s26, s1
	s_cselect_b32 s28, -1, 0
	s_cmp_ge_u32 s27, s0
	s_cselect_b32 s27, -1, 0
	s_cmp_eq_u32 s26, s1
	s_cselect_b32 s26, s27, s28
	s_add_u32 s27, s5, 1
	s_addc_u32 s28, s7, 0
	s_add_u32 s29, s5, 2
	s_addc_u32 s30, s7, 0
	s_cmp_lg_u32 s26, 0
	s_cselect_b32 s26, s29, s27
	s_cselect_b32 s27, s30, s28
	s_cmp_lg_u32 s25, 0
	s_subb_u32 s23, s23, s24
	s_cmp_ge_u32 s23, s1
	s_cselect_b32 s24, -1, 0
	s_cmp_ge_u32 s22, s0
	s_cselect_b32 s0, -1, 0
	s_cmp_eq_u32 s23, s1
	s_cselect_b32 s0, s0, s24
	s_cmp_lg_u32 s0, 0
	s_cselect_b32 s1, s27, s7
	s_cselect_b32 s0, s26, s5
	s_xor_b64 s[16:17], s[16:17], 0
	s_mov_b32 s7, 0
	s_xor_b64 s[0:1], s[0:1], s[16:17]
	s_sub_u32 s0, s0, s16
.LBB29_11:                              ;   in Loop: Header=BB29_9 Depth=1
	s_andn2_b32 vcc_lo, exec_lo, s7
	s_cbranch_vccnz .LBB29_13
; %bb.12:                               ;   in Loop: Header=BB29_9 Depth=1
	v_readfirstlane_b32 s0, v4
	s_mul_i32 s1, s2, s0
	s_mul_hi_u32 s1, s0, s1
	s_add_i32 s0, s0, s1
	s_mul_hi_u32 s0, s6, s0
	s_mul_i32 s1, s0, s9
	s_add_i32 s5, s0, 1
	s_sub_i32 s1, s6, s1
	s_sub_i32 s6, s1, s9
	s_cmp_ge_u32 s1, s9
	s_cselect_b32 s0, s5, s0
	s_cselect_b32 s1, s6, s1
	s_add_i32 s5, s0, 1
	s_cmp_ge_u32 s1, s9
	s_cselect_b32 s0, s5, s0
.LBB29_13:                              ;   in Loop: Header=BB29_9 Depth=1
	s_cmp_lg_u32 s10, s0
	s_mov_b32 s6, -1
                                        ; implicit-def: $sgpr5
                                        ; implicit-def: $vgpr8
                                        ; implicit-def: $vgpr7
                                        ; implicit-def: $vgpr9
                                        ; implicit-def: $sgpr1
                                        ; implicit-def: $sgpr16
	s_cbranch_scc0 .LBB29_18
; %bb.14:                               ;   in Loop: Header=BB29_9 Depth=1
	s_add_i32 s1, s8, s9
	s_mov_b32 s7, s4
	s_lshl_b32 s1, s1, 3
	s_mov_b32 s16, s10
	s_add_i32 s6, s1, s15
	s_mul_hi_u32 s1, s0, s12
	s_lshl_b64 s[6:7], s[6:7], 3
	s_add_u32 s6, s18, s6
	s_addc_u32 s7, s19, s7
	s_add_i32 s1, s1, s0
	s_lshr_b32 s1, s1, s13
	s_mul_i32 s5, s1, s14
	s_cmp_eq_u32 s5, s0
	s_cselect_b32 s5, -1, 0
	s_cmp_lt_u32 s1, s11
	s_cselect_b32 s1, -1, 0
	s_or_b32 s1, s1, s5
	s_mov_b32 s5, -1
	s_and_b32 vcc_lo, exec_lo, s1
	s_mov_b32 s1, s8
	s_cbranch_vccnz .LBB29_16
; %bb.15:                               ;   in Loop: Header=BB29_9 Depth=1
	s_add_i32 s1, s8, -1
	s_mov_b32 s5, 0
	s_mov_b32 s16, s0
.LBB29_16:                              ;   in Loop: Header=BB29_9 Depth=1
	v_lshl_add_u32 v7, s8, 10, v0
	s_load_dwordx2 s[6:7], s[6:7], 0x0
	v_ashrrev_i32_e32 v8, 31, v7
	v_lshlrev_b64 v[7:8], 2, v[7:8]
	v_add_co_u32 v7, vcc_lo, s20, v7
	v_add_co_ci_u32_e64 v8, null, s21, v8, vcc_lo
	s_waitcnt lgkmcnt(0)
	v_max_f32_e64 v9, s6, s6
	global_load_dword v8, v[7:8], off
	v_max_f32_e32 v7, v6, v6
	v_max_f32_e32 v7, v7, v9
	v_sub_f32_e32 v9, s6, v7
	v_sub_f32_e32 v10, v6, v7
	v_mul_f32_e32 v11, 0x3fb8aa3b, v9
	v_mul_f32_e32 v12, 0x3fb8aa3b, v10
	v_cmp_ngt_f32_e32 vcc_lo, 0xc2ce8ed0, v9
	v_fma_f32 v13, 0x3fb8aa3b, v9, -v11
	v_rndne_f32_e32 v14, v11
	v_fma_f32 v15, 0x3fb8aa3b, v10, -v12
	v_rndne_f32_e32 v16, v12
	v_fmac_f32_e32 v13, 0x32a5705f, v9
	v_sub_f32_e32 v11, v11, v14
	v_fmac_f32_e32 v15, 0x32a5705f, v10
	v_sub_f32_e32 v12, v12, v16
	v_add_f32_e32 v11, v11, v13
	v_cvt_i32_f32_e32 v13, v14
	v_add_f32_e32 v12, v12, v15
	v_cvt_i32_f32_e32 v14, v16
	v_exp_f32_e32 v11, v11
	v_exp_f32_e32 v12, v12
	v_ldexp_f32 v11, v11, v13
	v_ldexp_f32 v12, v12, v14
	v_cndmask_b32_e32 v11, 0, v11, vcc_lo
	v_cmp_ngt_f32_e32 vcc_lo, 0xc2ce8ed0, v10
	v_cndmask_b32_e32 v12, 0, v12, vcc_lo
	v_cmp_nlt_f32_e32 vcc_lo, 0x42b17218, v9
	v_cndmask_b32_e32 v11, 0x7f800000, v11, vcc_lo
	v_cmp_nlt_f32_e32 vcc_lo, 0x42b17218, v10
	v_cndmask_b32_e32 v12, 0x7f800000, v12, vcc_lo
	v_cmp_le_f32_e32 vcc_lo, 0xc1a00000, v9
	v_cndmask_b32_e32 v9, 0, v11, vcc_lo
	v_cmp_le_f32_e32 vcc_lo, 0xc1a00000, v10
	v_cndmask_b32_e32 v10, 0, v12, vcc_lo
	s_waitcnt vmcnt(0)
	v_mul_f32_e32 v8, v8, v9
	v_mul_f32_e32 v9, s7, v9
	v_fmac_f32_e32 v8, v3, v10
	v_fmac_f32_e32 v9, v5, v10
	s_cbranch_execz .LBB29_19
.LBB29_17:                              ;   in Loop: Header=BB29_9 Depth=1
	s_andn2_b32 vcc_lo, exec_lo, s5
	s_cbranch_vccnz .LBB29_20
	s_branch .LBB29_23
.LBB29_18:                              ;   in Loop: Header=BB29_9 Depth=1
	s_andn2_b32 vcc_lo, exec_lo, s6
	s_cbranch_vccnz .LBB29_17
.LBB29_19:                              ;   in Loop: Header=BB29_9 Depth=1
	v_mov_b32_e32 v9, v5
	v_mov_b32_e32 v7, v6
	s_waitcnt vmcnt(0)
	v_mov_b32_e32 v8, v3
	s_add_i32 s1, s8, -1
	s_mov_b32 s16, s10
	s_cbranch_execz .LBB29_23
.LBB29_20:                              ;   in Loop: Header=BB29_9 Depth=1
	v_mov_b32_e32 v5, v9
	v_mov_b32_e32 v6, v7
	s_waitcnt vmcnt(0)
	v_mov_b32_e32 v3, v8
	s_mov_b32 s10, s16
	s_mov_b32 s8, s1
	s_branch .LBB29_9
.LBB29_21:
                                        ; implicit-def: $sgpr10_sgpr11
	s_load_dwordx4 s[12:15], s[4:5], 0x44
	s_branch .LBB29_2
.LBB29_22:
                                        ; implicit-def: $sgpr18_sgpr19
	s_branch .LBB29_5
.LBB29_23:
	v_div_scale_f32 v0, null, v9, v9, v8
	s_waitcnt vmcnt(0)
	v_rcp_f32_e32 v3, v0
	v_fma_f32 v4, -v0, v3, 1.0
	v_fmac_f32_e32 v3, v4, v3
	v_div_scale_f32 v4, vcc_lo, v8, v9, v8
	v_mul_f32_e32 v5, v4, v3
	v_fma_f32 v6, -v0, v5, v4
	v_fmac_f32_e32 v5, v6, v3
	v_fma_f32 v0, -v0, v5, v4
	v_div_fmas_f32 v0, v0, v3, v5
	v_div_fixup_f32 v0, v0, v9, v8
	global_store_dword v[1:2], v0, off
.LBB29_24:
	s_endpgm
	.section	.rodata,"a",@progbits
	.p2align	6, 0x0
	.amdhsa_kernel _ZL33flash_attn_stream_k_fixup_generalILi128ELi2ELi4EEvPfPK15HIP_vector_typeIfLj2EEiiiiS1_IjLj3EES5_S5_S5_
		.amdhsa_group_segment_fixed_size 0
		.amdhsa_private_segment_fixed_size 0
		.amdhsa_kernarg_size 336
		.amdhsa_user_sgpr_count 6
		.amdhsa_user_sgpr_private_segment_buffer 1
		.amdhsa_user_sgpr_dispatch_ptr 0
		.amdhsa_user_sgpr_queue_ptr 0
		.amdhsa_user_sgpr_kernarg_segment_ptr 1
		.amdhsa_user_sgpr_dispatch_id 0
		.amdhsa_user_sgpr_flat_scratch_init 0
		.amdhsa_user_sgpr_private_segment_size 0
		.amdhsa_wavefront_size32 1
		.amdhsa_uses_dynamic_stack 0
		.amdhsa_system_sgpr_private_segment_wavefront_offset 0
		.amdhsa_system_sgpr_workgroup_id_x 1
		.amdhsa_system_sgpr_workgroup_id_y 1
		.amdhsa_system_sgpr_workgroup_id_z 1
		.amdhsa_system_sgpr_workgroup_info 0
		.amdhsa_system_vgpr_workitem_id 0
		.amdhsa_next_free_vgpr 17
		.amdhsa_next_free_sgpr 31
		.amdhsa_reserve_vcc 1
		.amdhsa_reserve_flat_scratch 0
		.amdhsa_float_round_mode_32 0
		.amdhsa_float_round_mode_16_64 0
		.amdhsa_float_denorm_mode_32 3
		.amdhsa_float_denorm_mode_16_64 3
		.amdhsa_dx10_clamp 1
		.amdhsa_ieee_mode 1
		.amdhsa_fp16_overflow 0
		.amdhsa_workgroup_processor_mode 1
		.amdhsa_memory_ordered 1
		.amdhsa_forward_progress 1
		.amdhsa_shared_vgpr_count 0
		.amdhsa_exception_fp_ieee_invalid_op 0
		.amdhsa_exception_fp_denorm_src 0
		.amdhsa_exception_fp_ieee_div_zero 0
		.amdhsa_exception_fp_ieee_overflow 0
		.amdhsa_exception_fp_ieee_underflow 0
		.amdhsa_exception_fp_ieee_inexact 0
		.amdhsa_exception_int_div_zero 0
	.end_amdhsa_kernel
	.section	.text._ZL33flash_attn_stream_k_fixup_generalILi128ELi2ELi4EEvPfPK15HIP_vector_typeIfLj2EEiiiiS1_IjLj3EES5_S5_S5_,"axG",@progbits,_ZL33flash_attn_stream_k_fixup_generalILi128ELi2ELi4EEvPfPK15HIP_vector_typeIfLj2EEiiiiS1_IjLj3EES5_S5_S5_,comdat
.Lfunc_end29:
	.size	_ZL33flash_attn_stream_k_fixup_generalILi128ELi2ELi4EEvPfPK15HIP_vector_typeIfLj2EEiiiiS1_IjLj3EES5_S5_S5_, .Lfunc_end29-_ZL33flash_attn_stream_k_fixup_generalILi128ELi2ELi4EEvPfPK15HIP_vector_typeIfLj2EEiiiiS1_IjLj3EES5_S5_S5_
                                        ; -- End function
	.set _ZL33flash_attn_stream_k_fixup_generalILi128ELi2ELi4EEvPfPK15HIP_vector_typeIfLj2EEiiiiS1_IjLj3EES5_S5_S5_.num_vgpr, 17
	.set _ZL33flash_attn_stream_k_fixup_generalILi128ELi2ELi4EEvPfPK15HIP_vector_typeIfLj2EEiiiiS1_IjLj3EES5_S5_S5_.num_agpr, 0
	.set _ZL33flash_attn_stream_k_fixup_generalILi128ELi2ELi4EEvPfPK15HIP_vector_typeIfLj2EEiiiiS1_IjLj3EES5_S5_S5_.numbered_sgpr, 31
	.set _ZL33flash_attn_stream_k_fixup_generalILi128ELi2ELi4EEvPfPK15HIP_vector_typeIfLj2EEiiiiS1_IjLj3EES5_S5_S5_.num_named_barrier, 0
	.set _ZL33flash_attn_stream_k_fixup_generalILi128ELi2ELi4EEvPfPK15HIP_vector_typeIfLj2EEiiiiS1_IjLj3EES5_S5_S5_.private_seg_size, 0
	.set _ZL33flash_attn_stream_k_fixup_generalILi128ELi2ELi4EEvPfPK15HIP_vector_typeIfLj2EEiiiiS1_IjLj3EES5_S5_S5_.uses_vcc, 1
	.set _ZL33flash_attn_stream_k_fixup_generalILi128ELi2ELi4EEvPfPK15HIP_vector_typeIfLj2EEiiiiS1_IjLj3EES5_S5_S5_.uses_flat_scratch, 0
	.set _ZL33flash_attn_stream_k_fixup_generalILi128ELi2ELi4EEvPfPK15HIP_vector_typeIfLj2EEiiiiS1_IjLj3EES5_S5_S5_.has_dyn_sized_stack, 0
	.set _ZL33flash_attn_stream_k_fixup_generalILi128ELi2ELi4EEvPfPK15HIP_vector_typeIfLj2EEiiiiS1_IjLj3EES5_S5_S5_.has_recursion, 0
	.set _ZL33flash_attn_stream_k_fixup_generalILi128ELi2ELi4EEvPfPK15HIP_vector_typeIfLj2EEiiiiS1_IjLj3EES5_S5_S5_.has_indirect_call, 0
	.section	.AMDGPU.csdata,"",@progbits
; Kernel info:
; codeLenInByte = 2944
; TotalNumSgprs: 33
; NumVgprs: 17
; ScratchSize: 0
; MemoryBound: 0
; FloatMode: 240
; IeeeMode: 1
; LDSByteSize: 0 bytes/workgroup (compile time only)
; SGPRBlocks: 0
; VGPRBlocks: 2
; NumSGPRsForWavesPerEU: 33
; NumVGPRsForWavesPerEU: 17
; Occupancy: 16
; WaveLimiterHint : 0
; COMPUTE_PGM_RSRC2:SCRATCH_EN: 0
; COMPUTE_PGM_RSRC2:USER_SGPR: 6
; COMPUTE_PGM_RSRC2:TRAP_HANDLER: 0
; COMPUTE_PGM_RSRC2:TGID_X_EN: 1
; COMPUTE_PGM_RSRC2:TGID_Y_EN: 1
; COMPUTE_PGM_RSRC2:TGID_Z_EN: 1
; COMPUTE_PGM_RSRC2:TIDIG_COMP_CNT: 0
	.section	.text._ZL15flash_attn_tileILi128ELi128ELi1ELi4ELb0EEvPKcS1_S1_S1_S1_PKiPfP15HIP_vector_typeIfLj2EEffffjfiS5_IjLj3EEiiiiiiiiiiiliiliiiiil,"axG",@progbits,_ZL15flash_attn_tileILi128ELi128ELi1ELi4ELb0EEvPKcS1_S1_S1_S1_PKiPfP15HIP_vector_typeIfLj2EEffffjfiS5_IjLj3EEiiiiiiiiiiiliiliiiiil,comdat
	.globl	_ZL15flash_attn_tileILi128ELi128ELi1ELi4ELb0EEvPKcS1_S1_S1_S1_PKiPfP15HIP_vector_typeIfLj2EEffffjfiS5_IjLj3EEiiiiiiiiiiiliiliiiiil ; -- Begin function _ZL15flash_attn_tileILi128ELi128ELi1ELi4ELb0EEvPKcS1_S1_S1_S1_PKiPfP15HIP_vector_typeIfLj2EEffffjfiS5_IjLj3EEiiiiiiiiiiiliiliiiiil
	.p2align	8
	.type	_ZL15flash_attn_tileILi128ELi128ELi1ELi4ELb0EEvPKcS1_S1_S1_S1_PKiPfP15HIP_vector_typeIfLj2EEffffjfiS5_IjLj3EEiiiiiiiiiiiliiliiiiil,@function
_ZL15flash_attn_tileILi128ELi128ELi1ELi4ELb0EEvPKcS1_S1_S1_S1_PKiPfP15HIP_vector_typeIfLj2EEffffjfiS5_IjLj3EEiiiiiiiiiiiliiliiiiil: ; @_ZL15flash_attn_tileILi128ELi128ELi1ELi4ELb0EEvPKcS1_S1_S1_S1_PKiPfP15HIP_vector_typeIfLj2EEffffjfiS5_IjLj3EEiiiiiiiiiiiliiliiiiil
; %bb.0:
	s_clause 0x1
	s_load_dwordx4 s[24:27], s[4:5], 0x5c
	s_load_dwordx2 s[30:31], s[4:5], 0x80
	s_mov_b32 s28, s7
	s_mov_b64 s[34:35], 0
	s_waitcnt lgkmcnt(0)
	s_ashr_i32 s0, s27, 31
	s_lshr_b32 s0, s0, 30
	s_add_i32 s0, s27, s0
	s_ashr_i32 s0, s0, 2
	v_cvt_f32_u32_e32 v2, s0
	s_sub_i32 s2, 0, s0
	v_rcp_iflag_f32_e32 v2, v2
	v_mul_f32_e32 v2, 0x4f7ffffe, v2
	v_cvt_u32_f32_e32 v2, v2
	v_readfirstlane_b32 s1, v2
	s_mul_i32 s2, s2, s1
	s_mul_hi_u32 s2, s1, s2
	s_add_i32 s1, s1, s2
	s_mul_hi_u32 s1, s8, s1
	s_mul_i32 s2, s1, s0
	s_add_i32 s3, s1, 1
	s_sub_i32 s2, s8, s2
	s_sub_i32 s7, s2, s0
	s_cmp_ge_u32 s2, s0
	s_cselect_b32 s1, s3, s1
	s_cselect_b32 s2, s7, s2
	s_add_i32 s3, s1, 1
	s_cmp_ge_u32 s2, s0
	s_cselect_b32 s29, s3, s1
	s_abs_i32 s0, s31
	s_lshl_b32 s3, s8, 2
	v_cvt_f32_u32_e32 v2, s0
	s_sub_i32 s2, 0, s0
	s_abs_i32 s8, s27
	s_mul_i32 s7, s29, s27
	v_rcp_iflag_f32_e32 v2, v2
	s_sub_i32 s33, s3, s7
	v_mul_f32_e32 v2, 0x4f7ffffe, v2
	v_cvt_u32_f32_e32 v2, v2
	v_readfirstlane_b32 s1, v2
	s_mul_i32 s2, s2, s1
	s_mul_hi_u32 s2, s1, s2
	s_add_i32 s1, s1, s2
	s_xor_b32 s2, s27, s31
	s_mul_hi_u32 s1, s8, s1
	s_ashr_i32 s2, s2, 31
	s_mul_i32 s3, s1, s0
	s_add_i32 s7, s1, 1
	s_sub_i32 s3, s8, s3
	s_sub_i32 s8, s3, s0
	s_cmp_ge_u32 s3, s0
	s_cselect_b32 s1, s7, s1
	s_cselect_b32 s3, s8, s3
	s_add_i32 s7, s1, 1
	s_cmp_ge_u32 s3, s0
	s_clause 0x1
	s_load_dwordx16 s[8:23], s[4:5], 0x0
	s_load_dwordx2 s[36:37], s[4:5], 0xb8
	s_cselect_b32 s0, s7, s1
	s_xor_b32 s0, s0, s2
	s_sub_i32 s31, s0, s2
	s_abs_i32 s7, s31
	v_cvt_f32_u32_e32 v2, s7
	v_rcp_iflag_f32_e32 v2, v2
	s_waitcnt lgkmcnt(0)
	s_cmp_eq_u64 s[14:15], 0
	v_mul_f32_e32 v2, 0x4f7ffffe, v2
	v_cvt_u32_f32_e32 v2, v2
	v_readfirstlane_b32 s38, v2
	s_cbranch_scc1 .LBB30_2
; %bb.1:
	s_abs_i32 s2, s36
	s_abs_i32 s3, s29
	v_cvt_f32_u32_e32 v2, s2
	s_sub_i32 s1, 0, s2
	v_rcp_iflag_f32_e32 v2, v2
	v_mul_f32_e32 v2, 0x4f7ffffe, v2
	v_cvt_u32_f32_e32 v2, v2
	v_readfirstlane_b32 s0, v2
	s_mul_i32 s1, s1, s0
	s_mul_hi_u32 s1, s0, s1
	s_add_i32 s0, s0, s1
	s_mul_hi_u32 s34, s3, s0
	s_load_dwordx2 s[0:1], s[4:5], 0xc8
	s_mul_i32 s34, s34, s2
	s_sub_i32 s3, s3, s34
	s_ashr_i32 s34, s29, 31
	s_sub_i32 s35, s3, s2
	s_cmp_ge_u32 s3, s2
	s_cselect_b32 s3, s35, s3
	s_sub_i32 s35, s3, s2
	s_cmp_ge_u32 s3, s2
	s_cselect_b32 s2, s35, s3
	s_xor_b32 s2, s2, s34
	s_sub_i32 s2, s2, s34
	s_ashr_i32 s3, s2, 31
	s_waitcnt lgkmcnt(0)
	s_mul_hi_u32 s34, s0, s2
	s_mul_i32 s3, s0, s3
	s_mul_i32 s1, s1, s2
	s_add_i32 s3, s34, s3
	s_mul_i32 s0, s0, s2
	s_add_i32 s3, s3, s1
	s_add_u32 s34, s14, s0
	s_addc_u32 s35, s15, s3
.LBB30_2:
	v_lshrrev_b32_e32 v2, 2, v1
	s_load_dwordx4 s[0:3], s[4:5], 0x70
	v_and_b32_e32 v35, 3, v1
	v_lshlrev_b32_e32 v37, 3, v0
	v_lshl_add_u32 v38, v1, 8, 0x2400
	v_add_nc_u32_e32 v2, s6, v2
	v_mul_hi_u32 v3, s24, v2
	v_add_nc_u32_e32 v3, v2, v3
	s_waitcnt lgkmcnt(0)
	s_mul_i32 s3, s29, s2
	s_mul_i32 s14, s33, s1
	v_lshrrev_b32_e32 v3, s25, v3
	s_ashr_i32 s15, s3, 31
	s_add_u32 s3, s8, s3
	s_addc_u32 s8, s9, s15
	s_ashr_i32 s9, s14, 31
	v_mul_lo_u32 v3, v3, s26
	s_add_u32 s14, s3, s14
	s_mov_b32 s2, s1
	s_addc_u32 s15, s8, s9
	s_ashr_i32 s3, s1, 31
	s_ashr_i32 s1, s0, 31
	s_lshr_b64 s[8:9], s[2:3], 2
	v_mad_u64_u32 v[4:5], null, s8, v35, 0
	v_sub_nc_u32_e32 v3, v2, v3
	s_lshr_b64 s[8:9], s[0:1], 2
	s_lshr_b32 s0, s3, 2
	v_mad_u64_u32 v[6:7], null, s8, v3, 0
	v_mad_u64_u32 v[8:9], null, s0, v35, v[5:6]
	s_lshr_b32 s0, s1, 2
	s_cmp_eq_u64 s[18:19], 0
	v_mad_u64_u32 v[9:10], null, s0, v3, v[7:8]
	v_mov_b32_e32 v5, v8
	v_lshlrev_b32_e32 v8, 4, v0
	s_load_dword s0, s[4:5], 0x40
	v_lshlrev_b64 v[4:5], 2, v[4:5]
	v_mov_b32_e32 v7, v9
	v_add_co_u32 v4, vcc_lo, s14, v4
	v_lshlrev_b64 v[6:7], 2, v[6:7]
	v_add_co_ci_u32_e64 v5, null, s15, v5, vcc_lo
	v_add_co_u32 v4, vcc_lo, v4, v6
	v_add_co_ci_u32_e64 v5, null, v5, v7, vcc_lo
	v_add_co_u32 v4, vcc_lo, v4, v8
	v_add_co_ci_u32_e64 v5, null, 0, v5, vcc_lo
	v_add_nc_u32_e32 v8, v38, v37
	global_load_dwordx4 v[4:7], v[4:5], off
	s_waitcnt vmcnt(0) lgkmcnt(0)
	v_fma_mixlo_f16 v5, s0, v5, 0
	v_fma_mixlo_f16 v4, s0, v4, 0
	;; [unrolled: 1-line block ×4, first 2 shown]
	v_lshlrev_b32_e32 v5, 16, v5
	v_and_b32_e32 v4, 0xffff, v4
	v_and_b32_e32 v6, 0xffff, v6
	v_lshlrev_b32_e32 v7, 16, v7
	v_or_b32_e32 v4, v5, v4
	v_or3_b32 v5, v7, v6, 0
	v_or3_b32 v4, 0, 0, v4
	ds_write_b64 v8, v[4:5]
	s_waitcnt lgkmcnt(0)
	s_barrier
	buffer_gl0_inv
	s_cbranch_scc1 .LBB30_4
; %bb.3:
	s_load_dword s0, s[4:5], 0xd0
	s_mov_b32 s1, 0
	s_waitcnt lgkmcnt(0)
	s_mul_i32 s0, s0, s29
	s_add_i32 s0, s0, s6
	s_lshl_b64 s[0:1], s[0:1], 2
	s_add_u32 s0, s18, s0
	s_addc_u32 s1, s19, s1
	s_load_dword s30, s[0:1], 0x0
.LBB30_4:
	v_mbcnt_lo_u32_b32 v39, -1, 0
	s_lshl_b32 s8, s28, 6
	s_waitcnt lgkmcnt(0)
	s_cmp_lt_i32 s8, s30
	s_cbranch_scc1 .LBB30_7
; %bb.5:
	v_mbcnt_lo_u32_b32 v5, -1, 0
	v_mov_b32_e32 v4, 32
	v_xor_b32_e32 v44, 16, v5
	v_xor_b32_e32 v43, 8, v5
	;; [unrolled: 1-line block ×5, first 2 shown]
	v_lshlrev_b32_e32 v36, 2, v0
	s_cbranch_execz .LBB30_8
; %bb.6:
	v_mov_b32_e32 v63, 0
	v_mov_b32_e32 v61, 0
	;; [unrolled: 1-line block ×4, first 2 shown]
	s_branch .LBB30_11
.LBB30_7:
                                        ; implicit-def: $vgpr5
                                        ; implicit-def: $vgpr4
                                        ; implicit-def: $vgpr44
                                        ; implicit-def: $vgpr43
                                        ; implicit-def: $vgpr42
                                        ; implicit-def: $vgpr41
                                        ; implicit-def: $vgpr40
	v_lshlrev_b32_e32 v36, 2, v0
.LBB30_8:
	s_clause 0x1
	s_load_dwordx4 s[0:3], s[4:5], 0x98
	s_load_dwordx2 s[14:15], s[4:5], 0x8c
	s_sub_i32 s6, 0, s7
	s_abs_i32 s24, s33
	s_mul_i32 s6, s6, s38
	s_ashr_i32 s25, s33, 31
	s_mul_hi_u32 s6, s38, s6
	s_ashr_i32 s31, s31, 31
	s_add_i32 s38, s38, s6
	s_ashr_i32 s6, s37, 1
	s_ashr_i32 s37, s29, 31
	s_mul_hi_u32 s36, s24, s38
	s_load_dwordx2 s[18:19], s[4:5], 0xa8
	s_mul_i32 s38, s36, s7
	v_lshrrev_b32_e32 v4, 3, v0
	v_and_b32_e32 v11, 28, v36
	v_lshrrev_b32_e32 v8, 4, v0
	v_and_b32_e32 v23, 60, v36
	v_mov_b32_e32 v62, 0
	v_lshl_add_u32 v4, v1, 2, v4
	s_waitcnt lgkmcnt(0)
	s_ashr_i32 s9, s2, 2
	s_mul_hi_u32 s2, s0, s29
	s_mul_i32 s39, s0, s37
	s_mul_i32 s1, s1, s29
	s_add_i32 s2, s2, s39
	s_mul_i32 s0, s0, s29
	s_ashr_i32 s14, s14, 2
	s_add_i32 s2, s2, s1
	s_add_u32 s0, s10, s0
	s_addc_u32 s1, s11, s2
	s_sub_i32 s10, s24, s38
	s_xor_b32 s2, s25, s31
	s_add_i32 s11, s36, 1
	s_sub_i32 s24, s10, s7
	s_cmp_ge_u32 s10, s7
	v_mul_lo_u32 v5, s14, v4
	s_cselect_b32 s11, s11, s36
	s_cselect_b32 s10, s24, s10
	s_add_i32 s24, s11, 1
	s_cmp_ge_u32 s10, s7
	v_lshlrev_b32_e32 v6, 2, v11
	s_cselect_b32 s7, s24, s11
	s_mul_hi_u32 s24, s18, s29
	s_xor_b32 s7, s7, s2
	v_lshlrev_b32_e32 v13, 2, v23
	s_sub_i32 s2, s7, s2
	s_mul_i32 s7, s18, s37
	s_mul_i32 s10, s2, s15
	;; [unrolled: 1-line block ×3, first 2 shown]
	s_ashr_i32 s11, s10, 31
	s_add_u32 s10, s0, s10
	s_addc_u32 s11, s1, s11
	s_add_i32 s0, s24, s7
	s_mul_i32 s1, s18, s29
	s_add_i32 s0, s0, s15
	s_mul_i32 s2, s2, s3
	s_add_u32 s1, s12, s1
	s_addc_u32 s0, s13, s0
	s_ashr_i32 s3, s2, 31
	s_add_u32 s12, s1, s2
	s_addc_u32 s13, s0, s3
	s_lshl_b32 s0, s14, 4
	v_mad_u32_u24 v45, 0x90, v4, v6
	v_lshl_add_u32 v4, v1, 1, v8
	v_add_nc_u32_e32 v7, s0, v5
	v_lshl_add_u32 v1, v1, 7, 0x2800
	v_ashrrev_i32_e32 v6, 31, v5
	v_lshlrev_b32_e32 v55, 2, v11
	v_mul_lo_u32 v12, s9, v4
	v_add_nc_u32_e32 v9, s0, v7
	v_ashrrev_i32_e32 v8, 31, v7
	v_lshl_or_b32 v50, v4, 8, v13
	v_mad_u64_u32 v[3:4], null, v3, s6, v[0:1]
	v_add_nc_u32_e32 v14, s0, v9
	s_lshl_b32 s0, s9, 3
	v_ashrrev_i32_e32 v10, 31, v9
	v_add_nc_u32_e32 v16, s0, v12
	v_ashrrev_i32_e32 v13, 31, v12
	v_ashrrev_i32_e32 v15, 31, v14
	v_lshlrev_b64 v[4:5], 2, v[5:6]
	v_lshlrev_b64 v[6:7], 2, v[7:8]
	v_add_nc_u32_e32 v18, s0, v16
	v_ashrrev_i32_e32 v17, 31, v16
	v_lshlrev_b64 v[8:9], 2, v[9:10]
	v_lshlrev_b64 v[10:11], 2, v[14:15]
	;; [unrolled: 1-line block ×3, first 2 shown]
	v_add_nc_u32_e32 v21, s0, v18
	v_ashrrev_i32_e32 v19, 31, v18
	v_lshlrev_b64 v[14:15], 2, v[16:17]
	v_add_nc_u32_e32 v46, 0x900, v45
	v_add_nc_u32_e32 v47, 0x1200, v45
	v_ashrrev_i32_e32 v22, 31, v21
	v_lshlrev_b64 v[16:17], 2, v[18:19]
	v_add_nc_u32_e32 v48, 0x1b00, v45
	v_mul_u32_u24_e32 v49, 0x90, v0
	v_lshl_add_u32 v51, v0, 1, v1
	v_lshlrev_b64 v[18:19], 2, v[21:22]
	v_add_nc_u32_e32 v52, 0x800, v50
	v_add_nc_u32_e32 v53, 0x1000, v50
	;; [unrolled: 1-line block ×3, first 2 shown]
	v_mov_b32_e32 v20, 0xfeffffff
	v_xor_b32_e32 v44, 16, v39
	v_xor_b32_e32 v43, 8, v39
	;; [unrolled: 1-line block ×5, first 2 shown]
	v_lshlrev_b32_e32 v56, 2, v23
	v_mov_b32_e32 v57, 0x10001
	v_add_nc_u32_e32 v58, 0x800, v37
	v_add_nc_u32_e32 v59, 0x1000, v37
	;; [unrolled: 1-line block ×3, first 2 shown]
	v_mov_b32_e32 v63, 0
	v_mov_b32_e32 v61, 0
	s_add_u32 s6, s4, 0xd0
	s_addc_u32 s7, s5, 0
.LBB30_9:                               ; =>This Inner Loop Header: Depth=1
	v_cmp_gt_i32_e32 vcc_lo, 32, v44
	s_mul_hi_i32 s1, s8, s14
	s_mul_i32 s0, s8, s14
	s_mul_hi_i32 s3, s8, s9
	s_lshl_b64 s[0:1], s[0:1], 2
	v_cndmask_b32_e32 v22, v39, v44, vcc_lo
	v_cmp_gt_i32_e32 vcc_lo, 32, v43
	s_mul_i32 s2, s8, s9
	s_add_u32 s15, s10, s0
	s_addc_u32 s24, s11, s1
	s_lshl_b64 s[18:19], s[2:3], 2
	v_cndmask_b32_e32 v23, v39, v43, vcc_lo
	v_cmp_gt_i32_e32 vcc_lo, 32, v42
	v_lshlrev_b32_e32 v71, 2, v22
	v_mov_b32_e32 v65, 0
	v_mov_b32_e32 v66, 0
	v_lshlrev_b32_e32 v70, 2, v23
	v_cndmask_b32_e32 v24, v39, v42, vcc_lo
	v_cmp_gt_i32_e32 vcc_lo, 32, v41
	v_add_co_u32 v23, s0, s15, v8
	v_add_co_ci_u32_e64 v28, null, s24, v9, s0
	v_cndmask_b32_e32 v25, v39, v41, vcc_lo
	v_cmp_gt_i32_e32 vcc_lo, 32, v40
	v_lshlrev_b32_e32 v69, 2, v24
	v_add_co_u32 v24, s1, s15, v10
	v_lshlrev_b32_e32 v68, 2, v25
	v_cndmask_b32_e32 v26, v39, v40, vcc_lo
	v_add_co_u32 v25, s2, s15, v4
	v_add_co_u32 v22, vcc_lo, s15, v6
	v_lshlrev_b32_e32 v67, 2, v26
	v_add_co_ci_u32_e64 v26, null, s24, v5, s2
	v_add_co_ci_u32_e64 v27, null, s24, v7, vcc_lo
	v_add_co_u32 v78, s2, v25, v55
	v_add_co_u32 v72, vcc_lo, v22, v55
	v_add_co_ci_u32_e64 v29, null, s24, v11, s1
	v_add_co_u32 v74, s0, v23, v55
	v_add_co_ci_u32_e64 v79, null, 0, v26, s2
	v_add_co_ci_u32_e64 v73, null, 0, v27, vcc_lo
	v_add_co_ci_u32_e64 v75, null, 0, v28, s0
	v_add_co_u32 v76, s1, v24, v55
	v_add_co_ci_u32_e64 v77, null, 0, v29, s1
	s_clause 0x2
	global_load_dwordx4 v[22:25], v[78:79], off
	global_load_dwordx4 v[26:29], v[72:73], off
	;; [unrolled: 1-line block ×3, first 2 shown]
	v_mov_b32_e32 v64, v20
	v_add_nc_u32_e32 v20, s8, v3
	s_add_u32 s3, s12, s18
	s_addc_u32 s15, s13, s19
	s_or_b32 s18, s8, 32
	v_ashrrev_i32_e32 v21, 31, v20
	s_mul_hi_i32 s19, s18, s9
	s_mul_i32 s18, s18, s9
	v_lshlrev_b64 v[80:81], 1, v[20:21]
	s_waitcnt vmcnt(2)
	ds_write_b128 v45, v[22:25]
	global_load_dwordx4 v[22:25], v[76:77], off
	s_waitcnt vmcnt(2)
	ds_write_b128 v46, v[26:29]
	s_waitcnt vmcnt(1)
	ds_write_b128 v47, v[30:33]
	;; [unrolled: 2-line block ×3, first 2 shown]
	s_waitcnt lgkmcnt(0)
	s_barrier
	buffer_gl0_inv
	ds_read_b128 v[22:25], v49
	ds_read_b128 v[26:29], v38
	ds_read_b128 v[30:33], v49 offset:4608
	s_waitcnt lgkmcnt(1)
	;;#ASMSTART
	v_dot2_f32_f16 v65, v22, v26, v65
	;;#ASMEND
	;;#ASMSTART
	v_dot2_f32_f16 v65, v23, v27, v65
	;;#ASMEND
	;;#ASMSTART
	v_dot2_f32_f16 v65, v24, v28, v65
	;;#ASMEND
	;;#ASMSTART
	v_dot2_f32_f16 v65, v25, v29, v65
	;;#ASMEND
	s_waitcnt lgkmcnt(0)
	;;#ASMSTART
	v_dot2_f32_f16 v66, v30, v26, v66
	;;#ASMEND
	;;#ASMSTART
	v_dot2_f32_f16 v66, v31, v27, v66
	;;#ASMEND
	;;#ASMSTART
	v_dot2_f32_f16 v66, v32, v28, v66
	;;#ASMEND
	;;#ASMSTART
	v_dot2_f32_f16 v66, v33, v29, v66
	;;#ASMEND
	ds_read_b128 v[22:25], v49 offset:16
	ds_read_b128 v[26:29], v38 offset:16
	ds_read_b128 v[30:33], v49 offset:4624
	s_waitcnt lgkmcnt(1)
	;;#ASMSTART
	v_dot2_f32_f16 v65, v22, v26, v65
	;;#ASMEND
	;;#ASMSTART
	v_dot2_f32_f16 v65, v23, v27, v65
	;;#ASMEND
	;;#ASMSTART
	v_dot2_f32_f16 v65, v24, v28, v65
	;;#ASMEND
	;;#ASMSTART
	v_dot2_f32_f16 v65, v25, v29, v65
	;;#ASMEND
	s_waitcnt lgkmcnt(0)
	;;#ASMSTART
	v_dot2_f32_f16 v66, v30, v26, v66
	;;#ASMEND
	;;#ASMSTART
	v_dot2_f32_f16 v66, v31, v27, v66
	;;#ASMEND
	;;#ASMSTART
	v_dot2_f32_f16 v66, v32, v28, v66
	;;#ASMEND
	;;#ASMSTART
	v_dot2_f32_f16 v66, v33, v29, v66
	;;#ASMEND
	ds_read_b128 v[22:25], v49 offset:32
	ds_read_b128 v[26:29], v38 offset:32
	;; [unrolled: 29-line block ×7, first 2 shown]
	ds_read_b128 v[30:33], v49 offset:4720
	s_waitcnt lgkmcnt(1)
	;;#ASMSTART
	v_dot2_f32_f16 v65, v22, v26, v65
	;;#ASMEND
	;;#ASMSTART
	v_dot2_f32_f16 v65, v23, v27, v65
	;;#ASMEND
	;; [unrolled: 3-line block ×4, first 2 shown]
	v_add_co_u32 v22, vcc_lo, s3, v12
	v_add_co_u32 v23, s0, s3, v14
	v_add_co_u32 v24, s1, s3, v16
	;; [unrolled: 1-line block ×3, first 2 shown]
	s_waitcnt lgkmcnt(0)
	;;#ASMSTART
	v_dot2_f32_f16 v66, v30, v26, v66
	;;#ASMEND
	;;#ASMSTART
	v_dot2_f32_f16 v66, v31, v27, v66
	;;#ASMEND
	v_add_co_ci_u32_e64 v20, null, s15, v13, vcc_lo
	v_add_co_ci_u32_e64 v21, null, s15, v15, s0
	v_add_co_ci_u32_e64 v26, null, s15, v17, s1
	;; [unrolled: 1-line block ×3, first 2 shown]
	s_lshl_b64 s[2:3], s[18:19], 2
	;;#ASMSTART
	v_dot2_f32_f16 v66, v32, v28, v66
	;;#ASMEND
	;;#ASMSTART
	v_dot2_f32_f16 v66, v33, v29, v66
	;;#ASMEND
	v_add_co_u32 v33, vcc_lo, v23, v56
	v_add_co_u32 v31, s0, v24, v56
	v_add_co_u32 v29, s1, v25, v56
	s_add_u32 s15, s12, s2
	v_add_co_u32 v82, s2, v22, v56
	v_add_co_ci_u32_e64 v83, null, 0, v20, s2
	v_add_co_ci_u32_e64 v34, null, 0, v21, vcc_lo
	v_add_co_ci_u32_e64 v32, null, 0, v26, s0
	v_add_co_ci_u32_e64 v30, null, 0, v27, s1
	s_barrier
	buffer_gl0_inv
	s_clause 0x1
	global_load_dwordx4 v[20:23], v[78:79], off offset:128
	global_load_dwordx4 v[24:27], v[72:73], off offset:128
	s_addc_u32 s3, s13, s3
	s_waitcnt vmcnt(1)
	ds_write_b128 v45, v[20:23]
	s_clause 0x1
	global_load_dwordx4 v[20:23], v[74:75], off offset:128
	global_load_dwordx4 v[72:75], v[76:77], off offset:128
	v_add_co_u32 v76, s1, s34, v80
	v_add_co_ci_u32_e64 v77, null, s35, v81, s1
	s_waitcnt vmcnt(2)
	ds_write_b128 v46, v[24:27]
	s_waitcnt vmcnt(1)
	ds_write_b128 v47, v[20:23]
	;; [unrolled: 2-line block ×3, first 2 shown]
	s_waitcnt lgkmcnt(0)
	s_barrier
	buffer_gl0_inv
	ds_read_b128 v[20:23], v49
	ds_read_b128 v[24:27], v38 offset:128
	ds_read_b128 v[72:75], v49 offset:4608
	s_waitcnt lgkmcnt(1)
	;;#ASMSTART
	v_dot2_f32_f16 v65, v20, v24, v65
	;;#ASMEND
	;;#ASMSTART
	v_dot2_f32_f16 v65, v21, v25, v65
	;;#ASMEND
	;;#ASMSTART
	v_dot2_f32_f16 v65, v22, v26, v65
	;;#ASMEND
	;;#ASMSTART
	v_dot2_f32_f16 v65, v23, v27, v65
	;;#ASMEND
	s_waitcnt lgkmcnt(0)
	;;#ASMSTART
	v_dot2_f32_f16 v66, v72, v24, v66
	;;#ASMEND
	;;#ASMSTART
	v_dot2_f32_f16 v66, v73, v25, v66
	;;#ASMEND
	;;#ASMSTART
	v_dot2_f32_f16 v66, v74, v26, v66
	;;#ASMEND
	;;#ASMSTART
	v_dot2_f32_f16 v66, v75, v27, v66
	;;#ASMEND
	ds_read_b128 v[20:23], v49 offset:16
	ds_read_b128 v[24:27], v38 offset:144
	ds_read_b128 v[72:75], v49 offset:4624
	s_waitcnt lgkmcnt(1)
	;;#ASMSTART
	v_dot2_f32_f16 v65, v20, v24, v65
	;;#ASMEND
	;;#ASMSTART
	v_dot2_f32_f16 v65, v21, v25, v65
	;;#ASMEND
	;;#ASMSTART
	v_dot2_f32_f16 v65, v22, v26, v65
	;;#ASMEND
	;;#ASMSTART
	v_dot2_f32_f16 v65, v23, v27, v65
	;;#ASMEND
	s_waitcnt lgkmcnt(0)
	;;#ASMSTART
	v_dot2_f32_f16 v66, v72, v24, v66
	;;#ASMEND
	;;#ASMSTART
	v_dot2_f32_f16 v66, v73, v25, v66
	;;#ASMEND
	;;#ASMSTART
	v_dot2_f32_f16 v66, v74, v26, v66
	;;#ASMEND
	;;#ASMSTART
	v_dot2_f32_f16 v66, v75, v27, v66
	;;#ASMEND
	ds_read_b128 v[20:23], v49 offset:32
	;; [unrolled: 29-line block ×7, first 2 shown]
	ds_read_b128 v[24:27], v38 offset:240
	ds_read_b128 v[72:75], v49 offset:4720
	s_waitcnt lgkmcnt(1)
	;;#ASMSTART
	v_dot2_f32_f16 v65, v20, v24, v65
	;;#ASMEND
	;;#ASMSTART
	v_dot2_f32_f16 v65, v21, v25, v65
	;;#ASMEND
	v_add_co_u32 v20, vcc_lo, s15, v12
	;;#ASMSTART
	v_dot2_f32_f16 v65, v22, v26, v65
	;;#ASMEND
	;;#ASMSTART
	v_dot2_f32_f16 v65, v23, v27, v65
	;;#ASMEND
	s_waitcnt lgkmcnt(0)
	;;#ASMSTART
	v_dot2_f32_f16 v66, v72, v24, v66
	;;#ASMEND
	v_add_co_u32 v23, s2, s15, v18
	;;#ASMSTART
	v_dot2_f32_f16 v66, v73, v25, v66
	;;#ASMEND
	;;#ASMSTART
	v_dot2_f32_f16 v66, v74, v26, v66
	;;#ASMEND
	;; [unrolled: 3-line block ×3, first 2 shown]
	v_add_co_ci_u32_e64 v73, null, s3, v19, s2
	v_add_co_u32 v27, s2, v20, v56
	s_clause 0x1
	global_load_ushort v20, v[76:77], off
	global_load_ushort v76, v[76:77], off offset:64
	v_add_co_u32 v21, s0, s15, v14
	v_add_co_u32 v22, s1, s15, v16
	v_add_co_ci_u32_e64 v26, null, s3, v15, s0
	v_add_co_ci_u32_e64 v72, null, s3, v17, s1
	s_waitcnt vmcnt(0)
	s_barrier
	buffer_gl0_inv
	v_add_co_ci_u32_e64 v24, null, s3, v13, vcc_lo
	v_add_co_u32 v25, vcc_lo, v21, v56
	v_add_co_u32 v21, s0, v22, v56
	v_add_co_u32 v23, s1, v23, v56
	v_add_co_ci_u32_e64 v26, null, 0, v26, vcc_lo
	v_add_co_ci_u32_e64 v22, null, 0, v72, s0
	v_add_co_ci_u32_e64 v28, null, 0, v24, s2
	;; [unrolled: 1-line block ×3, first 2 shown]
	global_load_dwordx4 v[72:75], v[82:83], off
	v_cvt_f32_f16_e32 v20, v20
	v_cvt_f32_f16_e32 v76, v76
	v_add_f32_e32 v65, v65, v20
	v_add_f32_e32 v66, v66, v76
	;; [unrolled: 1-line block ×4, first 2 shown]
	v_max3_f32 v20, v64, v20, v76
	ds_bpermute_b32 v71, v71, v20
	s_waitcnt lgkmcnt(0)
	v_max_f32_e32 v71, v71, v71
	v_max_f32_e32 v20, v20, v71
	ds_bpermute_b32 v70, v70, v20
	s_waitcnt lgkmcnt(0)
	v_max_f32_e32 v70, v70, v70
	v_max_f32_e32 v20, v20, v70
	;; [unrolled: 4-line block ×5, first 2 shown]
	v_sub_f32_e32 v80, v65, v20
	v_sub_f32_e32 v76, v66, v20
	;; [unrolled: 1-line block ×3, first 2 shown]
	v_mul_f32_e32 v64, 0x3fb8aa3b, v80
	v_mul_f32_e32 v65, 0x3fb8aa3b, v76
	;; [unrolled: 1-line block ×3, first 2 shown]
	v_cmp_ngt_f32_e32 vcc_lo, 0xc2ce8ed0, v77
	v_cmp_ngt_f32_e64 s0, 0xc2ce8ed0, v76
	v_fma_f32 v67, 0x3fb8aa3b, v80, -v64
	v_rndne_f32_e32 v68, v64
	v_fma_f32 v69, 0x3fb8aa3b, v76, -v65
	v_rndne_f32_e32 v70, v65
	v_rndne_f32_e32 v71, v66
	v_fmac_f32_e32 v67, 0x32a5705f, v80
	v_sub_f32_e32 v64, v64, v68
	v_fmac_f32_e32 v69, 0x32a5705f, v76
	v_sub_f32_e32 v65, v65, v70
	v_cmp_ngt_f32_e64 s1, 0xc2ce8ed0, v80
	v_add_f32_e32 v64, v64, v67
	v_fma_f32 v67, 0x3fb8aa3b, v77, -v66
	v_add_f32_e32 v69, v65, v69
	v_sub_f32_e32 v65, v66, v71
	v_cvt_i32_f32_e32 v66, v68
	v_exp_f32_e32 v64, v64
	v_fmac_f32_e32 v67, 0x32a5705f, v77
	v_exp_f32_e32 v69, v69
	v_add_f32_e32 v68, v65, v67
	v_ldexp_f32 v81, v64, v66
	v_exp_f32_e32 v68, v68
	global_load_dwordx4 v[64:67], v[33:34], off
	v_cvt_i32_f32_e32 v33, v70
	v_cvt_i32_f32_e32 v34, v71
	v_ldexp_f32 v33, v69, v33
	v_ldexp_f32 v34, v68, v34
	global_load_dwordx4 v[68:71], v[31:32], off
	v_cndmask_b32_e64 v31, 0, v33, s0
	v_cmp_nlt_f32_e64 s0, 0x42b17218, v76
	v_cndmask_b32_e32 v32, 0, v34, vcc_lo
	v_cmp_nlt_f32_e32 vcc_lo, 0x42b17218, v77
	global_load_dwordx4 v[76:79], v[29:30], off
	v_cndmask_b32_e64 v29, 0, v81, s1
	v_cmp_nlt_f32_e64 s1, 0x42b17218, v80
	v_cndmask_b32_e64 v31, 0x7f800000, v31, s0
	v_cndmask_b32_e64 v30, 0x7f800000, v29, s1
	v_cndmask_b32_e32 v29, 0x7f800000, v32, vcc_lo
	v_cvt_f16_f32_e32 v32, v30
	ds_write_b16 v51, v32
	v_cvt_f16_f32_e32 v32, v31
	ds_write_b16 v51, v32 offset:64
	v_cvt_f16_f32_e32 v32, v29
	s_waitcnt vmcnt(3)
	ds_write_b128 v50, v[72:75]
	s_waitcnt vmcnt(2)
	ds_write_b128 v52, v[64:67]
	;; [unrolled: 2-line block ×4, first 2 shown]
	s_waitcnt lgkmcnt(0)
	s_barrier
	buffer_gl0_inv
	ds_read_b128 v[64:67], v1
	ds_read2_b64 v[68:71], v37 offset1:32
	v_mul_u32_u24_sdwa v32, v32, v57 dst_sel:DWORD dst_unused:UNUSED_PAD src0_sel:WORD_0 src1_sel:DWORD
	ds_read2_b64 v[76:79], v37 offset0:64 offset1:96
	ds_read_b128 v[72:75], v1 offset:16
	s_waitcnt lgkmcnt(3)
	v_mul_u32_u24_sdwa v33, v64, v57 dst_sel:DWORD dst_unused:UNUSED_PAD src0_sel:WORD_0 src1_sel:DWORD
	s_waitcnt lgkmcnt(2)
	v_pk_mul_f16 v34, v68, v33
	v_pk_mul_f16 v33, v69, v33
	v_pk_fma_f16 v34, v62, v32, v34
	v_pk_fma_f16 v32, v63, v32, v33
	v_mul_u32_u24_sdwa v33, v64, v57 dst_sel:DWORD dst_unused:UNUSED_PAD src0_sel:WORD_1 src1_sel:DWORD
	v_pk_fma_f16 v34, v70, v33, v34
	v_pk_fma_f16 v32, v71, v33, v32
	ds_read2_b64 v[68:71], v37 offset0:128 offset1:160
	v_mul_u32_u24_sdwa v33, v65, v57 dst_sel:DWORD dst_unused:UNUSED_PAD src0_sel:WORD_0 src1_sel:DWORD
	s_waitcnt lgkmcnt(2)
	v_pk_fma_f16 v34, v76, v33, v34
	v_pk_fma_f16 v32, v77, v33, v32
	v_mul_u32_u24_sdwa v33, v65, v57 dst_sel:DWORD dst_unused:UNUSED_PAD src0_sel:WORD_1 src1_sel:DWORD
	ds_read2_b64 v[62:65], v37 offset0:192 offset1:224
	v_pk_fma_f16 v34, v78, v33, v34
	v_pk_fma_f16 v32, v79, v33, v32
	v_mul_u32_u24_sdwa v33, v66, v57 dst_sel:DWORD dst_unused:UNUSED_PAD src0_sel:WORD_0 src1_sel:DWORD
	ds_read2_b64 v[76:79], v58 offset0:64 offset1:96
	s_waitcnt lgkmcnt(2)
	v_pk_fma_f16 v34, v68, v33, v34
	v_pk_fma_f16 v32, v69, v33, v32
	v_mul_u32_u24_sdwa v33, v66, v57 dst_sel:DWORD dst_unused:UNUSED_PAD src0_sel:WORD_1 src1_sel:DWORD
	v_mul_u32_u24_sdwa v66, v67, v57 dst_sel:DWORD dst_unused:UNUSED_PAD src0_sel:WORD_1 src1_sel:DWORD
	v_pk_fma_f16 v34, v70, v33, v34
	v_pk_fma_f16 v32, v71, v33, v32
	ds_read2_b64 v[68:71], v58 offset1:32
	v_mul_u32_u24_sdwa v33, v67, v57 dst_sel:DWORD dst_unused:UNUSED_PAD src0_sel:WORD_0 src1_sel:DWORD
	s_waitcnt lgkmcnt(2)
	v_pk_fma_f16 v34, v62, v33, v34
	v_pk_fma_f16 v32, v63, v33, v32
	;; [unrolled: 1-line block ×4, first 2 shown]
	v_mul_u32_u24_sdwa v34, v72, v57 dst_sel:DWORD dst_unused:UNUSED_PAD src0_sel:WORD_0 src1_sel:DWORD
	ds_read2_b64 v[62:65], v58 offset0:128 offset1:160
	s_waitcnt lgkmcnt(1)
	v_pk_fma_f16 v33, v68, v34, v33
	v_pk_fma_f16 v32, v69, v34, v32
	v_mul_u32_u24_sdwa v34, v72, v57 dst_sel:DWORD dst_unused:UNUSED_PAD src0_sel:WORD_1 src1_sel:DWORD
	ds_read2_b64 v[66:69], v58 offset0:192 offset1:224
	v_pk_fma_f16 v33, v70, v34, v33
	v_pk_fma_f16 v32, v71, v34, v32
	v_mul_u32_u24_sdwa v34, v73, v57 dst_sel:DWORD dst_unused:UNUSED_PAD src0_sel:WORD_0 src1_sel:DWORD
	v_pk_fma_f16 v33, v76, v34, v33
	v_pk_fma_f16 v32, v77, v34, v32
	v_mul_u32_u24_sdwa v34, v73, v57 dst_sel:DWORD dst_unused:UNUSED_PAD src0_sel:WORD_1 src1_sel:DWORD
	ds_read_b128 v[70:73], v1 offset:32
	v_pk_fma_f16 v33, v78, v34, v33
	v_pk_fma_f16 v32, v79, v34, v32
	v_mul_u32_u24_sdwa v34, v74, v57 dst_sel:DWORD dst_unused:UNUSED_PAD src0_sel:WORD_0 src1_sel:DWORD
	v_mul_u32_u24_sdwa v78, v75, v57 dst_sel:DWORD dst_unused:UNUSED_PAD src0_sel:WORD_1 src1_sel:DWORD
	s_waitcnt lgkmcnt(2)
	v_pk_fma_f16 v33, v62, v34, v33
	v_pk_fma_f16 v32, v63, v34, v32
	v_mul_u32_u24_sdwa v34, v74, v57 dst_sel:DWORD dst_unused:UNUSED_PAD src0_sel:WORD_1 src1_sel:DWORD
	v_pk_fma_f16 v33, v64, v34, v33
	v_pk_fma_f16 v32, v65, v34, v32
	ds_read2_b64 v[62:65], v59 offset1:32
	v_mul_u32_u24_sdwa v34, v75, v57 dst_sel:DWORD dst_unused:UNUSED_PAD src0_sel:WORD_0 src1_sel:DWORD
	ds_read2_b64 v[74:77], v59 offset0:64 offset1:96
	s_waitcnt lgkmcnt(3)
	v_pk_fma_f16 v33, v66, v34, v33
	v_pk_fma_f16 v32, v67, v34, v32
	v_pk_fma_f16 v33, v68, v78, v33
	v_pk_fma_f16 v32, v69, v78, v32
	ds_read_b128 v[66:69], v1 offset:48
	s_waitcnt lgkmcnt(3)
	v_mul_u32_u24_sdwa v34, v70, v57 dst_sel:DWORD dst_unused:UNUSED_PAD src0_sel:WORD_0 src1_sel:DWORD
	v_mul_u32_u24_sdwa v78, v73, v57 dst_sel:DWORD dst_unused:UNUSED_PAD src0_sel:WORD_1 src1_sel:DWORD
	s_waitcnt lgkmcnt(2)
	v_pk_fma_f16 v33, v62, v34, v33
	v_pk_fma_f16 v32, v63, v34, v32
	v_mul_u32_u24_sdwa v34, v70, v57 dst_sel:DWORD dst_unused:UNUSED_PAD src0_sel:WORD_1 src1_sel:DWORD
	v_pk_fma_f16 v33, v64, v34, v33
	v_pk_fma_f16 v32, v65, v34, v32
	ds_read2_b64 v[62:65], v59 offset0:128 offset1:160
	v_mul_u32_u24_sdwa v34, v71, v57 dst_sel:DWORD dst_unused:UNUSED_PAD src0_sel:WORD_0 src1_sel:DWORD
	s_waitcnt lgkmcnt(2)
	v_pk_fma_f16 v33, v74, v34, v33
	v_pk_fma_f16 v32, v75, v34, v32
	v_mul_u32_u24_sdwa v34, v71, v57 dst_sel:DWORD dst_unused:UNUSED_PAD src0_sel:WORD_1 src1_sel:DWORD
	v_pk_fma_f16 v33, v76, v34, v33
	v_pk_fma_f16 v32, v77, v34, v32
	ds_read2_b64 v[74:77], v59 offset0:192 offset1:224
	v_mul_u32_u24_sdwa v34, v72, v57 dst_sel:DWORD dst_unused:UNUSED_PAD src0_sel:WORD_0 src1_sel:DWORD
	s_waitcnt lgkmcnt(1)
	v_pk_fma_f16 v33, v62, v34, v33
	v_pk_fma_f16 v32, v63, v34, v32
	v_mul_u32_u24_sdwa v34, v72, v57 dst_sel:DWORD dst_unused:UNUSED_PAD src0_sel:WORD_1 src1_sel:DWORD
	v_pk_fma_f16 v33, v64, v34, v33
	v_pk_fma_f16 v32, v65, v34, v32
	ds_read2_b64 v[62:65], v60 offset1:32
	v_mul_u32_u24_sdwa v34, v73, v57 dst_sel:DWORD dst_unused:UNUSED_PAD src0_sel:WORD_0 src1_sel:DWORD
	ds_read2_b64 v[70:73], v60 offset0:64 offset1:96
	s_waitcnt lgkmcnt(2)
	v_pk_fma_f16 v33, v74, v34, v33
	v_pk_fma_f16 v32, v75, v34, v32
	v_mul_u32_u24_sdwa v34, v66, v57 dst_sel:DWORD dst_unused:UNUSED_PAD src0_sel:WORD_0 src1_sel:DWORD
	v_pk_fma_f16 v33, v76, v78, v33
	v_pk_fma_f16 v32, v77, v78, v32
	ds_read2_b64 v[74:77], v60 offset0:128 offset1:160
	s_waitcnt lgkmcnt(2)
	v_pk_fma_f16 v33, v62, v34, v33
	v_pk_fma_f16 v32, v63, v34, v32
	v_mul_u32_u24_sdwa v34, v66, v57 dst_sel:DWORD dst_unused:UNUSED_PAD src0_sel:WORD_1 src1_sel:DWORD
	v_pk_fma_f16 v33, v64, v34, v33
	v_pk_fma_f16 v32, v65, v34, v32
	v_mul_u32_u24_sdwa v34, v67, v57 dst_sel:DWORD dst_unused:UNUSED_PAD src0_sel:WORD_0 src1_sel:DWORD
	ds_read2_b64 v[62:65], v60 offset0:192 offset1:224
	s_waitcnt lgkmcnt(0)
	s_barrier
	buffer_gl0_inv
	v_pk_fma_f16 v33, v70, v34, v33
	v_pk_fma_f16 v32, v71, v34, v32
	v_mul_u32_u24_sdwa v34, v67, v57 dst_sel:DWORD dst_unused:UNUSED_PAD src0_sel:WORD_1 src1_sel:DWORD
	v_pk_fma_f16 v33, v72, v34, v33
	v_pk_fma_f16 v32, v73, v34, v32
	v_mul_u32_u24_sdwa v34, v68, v57 dst_sel:DWORD dst_unused:UNUSED_PAD src0_sel:WORD_0 src1_sel:DWORD
	s_clause 0x1
	global_load_dwordx4 v[70:73], v[27:28], off
	global_load_dwordx4 v[25:28], v[25:26], off
	v_pk_fma_f16 v33, v74, v34, v33
	v_pk_fma_f16 v32, v75, v34, v32
	v_mul_u32_u24_sdwa v34, v68, v57 dst_sel:DWORD dst_unused:UNUSED_PAD src0_sel:WORD_1 src1_sel:DWORD
	v_pk_fma_f16 v33, v76, v34, v33
	v_pk_fma_f16 v32, v77, v34, v32
	s_clause 0x1
	global_load_dwordx4 v[74:77], v[21:22], off
	global_load_dwordx4 v[78:81], v[23:24], off
	v_mul_u32_u24_sdwa v22, v69, v57 dst_sel:DWORD dst_unused:UNUSED_PAD src0_sel:WORD_0 src1_sel:DWORD
	v_mul_u32_u24_sdwa v23, v69, v57 dst_sel:DWORD dst_unused:UNUSED_PAD src0_sel:WORD_1 src1_sel:DWORD
	v_mov_b32_e32 v21, v61
	v_add_f32_e32 v61, v30, v31
	s_waitcnt vmcnt(3)
	ds_write_b128 v50, v[70:73]
	s_waitcnt vmcnt(2)
	ds_write_b128 v52, v[25:28]
	;; [unrolled: 2-line block ×4, first 2 shown]
	v_pk_fma_f16 v24, v62, v22, v33
	v_pk_fma_f16 v22, v63, v22, v32
	s_waitcnt lgkmcnt(0)
	s_barrier
	buffer_gl0_inv
	v_pk_fma_f16 v34, v64, v23, v24
	v_pk_fma_f16 v82, v65, v23, v22
	ds_read_b128 v[22:25], v1 offset:64
	ds_read2_b64 v[30:33], v37 offset1:32
	ds_read2_b64 v[62:65], v37 offset0:64 offset1:96
	ds_read2_b64 v[66:69], v37 offset0:128 offset1:160
	;; [unrolled: 1-line block ×3, first 2 shown]
	ds_read_b128 v[74:77], v1 offset:80
	v_fmac_f32_e32 v61, v21, v29
	s_waitcnt lgkmcnt(5)
	v_mul_u32_u24_sdwa v26, v22, v57 dst_sel:DWORD dst_unused:UNUSED_PAD src0_sel:WORD_0 src1_sel:DWORD
	v_mul_u32_u24_sdwa v22, v22, v57 dst_sel:DWORD dst_unused:UNUSED_PAD src0_sel:WORD_1 src1_sel:DWORD
	v_mul_u32_u24_sdwa v28, v25, v57 dst_sel:DWORD dst_unused:UNUSED_PAD src0_sel:WORD_0 src1_sel:DWORD
	s_waitcnt lgkmcnt(4)
	v_pk_fma_f16 v27, v30, v26, v34
	v_pk_fma_f16 v26, v31, v26, v82
	v_mul_u32_u24_sdwa v34, v25, v57 dst_sel:DWORD dst_unused:UNUSED_PAD src0_sel:WORD_1 src1_sel:DWORD
	v_pk_fma_f16 v27, v32, v22, v27
	v_pk_fma_f16 v22, v33, v22, v26
	v_mul_u32_u24_sdwa v26, v23, v57 dst_sel:DWORD dst_unused:UNUSED_PAD src0_sel:WORD_0 src1_sel:DWORD
	v_mul_u32_u24_sdwa v23, v23, v57 dst_sel:DWORD dst_unused:UNUSED_PAD src0_sel:WORD_1 src1_sel:DWORD
	ds_read2_b64 v[30:33], v58 offset1:32
	s_waitcnt lgkmcnt(4)
	v_pk_fma_f16 v27, v62, v26, v27
	v_pk_fma_f16 v22, v63, v26, v22
	;; [unrolled: 1-line block ×4, first 2 shown]
	v_mul_u32_u24_sdwa v23, v24, v57 dst_sel:DWORD dst_unused:UNUSED_PAD src0_sel:WORD_0 src1_sel:DWORD
	v_mul_u32_u24_sdwa v24, v24, v57 dst_sel:DWORD dst_unused:UNUSED_PAD src0_sel:WORD_1 src1_sel:DWORD
	ds_read2_b64 v[62:65], v58 offset0:64 offset1:96
	s_waitcnt lgkmcnt(4)
	v_pk_fma_f16 v26, v66, v23, v26
	v_pk_fma_f16 v22, v67, v23, v22
	;; [unrolled: 1-line block ×4, first 2 shown]
	ds_read2_b64 v[66:69], v58 offset0:128 offset1:160
	ds_read2_b64 v[22:25], v58 offset0:192 offset1:224
	s_waitcnt lgkmcnt(5)
	v_pk_fma_f16 v26, v70, v28, v26
	v_pk_fma_f16 v27, v71, v28, v27
	s_waitcnt lgkmcnt(4)
	v_mul_u32_u24_sdwa v28, v74, v57 dst_sel:DWORD dst_unused:UNUSED_PAD src0_sel:WORD_0 src1_sel:DWORD
	v_pk_fma_f16 v26, v72, v34, v26
	v_pk_fma_f16 v27, v73, v34, v27
	v_mul_u32_u24_sdwa v34, v74, v57 dst_sel:DWORD dst_unused:UNUSED_PAD src0_sel:WORD_1 src1_sel:DWORD
	ds_read_b128 v[70:73], v1 offset:96
	s_waitcnt lgkmcnt(4)
	v_pk_fma_f16 v26, v30, v28, v26
	v_pk_fma_f16 v27, v31, v28, v27
	v_mul_u32_u24_sdwa v28, v75, v57 dst_sel:DWORD dst_unused:UNUSED_PAD src0_sel:WORD_0 src1_sel:DWORD
	v_pk_fma_f16 v26, v32, v34, v26
	v_pk_fma_f16 v27, v33, v34, v27
	v_mul_u32_u24_sdwa v34, v75, v57 dst_sel:DWORD dst_unused:UNUSED_PAD src0_sel:WORD_1 src1_sel:DWORD
	ds_read2_b64 v[30:33], v59 offset1:32
	s_waitcnt lgkmcnt(4)
	v_pk_fma_f16 v26, v62, v28, v26
	v_pk_fma_f16 v27, v63, v28, v27
	v_mul_u32_u24_sdwa v28, v76, v57 dst_sel:DWORD dst_unused:UNUSED_PAD src0_sel:WORD_0 src1_sel:DWORD
	v_pk_fma_f16 v26, v64, v34, v26
	v_pk_fma_f16 v27, v65, v34, v27
	v_mul_u32_u24_sdwa v34, v76, v57 dst_sel:DWORD dst_unused:UNUSED_PAD src0_sel:WORD_1 src1_sel:DWORD
	ds_read2_b64 v[62:65], v59 offset0:64 offset1:96
	s_waitcnt lgkmcnt(4)
	v_pk_fma_f16 v26, v66, v28, v26
	v_pk_fma_f16 v27, v67, v28, v27
	v_mul_u32_u24_sdwa v28, v77, v57 dst_sel:DWORD dst_unused:UNUSED_PAD src0_sel:WORD_0 src1_sel:DWORD
	v_pk_fma_f16 v26, v68, v34, v26
	v_pk_fma_f16 v27, v69, v34, v27
	v_mul_u32_u24_sdwa v34, v77, v57 dst_sel:DWORD dst_unused:UNUSED_PAD src0_sel:WORD_1 src1_sel:DWORD
	ds_read2_b64 v[66:69], v59 offset0:128 offset1:160
	ds_read2_b64 v[74:77], v59 offset0:192 offset1:224
	s_waitcnt lgkmcnt(5)
	v_pk_fma_f16 v22, v22, v28, v26
	v_pk_fma_f16 v23, v23, v28, v27
	;; [unrolled: 1-line block ×4, first 2 shown]
	ds_read_b128 v[22:25], v1 offset:112
	s_waitcnt lgkmcnt(5)
	v_mul_u32_u24_sdwa v28, v70, v57 dst_sel:DWORD dst_unused:UNUSED_PAD src0_sel:WORD_0 src1_sel:DWORD
	v_mul_u32_u24_sdwa v34, v70, v57 dst_sel:DWORD dst_unused:UNUSED_PAD src0_sel:WORD_1 src1_sel:DWORD
	s_waitcnt lgkmcnt(4)
	v_pk_fma_f16 v26, v30, v28, v26
	v_pk_fma_f16 v27, v31, v28, v27
	v_mul_u32_u24_sdwa v28, v71, v57 dst_sel:DWORD dst_unused:UNUSED_PAD src0_sel:WORD_0 src1_sel:DWORD
	v_pk_fma_f16 v26, v32, v34, v26
	v_pk_fma_f16 v27, v33, v34, v27
	v_mul_u32_u24_sdwa v34, v71, v57 dst_sel:DWORD dst_unused:UNUSED_PAD src0_sel:WORD_1 src1_sel:DWORD
	ds_read2_b64 v[30:33], v60 offset1:32
	s_waitcnt lgkmcnt(4)
	v_pk_fma_f16 v26, v62, v28, v26
	v_pk_fma_f16 v27, v63, v28, v27
	v_mul_u32_u24_sdwa v28, v72, v57 dst_sel:DWORD dst_unused:UNUSED_PAD src0_sel:WORD_0 src1_sel:DWORD
	s_waitcnt lgkmcnt(1)
	v_mul_u32_u24_sdwa v21, v25, v57 dst_sel:DWORD dst_unused:UNUSED_PAD src0_sel:WORD_1 src1_sel:DWORD
	v_pk_fma_f16 v26, v64, v34, v26
	v_pk_fma_f16 v27, v65, v34, v27
	v_mul_u32_u24_sdwa v34, v72, v57 dst_sel:DWORD dst_unused:UNUSED_PAD src0_sel:WORD_1 src1_sel:DWORD
	ds_read2_b64 v[62:65], v60 offset0:64 offset1:96
	v_pk_fma_f16 v26, v66, v28, v26
	v_pk_fma_f16 v27, v67, v28, v27
	v_mul_u32_u24_sdwa v28, v73, v57 dst_sel:DWORD dst_unused:UNUSED_PAD src0_sel:WORD_0 src1_sel:DWORD
	v_pk_fma_f16 v26, v68, v34, v26
	v_pk_fma_f16 v27, v69, v34, v27
	v_mul_u32_u24_sdwa v34, v73, v57 dst_sel:DWORD dst_unused:UNUSED_PAD src0_sel:WORD_1 src1_sel:DWORD
	ds_read2_b64 v[66:69], v60 offset0:128 offset1:160
	ds_read2_b64 v[70:73], v60 offset0:192 offset1:224
	v_pk_fma_f16 v26, v74, v28, v26
	v_pk_fma_f16 v27, v75, v28, v27
	v_mul_u32_u24_sdwa v28, v22, v57 dst_sel:DWORD dst_unused:UNUSED_PAD src0_sel:WORD_0 src1_sel:DWORD
	v_mul_u32_u24_sdwa v22, v22, v57 dst_sel:DWORD dst_unused:UNUSED_PAD src0_sel:WORD_1 src1_sel:DWORD
	s_waitcnt lgkmcnt(0)
	v_pk_fma_f16 v26, v76, v34, v26
	v_pk_fma_f16 v27, v77, v34, v27
	v_mul_u32_u24_sdwa v34, v23, v57 dst_sel:DWORD dst_unused:UNUSED_PAD src0_sel:WORD_0 src1_sel:DWORD
	v_mul_u32_u24_sdwa v23, v23, v57 dst_sel:DWORD dst_unused:UNUSED_PAD src0_sel:WORD_1 src1_sel:DWORD
	s_barrier
	v_pk_fma_f16 v26, v30, v28, v26
	v_pk_fma_f16 v27, v31, v28, v27
	buffer_gl0_inv
	s_load_dword s0, s[6:7], 0x4
	v_mul_u32_u24_sdwa v74, v24, v57 dst_sel:DWORD dst_unused:UNUSED_PAD src0_sel:WORD_0 src1_sel:DWORD
	v_pk_fma_f16 v26, v32, v22, v26
	v_pk_fma_f16 v22, v33, v22, v27
	v_mul_u32_u24_sdwa v24, v24, v57 dst_sel:DWORD dst_unused:UNUSED_PAD src0_sel:WORD_1 src1_sel:DWORD
	v_mul_u32_u24_sdwa v28, v25, v57 dst_sel:DWORD dst_unused:UNUSED_PAD src0_sel:WORD_0 src1_sel:DWORD
	v_pk_fma_f16 v26, v62, v34, v26
	v_pk_fma_f16 v22, v63, v34, v22
	;; [unrolled: 1-line block ×6, first 2 shown]
	s_waitcnt lgkmcnt(0)
	s_lshl_b32 s0, s0, 6
	v_pk_fma_f16 v23, v68, v24, v23
	v_pk_fma_f16 v22, v69, v24, v22
	s_add_i32 s8, s0, s8
	s_cmp_ge_i32 s8, s30
	v_pk_fma_f16 v23, v70, v28, v23
	v_pk_fma_f16 v22, v71, v28, v22
	;; [unrolled: 1-line block ×4, first 2 shown]
	s_cbranch_scc0 .LBB30_9
; %bb.10:
	v_mov_b32_e32 v4, 32
	v_mov_b32_e32 v5, v39
.LBB30_11:
	v_cmp_lt_i32_e32 vcc_lo, v44, v4
	s_cmp_lg_u64 s[16:17], 0
	s_cselect_b32 s0, -1, 0
	s_cmp_eq_u32 s28, 0
	v_cndmask_b32_e32 v1, v5, v44, vcc_lo
	v_cmp_lt_i32_e32 vcc_lo, v43, v4
	s_cselect_b32 s1, -1, 0
	s_and_b32 s0, s1, s0
	v_lshlrev_b32_e32 v1, 2, v1
	v_cndmask_b32_e32 v3, v5, v43, vcc_lo
	v_cmp_lt_i32_e32 vcc_lo, v42, v4
	ds_bpermute_b32 v1, v1, v61
	v_lshlrev_b32_e32 v3, 2, v3
	v_cndmask_b32_e32 v6, v5, v42, vcc_lo
	v_cmp_lt_i32_e32 vcc_lo, v41, v4
	v_lshlrev_b32_e32 v6, 2, v6
	s_waitcnt lgkmcnt(0)
	v_add_f32_e32 v1, v61, v1
	ds_bpermute_b32 v3, v3, v1
	s_waitcnt lgkmcnt(0)
	v_add_f32_e32 v1, v1, v3
	ds_bpermute_b32 v3, v6, v1
	v_cndmask_b32_e32 v6, v5, v41, vcc_lo
	v_cmp_lt_i32_e32 vcc_lo, v40, v4
	v_lshlrev_b32_e32 v6, 2, v6
	v_cndmask_b32_e32 v4, v5, v40, vcc_lo
	s_and_b32 vcc_lo, exec_lo, s0
	v_lshlrev_b32_e32 v4, 2, v4
	s_waitcnt lgkmcnt(0)
	v_add_f32_e32 v1, v1, v3
	ds_bpermute_b32 v3, v6, v1
	s_waitcnt lgkmcnt(0)
	v_add_f32_e32 v1, v1, v3
	v_add_nc_u32_e32 v3, s33, v35
	ds_bpermute_b32 v4, v4, v1
	s_waitcnt lgkmcnt(0)
	v_add_f32_e32 v21, v1, v4
	s_cbranch_vccz .LBB30_13
; %bb.12:
	v_ashrrev_i32_e32 v4, 31, v3
	v_lshlrev_b64 v[4:5], 2, v[3:4]
	v_add_co_u32 v4, vcc_lo, s16, v4
	v_add_co_ci_u32_e64 v5, null, s17, v5, vcc_lo
	global_load_dword v1, v[4:5], off
	v_max_f32_e32 v4, v20, v20
	s_waitcnt vmcnt(0)
	v_max_f32_e32 v5, v1, v1
	v_max_f32_e32 v4, v4, v5
	v_sub_f32_e32 v5, v20, v4
	v_sub_f32_e32 v1, v1, v4
	v_mov_b32_e32 v20, v4
	v_mul_f32_e32 v6, 0x3fb8aa3b, v5
	v_mul_f32_e32 v7, 0x3fb8aa3b, v1
	v_cmp_ngt_f32_e32 vcc_lo, 0xc2ce8ed0, v5
	v_fma_f32 v8, 0x3fb8aa3b, v5, -v6
	v_rndne_f32_e32 v9, v6
	v_fma_f32 v10, 0x3fb8aa3b, v1, -v7
	v_rndne_f32_e32 v11, v7
	v_fmac_f32_e32 v8, 0x32a5705f, v5
	v_sub_f32_e32 v6, v6, v9
	v_fmac_f32_e32 v10, 0x32a5705f, v1
	v_sub_f32_e32 v7, v7, v11
	v_add_f32_e32 v6, v6, v8
	v_cvt_i32_f32_e32 v8, v9
	v_add_f32_e32 v7, v7, v10
	v_cvt_i32_f32_e32 v9, v11
	v_exp_f32_e32 v6, v6
	v_exp_f32_e32 v7, v7
	v_ldexp_f32 v6, v6, v8
	v_ldexp_f32 v7, v7, v9
	v_cndmask_b32_e32 v6, 0, v6, vcc_lo
	v_cmp_ngt_f32_e32 vcc_lo, 0xc2ce8ed0, v1
	v_cndmask_b32_e32 v7, 0, v7, vcc_lo
	v_cmp_nlt_f32_e32 vcc_lo, 0x42b17218, v5
	v_cndmask_b32_e32 v5, 0x7f800000, v6, vcc_lo
	v_cmp_nlt_f32_e32 vcc_lo, 0x42b17218, v1
	v_mov_b32_e32 v6, 0x10001
	v_cndmask_b32_e32 v1, 0x7f800000, v7, vcc_lo
	v_cvt_f16_f32_e32 v7, v5
	v_fmac_f32_e32 v1, v21, v5
	v_mul_u32_u24_sdwa v5, v7, v6 dst_sel:DWORD dst_unused:UNUSED_PAD src0_sel:WORD_0 src1_sel:DWORD
	v_mov_b32_e32 v21, v1
	v_pk_mul_f16 v62, v62, v5
	v_pk_mul_f16 v63, v63, v5
.LBB30_13:
	v_div_scale_f32 v4, null, v21, v21, 1.0
	v_div_scale_f32 v6, vcc_lo, 1.0, v21, 1.0
	s_load_dword s0, s[4:5], 0xd4
	v_rcp_f32_e32 v5, v4
	v_cvt_f32_f16_sdwa v9, v63 dst_sel:DWORD dst_unused:UNUSED_PAD src0_sel:WORD_1
	v_fma_f32 v1, -v4, v5, 1.0
	v_fmac_f32_e32 v5, v1, v5
	v_mad_u64_u32 v[1:2], null, s29, s26, v[2:3]
	s_waitcnt lgkmcnt(0)
	s_cmp_lg_u32 s0, 1
	v_mul_f32_e32 v7, v6, v5
	s_cselect_b32 s1, -1, 0
	v_mad_u64_u32 v[1:2], null, v1, s27, v[3:4]
	v_fma_f32 v8, -v4, v7, v6
	v_fmac_f32_e32 v7, v8, v5
	v_mad_u64_u32 v[1:2], null, s0, v1, s[28:29]
	v_cvt_f32_f16_e32 v8, v63
	v_fma_f32 v3, -v4, v7, v6
	v_cvt_f32_f16_e32 v4, v62
	v_div_fmas_f32 v2, v3, v5, v7
	v_mov_b32_e32 v3, 0
	v_cmp_eq_u32_e32 vcc_lo, 0, v0
	v_cvt_f32_f16_sdwa v5, v62 dst_sel:DWORD dst_unused:UNUSED_PAD src0_sel:WORD_1
	v_div_fixup_f32 v0, v2, v21, 1.0
	v_lshl_add_u32 v2, v1, 7, v36
	v_cndmask_b32_e64 v0, v0, 1.0, s1
	v_lshlrev_b64 v[6:7], 2, v[2:3]
	v_mul_f32_e32 v2, v0, v4
	v_mul_f32_e32 v3, v0, v5
	v_add_co_u32 v6, s0, s20, v6
	v_mul_f32_e32 v4, v0, v8
	v_mul_f32_e32 v5, v0, v9
	v_add_co_ci_u32_e64 v7, null, s21, v7, s0
	s_and_b32 s0, vcc_lo, s1
	global_store_dwordx4 v[6:7], v[2:5], off
	s_and_saveexec_b32 s1, s0
	s_cbranch_execz .LBB30_15
; %bb.14:
	v_ashrrev_i32_e32 v2, 31, v1
	v_lshlrev_b64 v[0:1], 3, v[1:2]
	v_add_co_u32 v0, vcc_lo, s22, v0
	v_add_co_ci_u32_e64 v1, null, s23, v1, vcc_lo
	global_store_dwordx2 v[0:1], v[20:21], off
.LBB30_15:
	s_endpgm
	.section	.rodata,"a",@progbits
	.p2align	6, 0x0
	.amdhsa_kernel _ZL15flash_attn_tileILi128ELi128ELi1ELi4ELb0EEvPKcS1_S1_S1_S1_PKiPfP15HIP_vector_typeIfLj2EEffffjfiS5_IjLj3EEiiiiiiiiiiiliiliiiiil
		.amdhsa_group_segment_fixed_size 10752
		.amdhsa_private_segment_fixed_size 0
		.amdhsa_kernarg_size 464
		.amdhsa_user_sgpr_count 6
		.amdhsa_user_sgpr_private_segment_buffer 1
		.amdhsa_user_sgpr_dispatch_ptr 0
		.amdhsa_user_sgpr_queue_ptr 0
		.amdhsa_user_sgpr_kernarg_segment_ptr 1
		.amdhsa_user_sgpr_dispatch_id 0
		.amdhsa_user_sgpr_flat_scratch_init 0
		.amdhsa_user_sgpr_private_segment_size 0
		.amdhsa_wavefront_size32 1
		.amdhsa_uses_dynamic_stack 0
		.amdhsa_system_sgpr_private_segment_wavefront_offset 0
		.amdhsa_system_sgpr_workgroup_id_x 1
		.amdhsa_system_sgpr_workgroup_id_y 1
		.amdhsa_system_sgpr_workgroup_id_z 1
		.amdhsa_system_sgpr_workgroup_info 0
		.amdhsa_system_vgpr_workitem_id 1
		.amdhsa_next_free_vgpr 84
		.amdhsa_next_free_sgpr 40
		.amdhsa_reserve_vcc 1
		.amdhsa_reserve_flat_scratch 0
		.amdhsa_float_round_mode_32 0
		.amdhsa_float_round_mode_16_64 0
		.amdhsa_float_denorm_mode_32 3
		.amdhsa_float_denorm_mode_16_64 3
		.amdhsa_dx10_clamp 1
		.amdhsa_ieee_mode 1
		.amdhsa_fp16_overflow 0
		.amdhsa_workgroup_processor_mode 1
		.amdhsa_memory_ordered 1
		.amdhsa_forward_progress 1
		.amdhsa_shared_vgpr_count 0
		.amdhsa_exception_fp_ieee_invalid_op 0
		.amdhsa_exception_fp_denorm_src 0
		.amdhsa_exception_fp_ieee_div_zero 0
		.amdhsa_exception_fp_ieee_overflow 0
		.amdhsa_exception_fp_ieee_underflow 0
		.amdhsa_exception_fp_ieee_inexact 0
		.amdhsa_exception_int_div_zero 0
	.end_amdhsa_kernel
	.section	.text._ZL15flash_attn_tileILi128ELi128ELi1ELi4ELb0EEvPKcS1_S1_S1_S1_PKiPfP15HIP_vector_typeIfLj2EEffffjfiS5_IjLj3EEiiiiiiiiiiiliiliiiiil,"axG",@progbits,_ZL15flash_attn_tileILi128ELi128ELi1ELi4ELb0EEvPKcS1_S1_S1_S1_PKiPfP15HIP_vector_typeIfLj2EEffffjfiS5_IjLj3EEiiiiiiiiiiiliiliiiiil,comdat
.Lfunc_end30:
	.size	_ZL15flash_attn_tileILi128ELi128ELi1ELi4ELb0EEvPKcS1_S1_S1_S1_PKiPfP15HIP_vector_typeIfLj2EEffffjfiS5_IjLj3EEiiiiiiiiiiiliiliiiiil, .Lfunc_end30-_ZL15flash_attn_tileILi128ELi128ELi1ELi4ELb0EEvPKcS1_S1_S1_S1_PKiPfP15HIP_vector_typeIfLj2EEffffjfiS5_IjLj3EEiiiiiiiiiiiliiliiiiil
                                        ; -- End function
	.set _ZL15flash_attn_tileILi128ELi128ELi1ELi4ELb0EEvPKcS1_S1_S1_S1_PKiPfP15HIP_vector_typeIfLj2EEffffjfiS5_IjLj3EEiiiiiiiiiiiliiliiiiil.num_vgpr, 84
	.set _ZL15flash_attn_tileILi128ELi128ELi1ELi4ELb0EEvPKcS1_S1_S1_S1_PKiPfP15HIP_vector_typeIfLj2EEffffjfiS5_IjLj3EEiiiiiiiiiiiliiliiiiil.num_agpr, 0
	.set _ZL15flash_attn_tileILi128ELi128ELi1ELi4ELb0EEvPKcS1_S1_S1_S1_PKiPfP15HIP_vector_typeIfLj2EEffffjfiS5_IjLj3EEiiiiiiiiiiiliiliiiiil.numbered_sgpr, 40
	.set _ZL15flash_attn_tileILi128ELi128ELi1ELi4ELb0EEvPKcS1_S1_S1_S1_PKiPfP15HIP_vector_typeIfLj2EEffffjfiS5_IjLj3EEiiiiiiiiiiiliiliiiiil.num_named_barrier, 0
	.set _ZL15flash_attn_tileILi128ELi128ELi1ELi4ELb0EEvPKcS1_S1_S1_S1_PKiPfP15HIP_vector_typeIfLj2EEffffjfiS5_IjLj3EEiiiiiiiiiiiliiliiiiil.private_seg_size, 0
	.set _ZL15flash_attn_tileILi128ELi128ELi1ELi4ELb0EEvPKcS1_S1_S1_S1_PKiPfP15HIP_vector_typeIfLj2EEffffjfiS5_IjLj3EEiiiiiiiiiiiliiliiiiil.uses_vcc, 1
	.set _ZL15flash_attn_tileILi128ELi128ELi1ELi4ELb0EEvPKcS1_S1_S1_S1_PKiPfP15HIP_vector_typeIfLj2EEffffjfiS5_IjLj3EEiiiiiiiiiiiliiliiiiil.uses_flat_scratch, 0
	.set _ZL15flash_attn_tileILi128ELi128ELi1ELi4ELb0EEvPKcS1_S1_S1_S1_PKiPfP15HIP_vector_typeIfLj2EEffffjfiS5_IjLj3EEiiiiiiiiiiiliiliiiiil.has_dyn_sized_stack, 0
	.set _ZL15flash_attn_tileILi128ELi128ELi1ELi4ELb0EEvPKcS1_S1_S1_S1_PKiPfP15HIP_vector_typeIfLj2EEffffjfiS5_IjLj3EEiiiiiiiiiiiliiliiiiil.has_recursion, 0
	.set _ZL15flash_attn_tileILi128ELi128ELi1ELi4ELb0EEvPKcS1_S1_S1_S1_PKiPfP15HIP_vector_typeIfLj2EEffffjfiS5_IjLj3EEiiiiiiiiiiiliiliiiiil.has_indirect_call, 0
	.section	.AMDGPU.csdata,"",@progbits
; Kernel info:
; codeLenInByte = 8892
; TotalNumSgprs: 42
; NumVgprs: 84
; ScratchSize: 0
; MemoryBound: 0
; FloatMode: 240
; IeeeMode: 1
; LDSByteSize: 10752 bytes/workgroup (compile time only)
; SGPRBlocks: 0
; VGPRBlocks: 10
; NumSGPRsForWavesPerEU: 42
; NumVGPRsForWavesPerEU: 84
; Occupancy: 10
; WaveLimiterHint : 1
; COMPUTE_PGM_RSRC2:SCRATCH_EN: 0
; COMPUTE_PGM_RSRC2:USER_SGPR: 6
; COMPUTE_PGM_RSRC2:TRAP_HANDLER: 0
; COMPUTE_PGM_RSRC2:TGID_X_EN: 1
; COMPUTE_PGM_RSRC2:TGID_Y_EN: 1
; COMPUTE_PGM_RSRC2:TGID_Z_EN: 1
; COMPUTE_PGM_RSRC2:TIDIG_COMP_CNT: 1
	.section	.text._ZL33flash_attn_stream_k_fixup_uniformILi128ELi1ELi4EEvPfPK15HIP_vector_typeIfLj2EEiiiiiiS1_IjLj3EES5_S5_,"axG",@progbits,_ZL33flash_attn_stream_k_fixup_uniformILi128ELi1ELi4EEvPfPK15HIP_vector_typeIfLj2EEiiiiiiS1_IjLj3EES5_S5_,comdat
	.globl	_ZL33flash_attn_stream_k_fixup_uniformILi128ELi1ELi4EEvPfPK15HIP_vector_typeIfLj2EEiiiiiiS1_IjLj3EES5_S5_ ; -- Begin function _ZL33flash_attn_stream_k_fixup_uniformILi128ELi1ELi4EEvPfPK15HIP_vector_typeIfLj2EEiiiiiiS1_IjLj3EES5_S5_
	.p2align	8
	.type	_ZL33flash_attn_stream_k_fixup_uniformILi128ELi1ELi4EEvPfPK15HIP_vector_typeIfLj2EEiiiiiiS1_IjLj3EES5_S5_,@function
_ZL33flash_attn_stream_k_fixup_uniformILi128ELi1ELi4EEvPfPK15HIP_vector_typeIfLj2EEiiiiiiS1_IjLj3EES5_S5_: ; @_ZL33flash_attn_stream_k_fixup_uniformILi128ELi1ELi4EEvPfPK15HIP_vector_typeIfLj2EEiiiiiiS1_IjLj3EES5_S5_
; %bb.0:
	s_clause 0x1
	s_load_dwordx8 s[12:19], s[4:5], 0x1c
	s_load_dwordx4 s[0:3], s[4:5], 0x3c
	s_waitcnt lgkmcnt(0)
	s_mul_hi_u32 s9, s15, s6
	s_add_i32 s9, s6, s9
	s_lshr_b32 s9, s9, s16
	s_mul_i32 s10, s9, s17
	s_sub_i32 s16, s6, s10
	s_load_dwordx2 s[10:11], s[4:5], 0x10
	s_mul_hi_u32 s15, s16, s18
	s_add_i32 s15, s16, s15
	s_lshr_b32 s15, s15, s19
	s_mul_i32 s0, s15, s0
	s_sub_i32 s0, s16, s0
	s_mul_hi_u32 s1, s0, s1
	s_add_i32 s1, s0, s1
	s_lshr_b32 s1, s1, s2
	s_mul_i32 s2, s1, s3
	s_lshl_b32 s17, s1, 2
	s_sub_i32 s16, s0, s2
	s_add_i32 s16, s16, s7
	s_waitcnt lgkmcnt(0)
	s_cmp_lt_i32 s16, s10
	s_cselect_b32 s0, -1, 0
	s_add_i32 s17, s17, s8
	s_cmp_lt_i32 s17, s13
	s_cselect_b32 s1, -1, 0
	s_and_b32 s0, s0, s1
	s_andn2_b32 vcc_lo, exec_lo, s0
	s_cbranch_vccnz .LBB31_6
; %bb.1:
	s_mul_i32 s9, s9, s10
	s_load_dwordx4 s[0:3], s[4:5], 0x0
	s_mul_i32 s15, s15, s13
	s_add_i32 s4, s16, s9
	s_add_i32 s5, s17, s15
	s_mul_i32 s4, s4, s11
	s_add_i32 s5, s5, s4
	s_mul_i32 s4, s14, s6
	v_lshl_or_b32 v1, s5, 7, v0
	s_add_i32 s10, s4, s14
	v_ashrrev_i32_e32 v2, 31, v1
	v_lshlrev_b64 v[1:2], 2, v[1:2]
	s_waitcnt lgkmcnt(0)
	v_add_co_u32 v1, vcc_lo, s0, v1
	v_add_co_ci_u32_e64 v2, null, s1, v2, vcc_lo
	s_add_i32 s0, s7, s10
	s_lshl_b32 s0, s0, 2
	global_load_dword v5, v[1:2], off
	s_add_i32 s0, s0, s8
	s_add_i32 s0, s0, -4
	s_ashr_i32 s1, s0, 31
	s_lshl_b64 s[0:1], s[0:1], 3
	s_add_u32 s0, s2, s0
	s_addc_u32 s1, s3, s1
	s_add_i32 s5, s10, -2
	s_load_dword s11, s[0:1], 0x4
	s_cmp_lt_i32 s5, s4
	s_cbranch_scc1 .LBB31_4
; %bb.2:
	s_lshl_b32 s16, s12, 4
	s_load_dword s13, s[0:1], 0x0
	s_ashr_i32 s17, s16, 31
	s_waitcnt lgkmcnt(0)
	v_mov_b32_e32 v6, s11
	s_lshl_b64 s[0:1], s[16:17], 2
	s_add_u32 s5, s2, s0
	s_addc_u32 s9, s3, s1
	s_add_i32 s6, s6, 1
	s_lshl_b32 s0, s8, 7
	s_lshl_b32 s1, s7, 9
	s_mul_i32 s6, s14, s6
	s_add_i32 s0, s0, s1
	s_lshl_b32 s1, s6, 9
	s_add_i32 s6, s10, -1
	s_add_i32 s0, s0, s1
	s_add_i32 s1, s7, s12
	v_or_b32_e32 v0, s0, v0
	s_add_i32 s1, s1, s10
	s_lshl_b32 s0, s1, 2
	v_add_nc_u32_e32 v3, 0xfffffc00, v0
	v_mov_b32_e32 v0, s13
	s_add_i32 s0, s8, s0
	s_add_i32 s0, s0, -8
.LBB31_3:                               ; =>This Inner Loop Header: Depth=1
	v_ashrrev_i32_e32 v4, 31, v3
	s_ashr_i32 s1, s0, 31
	s_lshl_b64 s[10:11], s[0:1], 3
	s_add_u32 s10, s2, s10
	v_lshlrev_b64 v[7:8], 2, v[3:4]
	s_addc_u32 s11, s3, s11
	v_add_nc_u32_e32 v3, 0xfffffe00, v3
	s_add_i32 s6, s6, -1
	s_add_i32 s0, s0, -4
	s_cmp_le_i32 s6, s4
	v_add_co_u32 v7, vcc_lo, s5, v7
	v_add_co_ci_u32_e64 v8, null, s9, v8, vcc_lo
	s_load_dwordx2 s[10:11], s[10:11], 0x0
	global_load_dword v4, v[7:8], off
	v_max_f32_e32 v7, v0, v0
	s_waitcnt lgkmcnt(0)
	v_max_f32_e64 v8, s10, s10
	v_max_f32_e32 v7, v7, v8
	v_sub_f32_e32 v8, s10, v7
	v_sub_f32_e32 v0, v0, v7
	v_mul_f32_e32 v9, 0x3fb8aa3b, v8
	v_mul_f32_e32 v12, 0x3fb8aa3b, v0
	v_cmp_ngt_f32_e32 vcc_lo, 0xc2ce8ed0, v8
	v_fma_f32 v10, 0x3fb8aa3b, v8, -v9
	v_rndne_f32_e32 v11, v9
	v_fma_f32 v13, 0x3fb8aa3b, v0, -v12
	v_rndne_f32_e32 v14, v12
	v_fmac_f32_e32 v10, 0x32a5705f, v8
	v_sub_f32_e32 v9, v9, v11
	v_fmac_f32_e32 v13, 0x32a5705f, v0
	v_cvt_i32_f32_e32 v11, v11
	v_add_f32_e32 v9, v9, v10
	v_sub_f32_e32 v10, v12, v14
	v_exp_f32_e32 v9, v9
	v_add_f32_e32 v10, v10, v13
	v_exp_f32_e32 v10, v10
	v_ldexp_f32 v9, v9, v11
	v_cvt_i32_f32_e32 v11, v14
	v_cndmask_b32_e32 v9, 0, v9, vcc_lo
	v_cmp_nlt_f32_e32 vcc_lo, 0x42b17218, v8
	v_ldexp_f32 v10, v10, v11
	v_mov_b32_e32 v11, v6
	v_cndmask_b32_e32 v9, 0x7f800000, v9, vcc_lo
	v_cmp_ngt_f32_e32 vcc_lo, 0xc2ce8ed0, v0
	v_cndmask_b32_e32 v10, 0, v10, vcc_lo
	v_cmp_le_f32_e32 vcc_lo, 0xc1a00000, v8
	v_cndmask_b32_e32 v8, 0, v9, vcc_lo
	v_cmp_nlt_f32_e32 vcc_lo, 0x42b17218, v0
	s_waitcnt vmcnt(1)
	v_mov_b32_e32 v9, v5
	v_cndmask_b32_e32 v5, 0x7f800000, v10, vcc_lo
	v_mul_f32_e32 v10, s11, v8
	v_cmp_le_f32_e32 vcc_lo, 0xc1a00000, v0
	v_mov_b32_e32 v0, v7
	v_mov_b32_e32 v6, v10
	v_cndmask_b32_e32 v12, 0, v5, vcc_lo
	v_fmac_f32_e32 v6, v11, v12
	s_waitcnt vmcnt(0)
	v_mul_f32_e32 v5, v4, v8
	v_fmac_f32_e32 v5, v9, v12
	s_cbranch_scc0 .LBB31_3
	s_branch .LBB31_5
.LBB31_4:
	s_waitcnt lgkmcnt(0)
	v_mov_b32_e32 v6, s11
.LBB31_5:
	s_waitcnt vmcnt(0)
	v_div_scale_f32 v0, null, v6, v6, v5
	v_rcp_f32_e32 v3, v0
	v_fma_f32 v4, -v0, v3, 1.0
	v_fmac_f32_e32 v3, v4, v3
	v_div_scale_f32 v4, vcc_lo, v5, v6, v5
	v_mul_f32_e32 v7, v4, v3
	v_fma_f32 v8, -v0, v7, v4
	v_fmac_f32_e32 v7, v8, v3
	v_fma_f32 v0, -v0, v7, v4
	v_div_fmas_f32 v0, v0, v3, v7
	v_div_fixup_f32 v0, v0, v6, v5
	global_store_dword v[1:2], v0, off
.LBB31_6:
	s_endpgm
	.section	.rodata,"a",@progbits
	.p2align	6, 0x0
	.amdhsa_kernel _ZL33flash_attn_stream_k_fixup_uniformILi128ELi1ELi4EEvPfPK15HIP_vector_typeIfLj2EEiiiiiiS1_IjLj3EES5_S5_
		.amdhsa_group_segment_fixed_size 0
		.amdhsa_private_segment_fixed_size 0
		.amdhsa_kernarg_size 76
		.amdhsa_user_sgpr_count 6
		.amdhsa_user_sgpr_private_segment_buffer 1
		.amdhsa_user_sgpr_dispatch_ptr 0
		.amdhsa_user_sgpr_queue_ptr 0
		.amdhsa_user_sgpr_kernarg_segment_ptr 1
		.amdhsa_user_sgpr_dispatch_id 0
		.amdhsa_user_sgpr_flat_scratch_init 0
		.amdhsa_user_sgpr_private_segment_size 0
		.amdhsa_wavefront_size32 1
		.amdhsa_uses_dynamic_stack 0
		.amdhsa_system_sgpr_private_segment_wavefront_offset 0
		.amdhsa_system_sgpr_workgroup_id_x 1
		.amdhsa_system_sgpr_workgroup_id_y 1
		.amdhsa_system_sgpr_workgroup_id_z 1
		.amdhsa_system_sgpr_workgroup_info 0
		.amdhsa_system_vgpr_workitem_id 0
		.amdhsa_next_free_vgpr 15
		.amdhsa_next_free_sgpr 20
		.amdhsa_reserve_vcc 1
		.amdhsa_reserve_flat_scratch 0
		.amdhsa_float_round_mode_32 0
		.amdhsa_float_round_mode_16_64 0
		.amdhsa_float_denorm_mode_32 3
		.amdhsa_float_denorm_mode_16_64 3
		.amdhsa_dx10_clamp 1
		.amdhsa_ieee_mode 1
		.amdhsa_fp16_overflow 0
		.amdhsa_workgroup_processor_mode 1
		.amdhsa_memory_ordered 1
		.amdhsa_forward_progress 1
		.amdhsa_shared_vgpr_count 0
		.amdhsa_exception_fp_ieee_invalid_op 0
		.amdhsa_exception_fp_denorm_src 0
		.amdhsa_exception_fp_ieee_div_zero 0
		.amdhsa_exception_fp_ieee_overflow 0
		.amdhsa_exception_fp_ieee_underflow 0
		.amdhsa_exception_fp_ieee_inexact 0
		.amdhsa_exception_int_div_zero 0
	.end_amdhsa_kernel
	.section	.text._ZL33flash_attn_stream_k_fixup_uniformILi128ELi1ELi4EEvPfPK15HIP_vector_typeIfLj2EEiiiiiiS1_IjLj3EES5_S5_,"axG",@progbits,_ZL33flash_attn_stream_k_fixup_uniformILi128ELi1ELi4EEvPfPK15HIP_vector_typeIfLj2EEiiiiiiS1_IjLj3EES5_S5_,comdat
.Lfunc_end31:
	.size	_ZL33flash_attn_stream_k_fixup_uniformILi128ELi1ELi4EEvPfPK15HIP_vector_typeIfLj2EEiiiiiiS1_IjLj3EES5_S5_, .Lfunc_end31-_ZL33flash_attn_stream_k_fixup_uniformILi128ELi1ELi4EEvPfPK15HIP_vector_typeIfLj2EEiiiiiiS1_IjLj3EES5_S5_
                                        ; -- End function
	.set _ZL33flash_attn_stream_k_fixup_uniformILi128ELi1ELi4EEvPfPK15HIP_vector_typeIfLj2EEiiiiiiS1_IjLj3EES5_S5_.num_vgpr, 15
	.set _ZL33flash_attn_stream_k_fixup_uniformILi128ELi1ELi4EEvPfPK15HIP_vector_typeIfLj2EEiiiiiiS1_IjLj3EES5_S5_.num_agpr, 0
	.set _ZL33flash_attn_stream_k_fixup_uniformILi128ELi1ELi4EEvPfPK15HIP_vector_typeIfLj2EEiiiiiiS1_IjLj3EES5_S5_.numbered_sgpr, 20
	.set _ZL33flash_attn_stream_k_fixup_uniformILi128ELi1ELi4EEvPfPK15HIP_vector_typeIfLj2EEiiiiiiS1_IjLj3EES5_S5_.num_named_barrier, 0
	.set _ZL33flash_attn_stream_k_fixup_uniformILi128ELi1ELi4EEvPfPK15HIP_vector_typeIfLj2EEiiiiiiS1_IjLj3EES5_S5_.private_seg_size, 0
	.set _ZL33flash_attn_stream_k_fixup_uniformILi128ELi1ELi4EEvPfPK15HIP_vector_typeIfLj2EEiiiiiiS1_IjLj3EES5_S5_.uses_vcc, 1
	.set _ZL33flash_attn_stream_k_fixup_uniformILi128ELi1ELi4EEvPfPK15HIP_vector_typeIfLj2EEiiiiiiS1_IjLj3EES5_S5_.uses_flat_scratch, 0
	.set _ZL33flash_attn_stream_k_fixup_uniformILi128ELi1ELi4EEvPfPK15HIP_vector_typeIfLj2EEiiiiiiS1_IjLj3EES5_S5_.has_dyn_sized_stack, 0
	.set _ZL33flash_attn_stream_k_fixup_uniformILi128ELi1ELi4EEvPfPK15HIP_vector_typeIfLj2EEiiiiiiS1_IjLj3EES5_S5_.has_recursion, 0
	.set _ZL33flash_attn_stream_k_fixup_uniformILi128ELi1ELi4EEvPfPK15HIP_vector_typeIfLj2EEiiiiiiS1_IjLj3EES5_S5_.has_indirect_call, 0
	.section	.AMDGPU.csdata,"",@progbits
; Kernel info:
; codeLenInByte = 824
; TotalNumSgprs: 22
; NumVgprs: 15
; ScratchSize: 0
; MemoryBound: 0
; FloatMode: 240
; IeeeMode: 1
; LDSByteSize: 0 bytes/workgroup (compile time only)
; SGPRBlocks: 0
; VGPRBlocks: 1
; NumSGPRsForWavesPerEU: 22
; NumVGPRsForWavesPerEU: 15
; Occupancy: 16
; WaveLimiterHint : 0
; COMPUTE_PGM_RSRC2:SCRATCH_EN: 0
; COMPUTE_PGM_RSRC2:USER_SGPR: 6
; COMPUTE_PGM_RSRC2:TRAP_HANDLER: 0
; COMPUTE_PGM_RSRC2:TGID_X_EN: 1
; COMPUTE_PGM_RSRC2:TGID_Y_EN: 1
; COMPUTE_PGM_RSRC2:TGID_Z_EN: 1
; COMPUTE_PGM_RSRC2:TIDIG_COMP_CNT: 0
	.section	.text._ZL33flash_attn_stream_k_fixup_generalILi128ELi1ELi4EEvPfPK15HIP_vector_typeIfLj2EEiiiiS1_IjLj3EES5_S5_S5_,"axG",@progbits,_ZL33flash_attn_stream_k_fixup_generalILi128ELi1ELi4EEvPfPK15HIP_vector_typeIfLj2EEiiiiS1_IjLj3EES5_S5_S5_,comdat
	.globl	_ZL33flash_attn_stream_k_fixup_generalILi128ELi1ELi4EEvPfPK15HIP_vector_typeIfLj2EEiiiiS1_IjLj3EES5_S5_S5_ ; -- Begin function _ZL33flash_attn_stream_k_fixup_generalILi128ELi1ELi4EEvPfPK15HIP_vector_typeIfLj2EEiiiiS1_IjLj3EES5_S5_S5_
	.p2align	8
	.type	_ZL33flash_attn_stream_k_fixup_generalILi128ELi1ELi4EEvPfPK15HIP_vector_typeIfLj2EEiiiiS1_IjLj3EES5_S5_S5_,@function
_ZL33flash_attn_stream_k_fixup_generalILi128ELi1ELi4EEvPfPK15HIP_vector_typeIfLj2EEiiiiS1_IjLj3EES5_S5_S5_: ; @_ZL33flash_attn_stream_k_fixup_generalILi128ELi1ELi4EEvPfPK15HIP_vector_typeIfLj2EEiiiiS1_IjLj3EES5_S5_S5_
; %bb.0:
	s_clause 0x1
	s_load_dwordx4 s[0:3], s[4:5], 0x10
	s_load_dword s9, s[4:5], 0x50
	s_mov_b32 s16, 0
	s_waitcnt lgkmcnt(0)
	s_mul_hi_i32 s17, s3, s6
	s_mul_i32 s18, s3, s6
	s_cmp_lg_u64 s[16:17], 0
	s_cbranch_scc0 .LBB32_21
; %bb.1:
	s_add_u32 s10, s9, 0
	s_addc_u32 s11, 0, 0
	s_xor_b64 s[10:11], s[10:11], 0
	v_cvt_f32_u32_e32 v1, s10
	v_cvt_f32_u32_e32 v2, s11
	s_sub_u32 s14, 0, s10
	s_subb_u32 s15, 0, s11
	v_fmamk_f32 v1, v2, 0x4f800000, v1
	v_rcp_f32_e32 v1, v1
	v_mul_f32_e32 v1, 0x5f7ffffc, v1
	v_mul_f32_e32 v2, 0x2f800000, v1
	v_trunc_f32_e32 v2, v2
	v_fmamk_f32 v1, v2, 0xcf800000, v1
	v_cvt_u32_f32_e32 v2, v2
	v_cvt_u32_f32_e32 v1, v1
	v_readfirstlane_b32 s12, v2
	v_readfirstlane_b32 s13, v1
	s_mul_i32 s19, s14, s12
	s_mul_hi_u32 s21, s14, s13
	s_mul_i32 s20, s15, s13
	s_add_i32 s19, s21, s19
	s_mul_i32 s22, s14, s13
	s_add_i32 s19, s19, s20
	s_mul_hi_u32 s21, s13, s22
	s_mul_i32 s24, s13, s19
	s_mul_hi_u32 s23, s12, s22
	s_mul_i32 s20, s12, s22
	s_mul_hi_u32 s22, s13, s19
	s_add_u32 s21, s21, s24
	s_addc_u32 s22, 0, s22
	s_mul_hi_u32 s25, s12, s19
	s_add_u32 s20, s21, s20
	s_mul_i32 s19, s12, s19
	s_addc_u32 s20, s22, s23
	s_addc_u32 s21, s25, 0
	s_add_u32 s19, s20, s19
	s_addc_u32 s20, 0, s21
	s_add_u32 s13, s13, s19
	s_cselect_b32 s19, -1, 0
	s_mul_hi_u32 s21, s14, s13
	s_cmp_lg_u32 s19, 0
	s_mul_i32 s19, s14, s13
	s_addc_u32 s12, s12, s20
	s_mul_i32 s15, s15, s13
	s_mul_i32 s14, s14, s12
	s_mul_hi_u32 s20, s13, s19
	s_add_i32 s14, s21, s14
	s_mul_hi_u32 s21, s12, s19
	s_add_i32 s14, s14, s15
	s_mul_i32 s15, s12, s19
	s_mul_i32 s23, s13, s14
	s_mul_hi_u32 s22, s13, s14
	s_add_u32 s20, s20, s23
	s_addc_u32 s22, 0, s22
	s_mul_hi_u32 s19, s12, s14
	s_add_u32 s15, s20, s15
	s_mul_i32 s14, s12, s14
	s_addc_u32 s15, s22, s21
	s_addc_u32 s19, s19, 0
	s_add_u32 s14, s15, s14
	s_addc_u32 s15, 0, s19
	s_add_u32 s19, s13, s14
	s_cselect_b32 s13, -1, 0
	s_cmp_lg_u32 s13, 0
	s_addc_u32 s20, s12, s15
	s_ashr_i32 s12, s17, 31
	s_add_u32 s14, s18, s12
	s_mov_b32 s13, s12
	s_addc_u32 s15, s17, s12
	s_xor_b64 s[14:15], s[14:15], s[12:13]
	s_mul_i32 s21, s14, s20
	s_mul_hi_u32 s22, s14, s19
	s_mul_hi_u32 s17, s14, s20
	;; [unrolled: 1-line block ×3, first 2 shown]
	s_mul_i32 s19, s15, s19
	s_add_u32 s21, s22, s21
	s_addc_u32 s17, 0, s17
	s_mul_hi_u32 s23, s15, s20
	s_add_u32 s19, s21, s19
	s_mul_i32 s20, s15, s20
	s_addc_u32 s17, s17, s24
	s_addc_u32 s19, s23, 0
	s_add_u32 s17, s17, s20
	s_addc_u32 s19, 0, s19
	s_mul_hi_u32 s20, s10, s17
	s_mul_i32 s21, s10, s19
	s_mul_i32 s22, s11, s17
	s_add_i32 s20, s20, s21
	s_mul_i32 s21, s10, s17
	s_add_i32 s20, s20, s22
	s_sub_i32 s22, s15, s20
	s_sub_u32 s14, s14, s21
	s_cselect_b32 s21, -1, 0
	s_cmp_lg_u32 s21, 0
	s_subb_u32 s22, s22, s11
	s_sub_u32 s23, s14, s10
	s_cselect_b32 s24, -1, 0
	s_cmp_lg_u32 s24, 0
	s_subb_u32 s22, s22, 0
	s_cmp_ge_u32 s22, s11
	s_cselect_b32 s24, -1, 0
	s_cmp_ge_u32 s23, s10
	s_cselect_b32 s23, -1, 0
	s_cmp_eq_u32 s22, s11
	s_cselect_b32 s22, s23, s24
	s_add_u32 s23, s17, 1
	s_addc_u32 s24, s19, 0
	s_add_u32 s25, s17, 2
	s_addc_u32 s26, s19, 0
	s_cmp_lg_u32 s22, 0
	s_cselect_b32 s22, s25, s23
	s_cselect_b32 s23, s26, s24
	s_cmp_lg_u32 s21, 0
	s_subb_u32 s15, s15, s20
	s_cmp_ge_u32 s15, s11
	s_cselect_b32 s20, -1, 0
	s_cmp_ge_u32 s14, s10
	s_cselect_b32 s10, -1, 0
	s_cmp_eq_u32 s15, s11
	s_cselect_b32 s10, s10, s20
	s_cmp_lg_u32 s10, 0
	s_cselect_b32 s11, s23, s19
	s_cselect_b32 s10, s22, s17
	s_xor_b64 s[12:13], s[12:13], 0
	s_xor_b64 s[10:11], s[10:11], s[12:13]
	s_sub_u32 s10, s10, s12
	s_load_dwordx4 s[12:15], s[4:5], 0x44
	s_andn2_b32 vcc_lo, exec_lo, s16
	s_cbranch_vccnz .LBB32_3
.LBB32_2:
	v_cvt_f32_u32_e32 v1, s9
	s_sub_i32 s11, 0, s9
	v_rcp_iflag_f32_e32 v1, v1
	v_mul_f32_e32 v1, 0x4f7ffffe, v1
	v_cvt_u32_f32_e32 v1, v1
	v_readfirstlane_b32 s10, v1
	s_mul_i32 s11, s11, s10
	s_mul_hi_u32 s11, s10, s11
	s_add_i32 s10, s10, s11
	s_mul_hi_u32 s10, s18, s10
	s_mul_i32 s11, s10, s9
	s_waitcnt lgkmcnt(0)
	s_add_i32 s15, s10, 1
	s_sub_i32 s11, s18, s11
	s_sub_i32 s16, s11, s9
	s_cmp_ge_u32 s11, s9
	s_cselect_b32 s10, s15, s10
	s_cselect_b32 s11, s16, s11
	s_add_i32 s15, s10, 1
	s_cmp_ge_u32 s11, s9
	s_cselect_b32 s10, s15, s10
.LBB32_3:
	s_add_i32 s11, s6, 1
	s_mov_b32 s16, 0
	s_mul_hi_i32 s17, s3, s11
	s_mul_i32 s11, s3, s11
	s_cmp_lg_u64 s[16:17], 0
	s_cbranch_scc0 .LBB32_22
; %bb.4:
	s_add_u32 s18, s9, 0
	s_addc_u32 s19, 0, 0
	s_xor_b64 s[18:19], s[18:19], 0
	v_cvt_f32_u32_e32 v1, s18
	v_cvt_f32_u32_e32 v2, s19
	s_sub_u32 s21, 0, s18
	s_subb_u32 s22, 0, s19
	v_fmamk_f32 v1, v2, 0x4f800000, v1
	v_rcp_f32_e32 v1, v1
	v_mul_f32_e32 v1, 0x5f7ffffc, v1
	v_mul_f32_e32 v2, 0x2f800000, v1
	v_trunc_f32_e32 v2, v2
	v_fmamk_f32 v1, v2, 0xcf800000, v1
	v_cvt_u32_f32_e32 v2, v2
	v_cvt_u32_f32_e32 v1, v1
	s_waitcnt lgkmcnt(0)
	v_readfirstlane_b32 s15, v2
	v_readfirstlane_b32 s20, v1
	s_mul_i32 s23, s21, s15
	s_mul_hi_u32 s25, s21, s20
	s_mul_i32 s24, s22, s20
	s_add_i32 s23, s25, s23
	s_mul_i32 s26, s21, s20
	s_add_i32 s23, s23, s24
	s_mul_hi_u32 s25, s20, s26
	s_mul_i32 s28, s20, s23
	s_mul_hi_u32 s27, s15, s26
	s_mul_i32 s24, s15, s26
	s_mul_hi_u32 s26, s20, s23
	s_add_u32 s25, s25, s28
	s_addc_u32 s26, 0, s26
	s_mul_hi_u32 s29, s15, s23
	s_add_u32 s24, s25, s24
	s_mul_i32 s23, s15, s23
	s_addc_u32 s24, s26, s27
	s_addc_u32 s25, s29, 0
	s_add_u32 s23, s24, s23
	s_addc_u32 s24, 0, s25
	s_add_u32 s20, s20, s23
	s_cselect_b32 s23, -1, 0
	s_mul_hi_u32 s25, s21, s20
	s_cmp_lg_u32 s23, 0
	s_mul_i32 s23, s21, s20
	s_addc_u32 s15, s15, s24
	s_mul_i32 s22, s22, s20
	s_mul_i32 s21, s21, s15
	s_mul_hi_u32 s24, s20, s23
	s_add_i32 s21, s25, s21
	s_mul_hi_u32 s25, s15, s23
	s_add_i32 s21, s21, s22
	s_mul_i32 s22, s15, s23
	s_mul_i32 s27, s20, s21
	s_mul_hi_u32 s26, s20, s21
	s_add_u32 s24, s24, s27
	s_addc_u32 s26, 0, s26
	s_mul_hi_u32 s23, s15, s21
	s_add_u32 s22, s24, s22
	s_mul_i32 s21, s15, s21
	s_addc_u32 s22, s26, s25
	s_addc_u32 s23, s23, 0
	s_add_u32 s21, s22, s21
	s_addc_u32 s22, 0, s23
	s_add_u32 s24, s20, s21
	s_cselect_b32 s20, -1, 0
	s_cmp_lg_u32 s20, 0
	s_addc_u32 s15, s15, s22
	s_ashr_i32 s20, s17, 31
	s_add_u32 s22, s11, s20
	s_mov_b32 s21, s20
	s_addc_u32 s23, s17, s20
	s_xor_b64 s[22:23], s[22:23], s[20:21]
	s_mul_i32 s25, s22, s15
	s_mul_hi_u32 s26, s22, s24
	s_mul_hi_u32 s17, s22, s15
	;; [unrolled: 1-line block ×3, first 2 shown]
	s_mul_i32 s24, s23, s24
	s_add_u32 s25, s26, s25
	s_addc_u32 s17, 0, s17
	s_mul_hi_u32 s27, s23, s15
	s_add_u32 s24, s25, s24
	s_mul_i32 s15, s23, s15
	s_addc_u32 s17, s17, s28
	s_addc_u32 s24, s27, 0
	s_add_u32 s15, s17, s15
	s_addc_u32 s17, 0, s24
	s_mul_hi_u32 s24, s18, s15
	s_mul_i32 s25, s18, s17
	s_mul_i32 s26, s19, s15
	s_add_i32 s24, s24, s25
	s_mul_i32 s25, s18, s15
	s_add_i32 s24, s24, s26
	s_sub_i32 s26, s23, s24
	s_sub_u32 s22, s22, s25
	s_cselect_b32 s25, -1, 0
	s_cmp_lg_u32 s25, 0
	s_subb_u32 s26, s26, s19
	s_sub_u32 s27, s22, s18
	s_cselect_b32 s28, -1, 0
	s_cmp_lg_u32 s28, 0
	s_subb_u32 s26, s26, 0
	s_cmp_ge_u32 s26, s19
	s_cselect_b32 s28, -1, 0
	s_cmp_ge_u32 s27, s18
	s_cselect_b32 s27, -1, 0
	s_cmp_eq_u32 s26, s19
	s_cselect_b32 s26, s27, s28
	s_add_u32 s27, s15, 1
	s_addc_u32 s28, s17, 0
	s_add_u32 s29, s15, 2
	s_addc_u32 s30, s17, 0
	s_cmp_lg_u32 s26, 0
	s_cselect_b32 s26, s29, s27
	s_cselect_b32 s27, s30, s28
	s_cmp_lg_u32 s25, 0
	s_subb_u32 s23, s23, s24
	s_cmp_ge_u32 s23, s19
	s_cselect_b32 s24, -1, 0
	s_cmp_ge_u32 s22, s18
	s_cselect_b32 s18, -1, 0
	s_cmp_eq_u32 s23, s19
	s_cselect_b32 s18, s18, s24
	s_cmp_lg_u32 s18, 0
	s_cselect_b32 s19, s27, s17
	s_cselect_b32 s18, s26, s15
	s_xor_b64 s[20:21], s[20:21], 0
	s_xor_b64 s[18:19], s[18:19], s[20:21]
	s_sub_u32 s18, s18, s20
	s_andn2_b32 vcc_lo, exec_lo, s16
	s_cbranch_vccnz .LBB32_6
.LBB32_5:
	v_cvt_f32_u32_e32 v1, s9
	s_sub_i32 s16, 0, s9
	v_rcp_iflag_f32_e32 v1, v1
	v_mul_f32_e32 v1, 0x4f7ffffe, v1
	v_cvt_u32_f32_e32 v1, v1
	s_waitcnt lgkmcnt(0)
	v_readfirstlane_b32 s15, v1
	s_mul_i32 s16, s16, s15
	s_mul_hi_u32 s16, s15, s16
	s_add_i32 s15, s15, s16
	s_mul_hi_u32 s15, s11, s15
	s_mul_i32 s16, s15, s9
	s_sub_i32 s11, s11, s16
	s_add_i32 s16, s15, 1
	s_sub_i32 s17, s11, s9
	s_cmp_ge_u32 s11, s9
	s_cselect_b32 s15, s16, s15
	s_cselect_b32 s11, s17, s11
	s_add_i32 s16, s15, 1
	s_cmp_ge_u32 s11, s9
	s_cselect_b32 s18, s16, s15
.LBB32_6:
	s_cmp_eq_u32 s10, s18
	s_waitcnt lgkmcnt(0)
	s_mul_hi_u32 s11, s10, s12
	s_cselect_b32 s15, -1, 0
	s_add_i32 s11, s11, s10
	s_lshr_b32 s11, s11, s13
	s_mul_i32 s16, s11, s14
	s_cmp_eq_u32 s16, s10
	s_mul_hi_u32 s16, s18, s12
	s_cselect_b32 s17, -1, 0
	s_add_i32 s16, s16, s18
	s_lshr_b32 s16, s16, s13
	s_cmp_eq_u32 s11, s16
	s_mul_i32 s16, s16, s14
	s_cselect_b32 s19, -1, 0
	s_cmp_lg_u32 s16, s18
	s_cselect_b32 s16, -1, 0
	s_or_b32 s15, s15, s17
	s_and_b32 s16, s19, s16
	s_or_b32 s15, s15, s16
	s_and_b32 vcc_lo, exec_lo, s15
	s_cbranch_vccnz .LBB32_24
; %bb.7:
	s_load_dwordx8 s[16:23], s[4:5], 0x20
	s_waitcnt lgkmcnt(0)
	s_mul_hi_u32 s15, s10, s16
	s_load_dword s16, s[4:5], 0x40
	s_add_i32 s15, s15, s10
	s_lshr_b32 s15, s15, s17
	s_mul_i32 s17, s15, s18
	s_sub_i32 s17, s10, s17
	s_mul_hi_u32 s18, s17, s19
	s_add_i32 s18, s17, s18
	s_lshr_b32 s20, s18, s20
	s_mul_i32 s18, s20, s21
	s_sub_i32 s17, s17, s18
	s_mul_hi_u32 s18, s17, s22
	s_add_i32 s18, s17, s18
	s_lshr_b32 s18, s18, s23
	s_waitcnt lgkmcnt(0)
	s_mul_i32 s16, s18, s16
	s_lshl_b32 s22, s18, 2
	s_sub_i32 s16, s17, s16
	s_mul_hi_u32 s17, s16, s12
	s_add_i32 s16, s16, s17
	s_lshr_b32 s21, s16, s13
	s_add_i32 s21, s21, s7
	s_cmp_lt_i32 s21, s0
	s_cselect_b32 s16, -1, 0
	s_add_i32 s22, s22, s8
	s_cmp_lt_i32 s22, s2
	s_cselect_b32 s17, -1, 0
	s_and_b32 s16, s16, s17
	s_andn2_b32 vcc_lo, exec_lo, s16
	s_cbranch_vccnz .LBB32_24
; %bb.8:
	s_load_dwordx4 s[16:19], s[4:5], 0x0
	s_mov_b32 s4, 0
	s_lshl_b32 s24, s9, 4
	s_mov_b32 s25, s4
	s_mul_i32 s0, s15, s0
	s_lshl_b64 s[24:25], s[24:25], 2
	s_mul_i32 s20, s20, s2
	v_cvt_f32_u32_e32 v4, s9
	v_rcp_iflag_f32_e32 v4, v4
	s_waitcnt lgkmcnt(0)
	s_add_u32 s2, s18, s24
	s_addc_u32 s15, s19, s25
	s_add_i32 s0, s21, s0
	s_add_i32 s5, s22, s20
	s_mul_i32 s0, s0, s1
	v_mul_f32_e32 v4, 0x4f7ffffe, v4
	s_add_i32 s5, s5, s0
	s_add_i32 s0, s7, s6
	v_lshl_or_b32 v1, s5, 7, v0
	s_lshl_b32 s0, s0, 2
	v_lshl_or_b32 v0, s8, 7, v0
	s_add_i32 s0, s0, s8
	v_cvt_u32_f32_e32 v4, v4
	v_ashrrev_i32_e32 v2, 31, v1
	s_ashr_i32 s1, s0, 31
	s_lshl_b64 s[0:1], s[0:1], 3
	v_lshlrev_b64 v[1:2], 2, v[1:2]
	s_add_u32 s0, s18, s0
	s_addc_u32 s1, s19, s1
	s_add_i32 s20, s6, -1
	s_load_dwordx2 s[0:1], s[0:1], 0x0
	s_sub_i32 s6, 0, s9
	v_add_co_u32 v1, vcc_lo, s16, v1
	v_add_co_ci_u32_e64 v2, null, s17, v2, vcc_lo
	global_load_dword v3, v[1:2], off
	s_waitcnt lgkmcnt(0)
	v_mov_b32_e32 v5, s1
	v_mov_b32_e32 v6, s0
.LBB32_9:                               ; =>This Inner Loop Header: Depth=1
	s_mul_hi_i32 s5, s20, s3
	s_mul_i32 s16, s20, s3
	s_cmp_lg_u64 s[4:5], 0
	s_mov_b32 s17, -1
                                        ; implicit-def: $sgpr0_sgpr1
	s_cbranch_scc0 .LBB32_11
; %bb.10:                               ;   in Loop: Header=BB32_9 Depth=1
	s_add_u32 s0, s9, 0
	s_addc_u32 s1, 0, 0
	s_xor_b64 s[0:1], s[0:1], 0
	v_cvt_f32_u32_e32 v7, s0
	v_cvt_f32_u32_e32 v8, s1
	s_sub_u32 s22, 0, s0
	s_subb_u32 s23, 0, s1
	v_fmac_f32_e32 v7, 0x4f800000, v8
	v_rcp_f32_e32 v7, v7
	v_mul_f32_e32 v7, 0x5f7ffffc, v7
	v_mul_f32_e32 v8, 0x2f800000, v7
	v_trunc_f32_e32 v8, v8
	v_fmac_f32_e32 v7, 0xcf800000, v8
	v_cvt_u32_f32_e32 v8, v8
	v_cvt_u32_f32_e32 v7, v7
	v_readfirstlane_b32 s17, v8
	v_readfirstlane_b32 s21, v7
	s_mul_i32 s24, s22, s17
	s_mul_hi_u32 s26, s22, s21
	s_mul_i32 s25, s23, s21
	s_add_i32 s24, s26, s24
	s_mul_i32 s27, s22, s21
	s_add_i32 s24, s24, s25
	s_mul_hi_u32 s26, s21, s27
	s_mul_i32 s29, s21, s24
	s_mul_hi_u32 s28, s17, s27
	s_mul_i32 s25, s17, s27
	s_mul_hi_u32 s27, s21, s24
	s_add_u32 s26, s26, s29
	s_addc_u32 s27, 0, s27
	s_mul_hi_u32 s30, s17, s24
	s_add_u32 s25, s26, s25
	s_mul_i32 s24, s17, s24
	s_addc_u32 s25, s27, s28
	s_addc_u32 s26, s30, 0
	s_add_u32 s24, s25, s24
	s_addc_u32 s25, 0, s26
	s_add_u32 s21, s21, s24
	s_cselect_b32 s24, -1, 0
	s_mul_hi_u32 s26, s22, s21
	s_cmp_lg_u32 s24, 0
	s_mul_i32 s24, s22, s21
	s_addc_u32 s17, s17, s25
	s_mul_i32 s23, s23, s21
	s_mul_i32 s22, s22, s17
	s_mul_hi_u32 s25, s21, s24
	s_add_i32 s22, s26, s22
	s_mul_hi_u32 s26, s17, s24
	s_add_i32 s22, s22, s23
	s_mul_i32 s23, s17, s24
	s_mul_i32 s28, s21, s22
	s_mul_hi_u32 s27, s21, s22
	s_add_u32 s25, s25, s28
	s_addc_u32 s27, 0, s27
	s_mul_hi_u32 s24, s17, s22
	s_add_u32 s23, s25, s23
	s_mul_i32 s22, s17, s22
	s_addc_u32 s23, s27, s26
	s_addc_u32 s24, s24, 0
	s_add_u32 s22, s23, s22
	s_addc_u32 s23, 0, s24
	s_add_u32 s21, s21, s22
	s_cselect_b32 s22, -1, 0
	s_cmp_lg_u32 s22, 0
	s_addc_u32 s17, s17, s23
	s_ashr_i32 s22, s5, 31
	s_add_u32 s24, s16, s22
	s_mov_b32 s23, s22
	s_addc_u32 s25, s5, s22
	s_xor_b64 s[24:25], s[24:25], s[22:23]
	s_mul_i32 s26, s24, s17
	s_mul_hi_u32 s27, s24, s21
	s_mul_hi_u32 s5, s24, s17
	;; [unrolled: 1-line block ×3, first 2 shown]
	s_mul_i32 s21, s25, s21
	s_add_u32 s26, s27, s26
	s_addc_u32 s5, 0, s5
	s_mul_hi_u32 s28, s25, s17
	s_add_u32 s21, s26, s21
	s_mul_i32 s17, s25, s17
	s_addc_u32 s5, s5, s29
	s_addc_u32 s21, s28, 0
	s_add_u32 s5, s5, s17
	s_addc_u32 s17, 0, s21
	s_mul_hi_u32 s21, s0, s5
	s_mul_i32 s26, s0, s17
	s_mul_i32 s27, s1, s5
	s_add_i32 s21, s21, s26
	s_mul_i32 s26, s0, s5
	s_add_i32 s21, s21, s27
	s_sub_i32 s27, s25, s21
	s_sub_u32 s24, s24, s26
	s_cselect_b32 s26, -1, 0
	s_cmp_lg_u32 s26, 0
	s_subb_u32 s27, s27, s1
	s_sub_u32 s28, s24, s0
	s_cselect_b32 s29, -1, 0
	s_cmp_lg_u32 s29, 0
	s_subb_u32 s27, s27, 0
	s_cmp_ge_u32 s27, s1
	s_cselect_b32 s29, -1, 0
	s_cmp_ge_u32 s28, s0
	s_cselect_b32 s28, -1, 0
	s_cmp_eq_u32 s27, s1
	s_cselect_b32 s27, s28, s29
	s_add_u32 s28, s5, 1
	s_addc_u32 s29, s17, 0
	s_add_u32 s30, s5, 2
	s_addc_u32 s31, s17, 0
	s_cmp_lg_u32 s27, 0
	s_cselect_b32 s27, s30, s28
	s_cselect_b32 s28, s31, s29
	s_cmp_lg_u32 s26, 0
	s_subb_u32 s21, s25, s21
	s_cmp_ge_u32 s21, s1
	s_cselect_b32 s25, -1, 0
	s_cmp_ge_u32 s24, s0
	s_cselect_b32 s0, -1, 0
	s_cmp_eq_u32 s21, s1
	s_cselect_b32 s0, s0, s25
	s_cmp_lg_u32 s0, 0
	s_cselect_b32 s1, s28, s17
	s_cselect_b32 s0, s27, s5
	s_xor_b64 s[22:23], s[22:23], 0
	s_mov_b32 s17, 0
	s_xor_b64 s[0:1], s[0:1], s[22:23]
	s_sub_u32 s0, s0, s22
.LBB32_11:                              ;   in Loop: Header=BB32_9 Depth=1
	s_andn2_b32 vcc_lo, exec_lo, s17
	s_cbranch_vccnz .LBB32_13
; %bb.12:                               ;   in Loop: Header=BB32_9 Depth=1
	v_readfirstlane_b32 s0, v4
	s_mul_i32 s1, s6, s0
	s_mul_hi_u32 s1, s0, s1
	s_add_i32 s0, s0, s1
	s_mul_hi_u32 s0, s16, s0
	s_mul_i32 s1, s0, s9
	s_add_i32 s5, s0, 1
	s_sub_i32 s1, s16, s1
	s_sub_i32 s16, s1, s9
	s_cmp_ge_u32 s1, s9
	s_cselect_b32 s0, s5, s0
	s_cselect_b32 s1, s16, s1
	s_add_i32 s5, s0, 1
	s_cmp_ge_u32 s1, s9
	s_cselect_b32 s0, s5, s0
.LBB32_13:                              ;   in Loop: Header=BB32_9 Depth=1
	s_cmp_lg_u32 s10, s0
	s_mov_b32 s16, -1
                                        ; implicit-def: $sgpr5
                                        ; implicit-def: $vgpr8
                                        ; implicit-def: $vgpr7
                                        ; implicit-def: $vgpr9
                                        ; implicit-def: $sgpr1
                                        ; implicit-def: $sgpr21
	s_cbranch_scc0 .LBB32_18
; %bb.14:                               ;   in Loop: Header=BB32_9 Depth=1
	s_add_i32 s22, s20, s7
	s_mov_b32 s17, s4
	s_add_i32 s1, s22, s9
	s_mov_b32 s21, s10
	s_lshl_b32 s1, s1, 2
	s_add_i32 s16, s1, s8
	s_mul_hi_u32 s1, s0, s12
	s_lshl_b64 s[16:17], s[16:17], 3
	s_add_u32 s16, s18, s16
	s_addc_u32 s17, s19, s17
	s_add_i32 s1, s1, s0
	s_lshr_b32 s1, s1, s13
	s_mul_i32 s5, s1, s14
	s_cmp_eq_u32 s5, s0
	s_cselect_b32 s5, -1, 0
	s_cmp_lt_u32 s1, s11
	s_cselect_b32 s1, -1, 0
	s_or_b32 s1, s1, s5
	s_mov_b32 s5, -1
	s_and_b32 vcc_lo, exec_lo, s1
	s_mov_b32 s1, s20
	s_cbranch_vccnz .LBB32_16
; %bb.15:                               ;   in Loop: Header=BB32_9 Depth=1
	s_add_i32 s1, s20, -1
	s_mov_b32 s5, 0
	s_mov_b32 s21, s0
.LBB32_16:                              ;   in Loop: Header=BB32_9 Depth=1
	v_lshl_add_u32 v7, s22, 9, v0
	s_load_dwordx2 s[16:17], s[16:17], 0x0
	v_ashrrev_i32_e32 v8, 31, v7
	v_lshlrev_b64 v[7:8], 2, v[7:8]
	v_add_co_u32 v7, vcc_lo, s2, v7
	v_add_co_ci_u32_e64 v8, null, s15, v8, vcc_lo
	s_waitcnt lgkmcnt(0)
	v_max_f32_e64 v9, s16, s16
	global_load_dword v8, v[7:8], off
	v_max_f32_e32 v7, v6, v6
	v_max_f32_e32 v7, v7, v9
	v_sub_f32_e32 v9, s16, v7
	v_sub_f32_e32 v10, v6, v7
	v_mul_f32_e32 v11, 0x3fb8aa3b, v9
	v_mul_f32_e32 v12, 0x3fb8aa3b, v10
	v_cmp_ngt_f32_e32 vcc_lo, 0xc2ce8ed0, v9
	v_fma_f32 v13, 0x3fb8aa3b, v9, -v11
	v_rndne_f32_e32 v14, v11
	v_fma_f32 v15, 0x3fb8aa3b, v10, -v12
	v_rndne_f32_e32 v16, v12
	v_fmac_f32_e32 v13, 0x32a5705f, v9
	v_sub_f32_e32 v11, v11, v14
	v_fmac_f32_e32 v15, 0x32a5705f, v10
	v_sub_f32_e32 v12, v12, v16
	v_add_f32_e32 v11, v11, v13
	v_cvt_i32_f32_e32 v13, v14
	v_add_f32_e32 v12, v12, v15
	v_cvt_i32_f32_e32 v14, v16
	v_exp_f32_e32 v11, v11
	v_exp_f32_e32 v12, v12
	v_ldexp_f32 v11, v11, v13
	v_ldexp_f32 v12, v12, v14
	v_cndmask_b32_e32 v11, 0, v11, vcc_lo
	v_cmp_ngt_f32_e32 vcc_lo, 0xc2ce8ed0, v10
	v_cndmask_b32_e32 v12, 0, v12, vcc_lo
	v_cmp_nlt_f32_e32 vcc_lo, 0x42b17218, v9
	v_cndmask_b32_e32 v11, 0x7f800000, v11, vcc_lo
	v_cmp_nlt_f32_e32 vcc_lo, 0x42b17218, v10
	v_cndmask_b32_e32 v12, 0x7f800000, v12, vcc_lo
	v_cmp_le_f32_e32 vcc_lo, 0xc1a00000, v9
	v_cndmask_b32_e32 v9, 0, v11, vcc_lo
	v_cmp_le_f32_e32 vcc_lo, 0xc1a00000, v10
	v_cndmask_b32_e32 v10, 0, v12, vcc_lo
	s_waitcnt vmcnt(0)
	v_mul_f32_e32 v8, v8, v9
	v_mul_f32_e32 v9, s17, v9
	v_fmac_f32_e32 v8, v3, v10
	v_fmac_f32_e32 v9, v5, v10
	s_cbranch_execz .LBB32_19
.LBB32_17:                              ;   in Loop: Header=BB32_9 Depth=1
	s_andn2_b32 vcc_lo, exec_lo, s5
	s_cbranch_vccnz .LBB32_20
	s_branch .LBB32_23
.LBB32_18:                              ;   in Loop: Header=BB32_9 Depth=1
	s_andn2_b32 vcc_lo, exec_lo, s16
	s_cbranch_vccnz .LBB32_17
.LBB32_19:                              ;   in Loop: Header=BB32_9 Depth=1
	v_mov_b32_e32 v9, v5
	v_mov_b32_e32 v7, v6
	s_waitcnt vmcnt(0)
	v_mov_b32_e32 v8, v3
	s_add_i32 s1, s20, -1
	s_mov_b32 s21, s10
	s_cbranch_execz .LBB32_23
.LBB32_20:                              ;   in Loop: Header=BB32_9 Depth=1
	v_mov_b32_e32 v5, v9
	v_mov_b32_e32 v6, v7
	s_waitcnt vmcnt(0)
	v_mov_b32_e32 v3, v8
	s_mov_b32 s10, s21
	s_mov_b32 s20, s1
	s_branch .LBB32_9
.LBB32_21:
                                        ; implicit-def: $sgpr10_sgpr11
	s_load_dwordx4 s[12:15], s[4:5], 0x44
	s_branch .LBB32_2
.LBB32_22:
                                        ; implicit-def: $sgpr18_sgpr19
	s_branch .LBB32_5
.LBB32_23:
	v_div_scale_f32 v0, null, v9, v9, v8
	s_waitcnt vmcnt(0)
	v_rcp_f32_e32 v3, v0
	v_fma_f32 v4, -v0, v3, 1.0
	v_fmac_f32_e32 v3, v4, v3
	v_div_scale_f32 v4, vcc_lo, v8, v9, v8
	v_mul_f32_e32 v5, v4, v3
	v_fma_f32 v6, -v0, v5, v4
	v_fmac_f32_e32 v5, v6, v3
	v_fma_f32 v0, -v0, v5, v4
	v_div_fmas_f32 v0, v0, v3, v5
	v_div_fixup_f32 v0, v0, v9, v8
	global_store_dword v[1:2], v0, off
.LBB32_24:
	s_endpgm
	.section	.rodata,"a",@progbits
	.p2align	6, 0x0
	.amdhsa_kernel _ZL33flash_attn_stream_k_fixup_generalILi128ELi1ELi4EEvPfPK15HIP_vector_typeIfLj2EEiiiiS1_IjLj3EES5_S5_S5_
		.amdhsa_group_segment_fixed_size 0
		.amdhsa_private_segment_fixed_size 0
		.amdhsa_kernarg_size 336
		.amdhsa_user_sgpr_count 6
		.amdhsa_user_sgpr_private_segment_buffer 1
		.amdhsa_user_sgpr_dispatch_ptr 0
		.amdhsa_user_sgpr_queue_ptr 0
		.amdhsa_user_sgpr_kernarg_segment_ptr 1
		.amdhsa_user_sgpr_dispatch_id 0
		.amdhsa_user_sgpr_flat_scratch_init 0
		.amdhsa_user_sgpr_private_segment_size 0
		.amdhsa_wavefront_size32 1
		.amdhsa_uses_dynamic_stack 0
		.amdhsa_system_sgpr_private_segment_wavefront_offset 0
		.amdhsa_system_sgpr_workgroup_id_x 1
		.amdhsa_system_sgpr_workgroup_id_y 1
		.amdhsa_system_sgpr_workgroup_id_z 1
		.amdhsa_system_sgpr_workgroup_info 0
		.amdhsa_system_vgpr_workitem_id 0
		.amdhsa_next_free_vgpr 17
		.amdhsa_next_free_sgpr 32
		.amdhsa_reserve_vcc 1
		.amdhsa_reserve_flat_scratch 0
		.amdhsa_float_round_mode_32 0
		.amdhsa_float_round_mode_16_64 0
		.amdhsa_float_denorm_mode_32 3
		.amdhsa_float_denorm_mode_16_64 3
		.amdhsa_dx10_clamp 1
		.amdhsa_ieee_mode 1
		.amdhsa_fp16_overflow 0
		.amdhsa_workgroup_processor_mode 1
		.amdhsa_memory_ordered 1
		.amdhsa_forward_progress 1
		.amdhsa_shared_vgpr_count 0
		.amdhsa_exception_fp_ieee_invalid_op 0
		.amdhsa_exception_fp_denorm_src 0
		.amdhsa_exception_fp_ieee_div_zero 0
		.amdhsa_exception_fp_ieee_overflow 0
		.amdhsa_exception_fp_ieee_underflow 0
		.amdhsa_exception_fp_ieee_inexact 0
		.amdhsa_exception_int_div_zero 0
	.end_amdhsa_kernel
	.section	.text._ZL33flash_attn_stream_k_fixup_generalILi128ELi1ELi4EEvPfPK15HIP_vector_typeIfLj2EEiiiiS1_IjLj3EES5_S5_S5_,"axG",@progbits,_ZL33flash_attn_stream_k_fixup_generalILi128ELi1ELi4EEvPfPK15HIP_vector_typeIfLj2EEiiiiS1_IjLj3EES5_S5_S5_,comdat
.Lfunc_end32:
	.size	_ZL33flash_attn_stream_k_fixup_generalILi128ELi1ELi4EEvPfPK15HIP_vector_typeIfLj2EEiiiiS1_IjLj3EES5_S5_S5_, .Lfunc_end32-_ZL33flash_attn_stream_k_fixup_generalILi128ELi1ELi4EEvPfPK15HIP_vector_typeIfLj2EEiiiiS1_IjLj3EES5_S5_S5_
                                        ; -- End function
	.set _ZL33flash_attn_stream_k_fixup_generalILi128ELi1ELi4EEvPfPK15HIP_vector_typeIfLj2EEiiiiS1_IjLj3EES5_S5_S5_.num_vgpr, 17
	.set _ZL33flash_attn_stream_k_fixup_generalILi128ELi1ELi4EEvPfPK15HIP_vector_typeIfLj2EEiiiiS1_IjLj3EES5_S5_S5_.num_agpr, 0
	.set _ZL33flash_attn_stream_k_fixup_generalILi128ELi1ELi4EEvPfPK15HIP_vector_typeIfLj2EEiiiiS1_IjLj3EES5_S5_S5_.numbered_sgpr, 32
	.set _ZL33flash_attn_stream_k_fixup_generalILi128ELi1ELi4EEvPfPK15HIP_vector_typeIfLj2EEiiiiS1_IjLj3EES5_S5_S5_.num_named_barrier, 0
	.set _ZL33flash_attn_stream_k_fixup_generalILi128ELi1ELi4EEvPfPK15HIP_vector_typeIfLj2EEiiiiS1_IjLj3EES5_S5_S5_.private_seg_size, 0
	.set _ZL33flash_attn_stream_k_fixup_generalILi128ELi1ELi4EEvPfPK15HIP_vector_typeIfLj2EEiiiiS1_IjLj3EES5_S5_S5_.uses_vcc, 1
	.set _ZL33flash_attn_stream_k_fixup_generalILi128ELi1ELi4EEvPfPK15HIP_vector_typeIfLj2EEiiiiS1_IjLj3EES5_S5_S5_.uses_flat_scratch, 0
	.set _ZL33flash_attn_stream_k_fixup_generalILi128ELi1ELi4EEvPfPK15HIP_vector_typeIfLj2EEiiiiS1_IjLj3EES5_S5_S5_.has_dyn_sized_stack, 0
	.set _ZL33flash_attn_stream_k_fixup_generalILi128ELi1ELi4EEvPfPK15HIP_vector_typeIfLj2EEiiiiS1_IjLj3EES5_S5_S5_.has_recursion, 0
	.set _ZL33flash_attn_stream_k_fixup_generalILi128ELi1ELi4EEvPfPK15HIP_vector_typeIfLj2EEiiiiS1_IjLj3EES5_S5_S5_.has_indirect_call, 0
	.section	.AMDGPU.csdata,"",@progbits
; Kernel info:
; codeLenInByte = 2924
; TotalNumSgprs: 34
; NumVgprs: 17
; ScratchSize: 0
; MemoryBound: 0
; FloatMode: 240
; IeeeMode: 1
; LDSByteSize: 0 bytes/workgroup (compile time only)
; SGPRBlocks: 0
; VGPRBlocks: 2
; NumSGPRsForWavesPerEU: 34
; NumVGPRsForWavesPerEU: 17
; Occupancy: 16
; WaveLimiterHint : 0
; COMPUTE_PGM_RSRC2:SCRATCH_EN: 0
; COMPUTE_PGM_RSRC2:USER_SGPR: 6
; COMPUTE_PGM_RSRC2:TRAP_HANDLER: 0
; COMPUTE_PGM_RSRC2:TGID_X_EN: 1
; COMPUTE_PGM_RSRC2:TGID_Y_EN: 1
; COMPUTE_PGM_RSRC2:TGID_Z_EN: 1
; COMPUTE_PGM_RSRC2:TIDIG_COMP_CNT: 0
	.section	.text._ZL15flash_attn_tileILi128ELi128ELi32ELi2ELb0EEvPKcS1_S1_S1_S1_PKiPfP15HIP_vector_typeIfLj2EEffffjfiS5_IjLj3EEiiiiiiiiiiiliiliiiiil,"axG",@progbits,_ZL15flash_attn_tileILi128ELi128ELi32ELi2ELb0EEvPKcS1_S1_S1_S1_PKiPfP15HIP_vector_typeIfLj2EEffffjfiS5_IjLj3EEiiiiiiiiiiiliiliiiiil,comdat
	.globl	_ZL15flash_attn_tileILi128ELi128ELi32ELi2ELb0EEvPKcS1_S1_S1_S1_PKiPfP15HIP_vector_typeIfLj2EEffffjfiS5_IjLj3EEiiiiiiiiiiiliiliiiiil ; -- Begin function _ZL15flash_attn_tileILi128ELi128ELi32ELi2ELb0EEvPKcS1_S1_S1_S1_PKiPfP15HIP_vector_typeIfLj2EEffffjfiS5_IjLj3EEiiiiiiiiiiiliiliiiiil
	.p2align	8
	.type	_ZL15flash_attn_tileILi128ELi128ELi32ELi2ELb0EEvPKcS1_S1_S1_S1_PKiPfP15HIP_vector_typeIfLj2EEffffjfiS5_IjLj3EEiiiiiiiiiiiliiliiiiil,@function
_ZL15flash_attn_tileILi128ELi128ELi32ELi2ELb0EEvPKcS1_S1_S1_S1_PKiPfP15HIP_vector_typeIfLj2EEffffjfiS5_IjLj3EEiiiiiiiiiiiliiliiiiil: ; @_ZL15flash_attn_tileILi128ELi128ELi32ELi2ELb0EEvPKcS1_S1_S1_S1_PKiPfP15HIP_vector_typeIfLj2EEffffjfiS5_IjLj3EEiiiiiiiiiiiliiliiiiil
; %bb.0:
	s_clause 0x1
	s_load_dwordx4 s[52:55], s[4:5], 0x5c
	s_load_dwordx2 s[58:59], s[4:5], 0x80
	s_mov_b32 s34, s7
	s_mov_b64 s[60:61], 0
	s_waitcnt lgkmcnt(0)
	s_lshr_b32 s0, s55, 31
	s_add_i32 s0, s55, s0
	s_ashr_i32 s0, s0, 1
	v_cvt_f32_u32_e32 v2, s0
	s_sub_i32 s2, 0, s0
	v_rcp_iflag_f32_e32 v2, v2
	v_mul_f32_e32 v2, 0x4f7ffffe, v2
	v_cvt_u32_f32_e32 v2, v2
	v_readfirstlane_b32 s1, v2
	s_mul_i32 s2, s2, s1
	s_mul_hi_u32 s2, s1, s2
	s_add_i32 s1, s1, s2
	s_mul_hi_u32 s1, s8, s1
	s_mul_i32 s2, s1, s0
	s_add_i32 s3, s1, 1
	s_sub_i32 s2, s8, s2
	s_sub_i32 s7, s2, s0
	s_cmp_ge_u32 s2, s0
	s_cselect_b32 s1, s3, s1
	s_cselect_b32 s2, s7, s2
	s_add_i32 s3, s1, 1
	s_cmp_ge_u32 s2, s0
	s_cselect_b32 s35, s3, s1
	s_abs_i32 s0, s59
	s_lshl_b32 s3, s8, 1
	v_cvt_f32_u32_e32 v2, s0
	s_sub_i32 s2, 0, s0
	s_abs_i32 s8, s55
	s_mul_i32 s7, s35, s55
	v_rcp_iflag_f32_e32 v2, v2
	s_sub_i32 s56, s3, s7
	v_mul_f32_e32 v2, 0x4f7ffffe, v2
	v_cvt_u32_f32_e32 v2, v2
	v_readfirstlane_b32 s1, v2
	s_mul_i32 s2, s2, s1
	s_mul_hi_u32 s2, s1, s2
	s_add_i32 s1, s1, s2
	s_xor_b32 s2, s55, s59
	s_mul_hi_u32 s1, s8, s1
	s_ashr_i32 s2, s2, 31
	s_mul_i32 s3, s1, s0
	s_add_i32 s7, s1, 1
	s_sub_i32 s3, s8, s3
	s_sub_i32 s8, s3, s0
	s_cmp_ge_u32 s3, s0
	s_cselect_b32 s1, s7, s1
	s_cselect_b32 s3, s8, s3
	s_add_i32 s7, s1, 1
	s_cmp_ge_u32 s3, s0
	s_clause 0x1
	s_load_dwordx16 s[36:51], s[4:5], 0x0
	s_load_dwordx2 s[8:9], s[4:5], 0xb8
	s_cselect_b32 s0, s7, s1
	s_xor_b32 s0, s0, s2
	s_sub_i32 s10, s0, s2
	s_abs_i32 s7, s10
	v_cvt_f32_u32_e32 v2, s7
	v_rcp_iflag_f32_e32 v2, v2
	s_waitcnt lgkmcnt(0)
	s_cmp_eq_u64 s[42:43], 0
	v_mul_f32_e32 v2, 0x4f7ffffe, v2
	v_cvt_u32_f32_e32 v2, v2
	v_readfirstlane_b32 s11, v2
	s_cbranch_scc1 .LBB33_2
; %bb.1:
	s_abs_i32 s2, s8
	s_abs_i32 s3, s35
	v_cvt_f32_u32_e32 v2, s2
	s_sub_i32 s1, 0, s2
	v_rcp_iflag_f32_e32 v2, v2
	v_mul_f32_e32 v2, 0x4f7ffffe, v2
	v_cvt_u32_f32_e32 v2, v2
	v_readfirstlane_b32 s0, v2
	s_mul_i32 s1, s1, s0
	s_mul_hi_u32 s1, s0, s1
	s_add_i32 s0, s0, s1
	s_mul_hi_u32 s8, s3, s0
	s_load_dwordx2 s[0:1], s[4:5], 0xc8
	s_mul_i32 s8, s8, s2
	s_sub_i32 s3, s3, s8
	s_ashr_i32 s8, s35, 31
	s_sub_i32 s12, s3, s2
	s_cmp_ge_u32 s3, s2
	s_cselect_b32 s3, s12, s3
	s_sub_i32 s12, s3, s2
	s_cmp_ge_u32 s3, s2
	s_cselect_b32 s2, s12, s3
	s_xor_b32 s2, s2, s8
	s_sub_i32 s2, s2, s8
	s_ashr_i32 s3, s2, 31
	s_waitcnt lgkmcnt(0)
	s_mul_hi_u32 s8, s0, s2
	s_mul_i32 s3, s0, s3
	s_mul_i32 s1, s1, s2
	s_add_i32 s3, s8, s3
	s_mul_i32 s0, s0, s2
	s_add_i32 s3, s3, s1
	s_add_u32 s60, s42, s0
	s_addc_u32 s61, s43, s3
.LBB33_2:
	v_lshlrev_b32_e32 v45, 2, v1
	s_lshl_b32 s42, s6, 5
	v_lshlrev_b32_e32 v18, 3, v1
	s_load_dwordx4 s[0:3], s[4:5], 0x70
	v_add_nc_u32_e32 v47, s42, v45
	v_or_b32_e32 v44, 2, v18
	v_or_b32_e32 v53, 3, v18
	;; [unrolled: 1-line block ×3, first 2 shown]
	v_mul_hi_u32 v2, v47, s52
	v_or_b32_e32 v55, 5, v18
	v_lshrrev_b32_e32 v43, 1, v44
	v_lshrrev_b32_e32 v40, 1, v53
	;; [unrolled: 1-line block ×3, first 2 shown]
	v_or_b32_e32 v56, 6, v18
	v_lshrrev_b32_e32 v36, 1, v55
	v_add_nc_u32_e32 v46, s42, v43
	v_add_nc_u32_e32 v2, v47, v2
	;; [unrolled: 1-line block ×5, first 2 shown]
	v_mul_hi_u32 v3, v46, s52
	v_lshrrev_b32_e32 v2, s53, v2
	s_waitcnt lgkmcnt(0)
	s_mul_i32 s2, s35, s2
	v_mul_hi_u32 v6, v42, s52
	s_mul_i32 s3, s56, s1
	s_ashr_i32 s8, s2, 31
	v_mul_lo_u32 v2, v2, s54
	s_add_u32 s2, s36, s2
	v_add_nc_u32_e32 v4, v46, v3
	s_addc_u32 s12, s37, s8
	s_ashr_i32 s13, s3, 31
	s_add_u32 s8, s2, s3
	s_mov_b32 s14, s0
	s_addc_u32 s12, s12, s13
	v_sub_nc_u32_e32 v3, v47, v2
	v_lshrrev_b32_e32 v2, s53, v4
	s_ashr_i32 s15, s0, 31
	v_add_nc_u32_e32 v6, v42, v6
	s_lshr_b64 s[2:3], s[14:15], 2
	s_lshr_b32 s0, s15, 2
	v_mul_lo_u32 v7, v2, s54
	v_mad_u64_u32 v[4:5], null, s2, v3, 0
	v_lshrrev_b32_e32 v8, s53, v6
	s_ashr_i32 s3, s1, 31
	s_and_b32 s1, s1, -4
	v_lshlrev_b32_e32 v2, 4, v0
	s_add_u32 s1, s8, s1
	v_sub_nc_u32_e32 v7, v46, v7
	v_mad_u64_u32 v[5:6], null, s0, v3, v[5:6]
	v_mul_lo_u32 v6, v8, s54
	s_addc_u32 s3, s12, s3
	v_mad_u64_u32 v[13:14], null, s2, v7, 0
	v_mul_hi_u32 v8, v41, s52
	v_mul_hi_u32 v20, v39, s52
	v_lshlrev_b64 v[4:5], 2, v[4:5]
	v_lshrrev_b32_e32 v35, 1, v56
	v_sub_nc_u32_e32 v17, v42, v6
	v_or_b32_e32 v57, 7, v18
	v_mov_b32_e32 v6, v14
	s_cmp_eq_u64 s[46:47], 0
	v_add_nc_u32_e32 v19, v41, v8
	v_mad_u64_u32 v[15:16], null, s2, v17, 0
	v_mad_u64_u32 v[6:7], null, s0, v7, v[6:7]
	v_add_co_u32 v7, vcc_lo, s8, v4
	v_add_co_ci_u32_e64 v9, null, s12, v5, vcc_lo
	v_add_co_u32 v10, vcc_lo, s1, v4
	v_add_co_ci_u32_e64 v11, null, s3, v5, vcc_lo
	v_add_co_u32 v4, vcc_lo, v7, v2
	v_add_co_ci_u32_e64 v5, null, 0, v9, vcc_lo
	v_add_co_u32 v9, vcc_lo, v10, v2
	v_add_co_ci_u32_e64 v10, null, 0, v11, vcc_lo
	v_mov_b32_e32 v14, v6
	s_clause 0x1
	global_load_dwordx4 v[5:8], v[4:5], off
	global_load_dwordx4 v[9:12], v[9:10], off
	v_mov_b32_e32 v4, v16
	v_lshrrev_b32_e32 v19, s53, v19
	v_add_nc_u32_e32 v37, s42, v35
	v_lshrrev_b32_e32 v33, 1, v57
	v_lshlrev_b64 v[13:14], 2, v[13:14]
	v_add_nc_u32_e32 v34, s42, v33
	v_add_co_u32 v18, vcc_lo, s8, v13
	v_mul_hi_u32 v22, v34, s52
	v_add_nc_u32_e32 v24, v34, v22
	v_lshrrev_b32_e32 v24, s53, v24
	s_waitcnt vmcnt(1)
	v_mad_u64_u32 v[16:17], null, s0, v17, v[4:5]
	v_mul_lo_u32 v4, v19, s54
	v_add_nc_u32_e32 v17, v39, v20
	v_mul_hi_u32 v20, v37, s52
	v_add_co_ci_u32_e64 v19, null, s12, v14, vcc_lo
	v_lshlrev_b64 v[15:16], 2, v[15:16]
	v_sub_nc_u32_e32 v21, v41, v4
	v_lshrrev_b32_e32 v4, s53, v17
	v_add_nc_u32_e32 v20, v37, v20
	v_add_co_u32 v17, vcc_lo, v18, v2
	v_mad_u64_u32 v[13:14], null, s2, v21, 0
	v_mul_lo_u32 v4, v4, s54
	v_add_co_ci_u32_e64 v18, null, 0, v19, vcc_lo
	v_add_co_u32 v25, vcc_lo, s1, v15
	v_add_co_ci_u32_e64 v26, null, s3, v16, vcc_lo
	v_sub_nc_u32_e32 v23, v39, v4
	v_mov_b32_e32 v4, v14
	v_lshrrev_b32_e32 v14, s53, v20
	v_mad_u64_u32 v[19:20], null, s2, v23, 0
	v_mad_u64_u32 v[21:22], null, s0, v21, v[4:5]
	v_mul_lo_u32 v22, v14, s54
	v_mov_b32_e32 v4, v20
	v_mul_lo_u32 v20, v24, s54
	v_mov_b32_e32 v14, v21
	v_sub_nc_u32_e32 v27, v37, v22
	v_mad_u64_u32 v[15:16], null, s0, v23, v[4:5]
	v_lshlrev_b64 v[13:14], 2, v[13:14]
	v_add_co_u32 v23, vcc_lo, v25, v2
	v_mad_u64_u32 v[21:22], null, s2, v27, 0
	v_sub_nc_u32_e32 v28, v34, v20
	v_mov_b32_e32 v20, v15
	v_add_co_ci_u32_e64 v24, null, 0, v26, vcc_lo
	v_mad_u64_u32 v[29:30], null, s2, v28, 0
	v_mov_b32_e32 v4, v22
	v_add_co_u32 v22, vcc_lo, s8, v13
	v_add_co_ci_u32_e64 v26, null, s12, v14, vcc_lo
	v_mad_u64_u32 v[15:16], null, s0, v27, v[4:5]
	v_mov_b32_e32 v4, v30
	v_lshlrev_b64 v[13:14], 2, v[19:20]
	v_add_co_u32 v25, vcc_lo, v22, v2
	v_add_co_ci_u32_e64 v26, null, 0, v26, vcc_lo
	v_mad_u64_u32 v[19:20], null, s0, v28, v[4:5]
	v_mov_b32_e32 v22, v15
	v_add_co_u32 v4, vcc_lo, s1, v13
	v_add_co_ci_u32_e64 v13, null, s3, v14, vcc_lo
	v_lshlrev_b64 v[31:32], 2, v[21:22]
	v_mov_b32_e32 v30, v19
	v_add_co_u32 v27, vcc_lo, v4, v2
	v_add_co_ci_u32_e64 v28, null, 0, v13, vcc_lo
	v_lshlrev_b64 v[29:30], 2, v[29:30]
	v_add_co_u32 v4, vcc_lo, s8, v31
	v_add_co_ci_u32_e64 v31, null, s12, v32, vcc_lo
	s_clause 0x3
	global_load_dwordx4 v[13:16], v[17:18], off
	global_load_dwordx4 v[17:20], v[23:24], off
	;; [unrolled: 1-line block ×4, first 2 shown]
	v_add_co_u32 v32, vcc_lo, s1, v29
	v_add_co_ci_u32_e64 v49, null, s3, v30, vcc_lo
	v_add_co_u32 v29, vcc_lo, v4, v2
	v_add_co_ci_u32_e64 v30, null, 0, v31, vcc_lo
	;; [unrolled: 2-line block ×3, first 2 shown]
	s_clause 0x1
	global_load_dwordx4 v[29:32], v[29:30], off
	global_load_dwordx4 v[49:52], v[48:49], off
	s_load_dword s0, s[4:5], 0x40
	v_lshlrev_b32_e32 v4, 3, v0
	v_lshlrev_b32_e32 v48, 11, v1
	v_lshl_add_u32 v44, v44, 8, v4
	v_or_b32_e32 v58, v4, v48
	v_lshl_add_u32 v53, v53, 8, v4
	v_lshl_add_u32 v54, v54, 8, v4
	;; [unrolled: 1-line block ×5, first 2 shown]
	s_waitcnt lgkmcnt(0)
	v_fma_mixlo_f16 v5, s0, v5, 0
	v_fma_mixlo_f16 v6, s0, v6, 0
	;; [unrolled: 1-line block ×4, first 2 shown]
	s_waitcnt vmcnt(6)
	v_fma_mixlo_f16 v9, s0, v9, 0
	v_fma_mixlo_f16 v10, s0, v10, 0
	;; [unrolled: 1-line block ×4, first 2 shown]
	v_lshlrev_b32_e32 v6, 16, v6
	v_and_b32_e32 v5, 0xffff, v5
	v_lshlrev_b32_e32 v8, 16, v8
	v_and_b32_e32 v7, 0xffff, v7
	;; [unrolled: 2-line block ×4, first 2 shown]
	v_or_b32_e32 v5, v6, v5
	v_or3_b32 v6, v8, v7, 0
	v_or_b32_e32 v7, v10, v9
	v_or3_b32 v8, v12, v11, 0
	v_or3_b32 v5, 0, 0, v5
	;; [unrolled: 1-line block ×3, first 2 shown]
	ds_write2_b64 v58, v[5:6], v[7:8] offset1:32
	s_waitcnt vmcnt(5)
	v_fma_mixlo_f16 v9, s0, v13, 0
	v_fma_mixlo_f16 v10, s0, v14, 0
	s_waitcnt vmcnt(4)
	v_fma_mixlo_f16 v13, s0, v17, 0
	v_fma_mixlo_f16 v14, s0, v18, 0
	;; [unrolled: 3-line block ×3, first 2 shown]
	v_fma_mixlo_f16 v11, s0, v15, 0
	v_fma_mixlo_f16 v12, s0, v16, 0
	s_waitcnt vmcnt(2)
	v_fma_mixlo_f16 v21, s0, v25, 0
	v_fma_mixlo_f16 v22, s0, v26, 0
	;; [unrolled: 1-line block ×4, first 2 shown]
	v_lshlrev_b32_e32 v10, 16, v10
	v_and_b32_e32 v9, 0xffff, v9
	v_lshlrev_b32_e32 v14, 16, v14
	v_and_b32_e32 v13, 0xffff, v13
	v_fma_mixlo_f16 v19, s0, v23, 0
	s_waitcnt vmcnt(1)
	v_fma_mixlo_f16 v25, s0, v29, 0
	v_fma_mixlo_f16 v26, s0, v30, 0
	s_waitcnt vmcnt(0)
	v_fma_mixlo_f16 v29, s0, v49, 0
	v_fma_mixlo_f16 v30, s0, v50, 0
	v_fma_mixlo_f16 v20, s0, v24, 0
	v_lshlrev_b32_e32 v18, 16, v18
	v_and_b32_e32 v17, 0xffff, v17
	v_fma_mixlo_f16 v23, s0, v27, 0
	v_fma_mixlo_f16 v24, s0, v28, 0
	v_lshlrev_b32_e32 v12, 16, v12
	v_and_b32_e32 v11, 0xffff, v11
	v_lshlrev_b32_e32 v22, 16, v22
	v_and_b32_e32 v21, 0xffff, v21
	v_fma_mixlo_f16 v27, s0, v31, 0
	v_fma_mixlo_f16 v28, s0, v32, 0
	v_lshlrev_b32_e32 v26, 16, v26
	v_and_b32_e32 v25, 0xffff, v25
	v_fma_mixlo_f16 v31, s0, v51, 0
	v_fma_mixlo_f16 v32, s0, v52, 0
	v_lshlrev_b32_e32 v16, 16, v16
	v_and_b32_e32 v15, 0xffff, v15
	v_lshlrev_b32_e32 v30, 16, v30
	v_and_b32_e32 v29, 0xffff, v29
	v_or_b32_e32 v5, v10, v9
	v_or_b32_e32 v7, v14, v13
	v_lshlrev_b32_e32 v20, 16, v20
	v_and_b32_e32 v19, 0xffff, v19
	v_or_b32_e32 v9, v18, v17
	v_lshlrev_b32_e32 v24, 16, v24
	v_and_b32_e32 v23, 0xffff, v23
	v_or3_b32 v6, v12, v11, 0
	v_or_b32_e32 v11, v22, v21
	v_lshlrev_b32_e32 v28, 16, v28
	v_and_b32_e32 v27, 0xffff, v27
	v_or_b32_e32 v13, v26, v25
	v_lshlrev_b32_e32 v32, 16, v32
	v_and_b32_e32 v31, 0xffff, v31
	v_or3_b32 v8, v16, v15, 0
	v_or_b32_e32 v15, v30, v29
	v_or3_b32 v5, 0, 0, v5
	v_or3_b32 v7, 0, 0, v7
	v_or3_b32 v10, v20, v19, 0
	v_or3_b32 v9, 0, 0, v9
	v_or3_b32 v12, v24, v23, 0
	v_or3_b32 v11, 0, 0, v11
	v_or3_b32 v14, v28, v27, 0
	v_or3_b32 v13, 0, 0, v13
	v_or3_b32 v16, v32, v31, 0
	v_or3_b32 v15, 0, 0, v15
	ds_write_b64 v44, v[5:6]
	ds_write_b64 v53, v[7:8]
	ds_write_b64 v54, v[9:10]
	ds_write_b64 v55, v[11:12]
	ds_write_b64 v56, v[13:14]
	ds_write_b64 v57, v[15:16]
	s_waitcnt lgkmcnt(0)
	s_barrier
	buffer_gl0_inv
	s_cbranch_scc1 .LBB33_4
; %bb.3:
	s_load_dword s0, s[4:5], 0xd0
	s_mov_b32 s1, 0
	s_waitcnt lgkmcnt(0)
	s_mul_i32 s0, s0, s35
	s_add_i32 s0, s0, s6
	s_lshl_b64 s[0:1], s[0:1], 2
	s_add_u32 s0, s46, s0
	s_addc_u32 s1, s47, s1
	s_load_dword s58, s[0:1], 0x0
.LBB33_4:
	v_mbcnt_lo_u32_b32 v51, -1, 0
	s_lshl_b32 s43, s34, 6
	s_waitcnt lgkmcnt(0)
	s_cmp_lt_i32 s43, s58
	s_cbranch_scc1 .LBB33_7
; %bb.5:
	v_mbcnt_lo_u32_b32 v10, -1, 0
	v_mov_b32_e32 v9, 32
	v_xor_b32_e32 v56, 16, v10
	v_xor_b32_e32 v53, 8, v10
	;; [unrolled: 1-line block ×5, first 2 shown]
	v_lshlrev_b32_e32 v44, 2, v0
	s_cbranch_execz .LBB33_8
; %bb.6:
	v_mov_b32_e32 v95, 0
	v_mov_b32_e32 v54, 0
	;; [unrolled: 1-line block ×32, first 2 shown]
	s_branch .LBB33_11
.LBB33_7:
                                        ; implicit-def: $vgpr10
                                        ; implicit-def: $vgpr9
                                        ; implicit-def: $vgpr56
                                        ; implicit-def: $vgpr53
                                        ; implicit-def: $vgpr52
                                        ; implicit-def: $vgpr50
                                        ; implicit-def: $vgpr49
	v_lshlrev_b32_e32 v44, 2, v0
.LBB33_8:
	s_clause 0x1
	s_load_dwordx4 s[0:3], s[4:5], 0x98
	s_load_dwordx2 s[12:13], s[4:5], 0x8c
	v_add_nc_u32_e32 v9, 1, v47
	v_lshrrev_b32_e32 v5, 3, v0
	v_and_b32_e32 v13, 28, v44
	v_add_nc_u32_e32 v10, 2, v47
	v_add_nc_u32_e32 v11, 3, v47
	v_mul_hi_u32 v7, s52, v9
	s_sub_i32 s6, 0, s7
	v_add_nc_u32_e32 v5, v5, v45
	v_lshlrev_b32_e32 v6, 2, v13
	v_mul_hi_u32 v8, s52, v10
	v_mul_hi_u32 v12, s52, v11
	s_mul_i32 s6, s6, s11
	s_abs_i32 s8, s56
	s_mul_hi_u32 s6, s11, s6
	v_mad_u32_u24 v14, 0x90, v5, v6
	s_add_i32 s11, s11, s6
	v_add_nc_u32_e32 v6, v9, v7
	s_ashr_i32 s6, s9, 1
	s_mul_hi_u32 s9, s8, s11
	s_ashr_i32 s11, s35, 31
	v_add_nc_u32_e32 v7, v10, v8
	v_add_nc_u32_e32 v8, v11, v12
	s_waitcnt lgkmcnt(0)
	s_ashr_i32 s46, s2, 2
	s_ashr_i32 s47, s12, 2
	s_mul_hi_u32 s2, s0, s35
	s_mul_i32 s12, s0, s11
	v_lshrrev_b32_e32 v12, s53, v6
	s_mul_i32 s1, s1, s35
	s_add_i32 s2, s2, s12
	s_mul_i32 s0, s0, s35
	s_ashr_i32 s16, s56, 31
	s_ashr_i32 s10, s10, 31
	s_load_dwordx2 s[14:15], s[4:5], 0xa8
	s_mul_i32 s17, s9, s7
	s_add_i32 s2, s2, s1
	v_lshrrev_b32_e32 v8, s53, v8
	v_lshrrev_b32_e32 v15, 4, v0
	s_add_u32 s0, s38, s0
	s_addc_u32 s1, s39, s2
	s_sub_i32 s8, s8, s17
	v_mul_lo_u32 v12, v12, s54
	s_xor_b32 s2, s16, s10
	s_add_i32 s10, s9, 1
	s_sub_i32 s12, s8, s7
	s_cmp_ge_u32 s8, s7
	v_add_nc_u32_e32 v63, 0x4000, v14
	v_add_nc_u32_e32 v64, 0x5200, v14
	v_lshrrev_b32_e32 v14, s53, v7
	v_mul_lo_u32 v16, v8, s54
	v_lshl_add_u32 v15, v1, 1, v15
	s_cselect_b32 s9, s10, s9
	s_cselect_b32 s8, s12, s8
	s_add_i32 s10, s9, 1
	s_cmp_ge_u32 s8, s7
	v_mul_lo_u32 v5, s47, v5
	v_mul_lo_u32 v14, v14, s54
	v_sub_nc_u32_e32 v12, v9, v12
	v_mul_lo_u32 v9, s46, v15
	s_cselect_b32 s7, s10, s9
	v_sub_nc_u32_e32 v11, v11, v16
	s_xor_b32 s7, s7, s2
	v_and_b32_e32 v17, 60, v44
	s_sub_i32 s2, s7, s2
	v_lshl_add_u32 v7, s47, 5, v5
	s_mul_i32 s10, s2, s13
	v_sub_nc_u32_e32 v10, v10, v14
	v_mul_lo_u32 v69, v11, s6
	v_lshl_add_u32 v11, s46, 4, v9
	v_lshlrev_b32_e32 v18, 2, v17
	s_waitcnt lgkmcnt(0)
	s_mul_hi_u32 s8, s14, s35
	s_mul_i32 s9, s14, s11
	s_ashr_i32 s12, s10, 31
	s_add_u32 s38, s0, s10
	s_mul_i32 s7, s15, s35
	s_addc_u32 s39, s1, s12
	s_add_i32 s0, s8, s9
	s_mul_i32 s11, s14, s35
	v_ashrrev_i32_e32 v6, 31, v5
	v_ashrrev_i32_e32 v8, 31, v7
	v_mul_lo_u32 v67, v12, s6
	v_mul_lo_u32 v68, v10, s6
	v_ashrrev_i32_e32 v10, 31, v9
	v_ashrrev_i32_e32 v12, 31, v11
	s_mul_i32 s2, s2, s3
	s_add_i32 s0, s0, s7
	v_mul_lo_u32 v66, v3, s6
	v_lshl_or_b32 v3, v15, 8, v18
	v_lshl_add_u32 v70, v1, 10, 0x6400
	v_or_b32_e32 v73, 0x4000, v4
	s_add_u32 s1, s40, s11
	s_addc_u32 s0, s41, s0
	s_ashr_i32 s3, s2, 31
	s_add_u32 s40, s1, s2
	s_movk_i32 s1, 0x4000
	v_lshlrev_b64 v[25:26], 2, v[5:6]
	v_lshlrev_b64 v[27:28], 2, v[7:8]
	;; [unrolled: 1-line block ×4, first 2 shown]
	v_mov_b32_e32 v81, 0
	v_mad_u32_u24 v65, 0x90, v0, s1
	v_add_nc_u32_e32 v71, 0x4000, v3
	v_add_nc_u32_e32 v72, 0x5000, v3
	v_mov_b32_e32 v1, 0xfeffffff
	v_lshlrev_b32_e32 v74, 2, v13
	v_xor_b32_e32 v56, 16, v51
	v_xor_b32_e32 v53, 8, v51
	;; [unrolled: 1-line block ×5, first 2 shown]
	v_add_nc_u32_e32 v75, v70, v2
	v_lshlrev_b32_e32 v76, 2, v17
	v_mov_b32_e32 v77, 0x10001
	v_add_nc_u32_e32 v78, 0x800, v73
	v_add_nc_u32_e32 v79, 0x1000, v73
	;; [unrolled: 1-line block ×3, first 2 shown]
	v_mov_b32_e32 v82, 0
	v_mov_b32_e32 v84, 0
	;; [unrolled: 1-line block ×30, first 2 shown]
	s_addc_u32 s41, s0, s3
	s_add_u32 s36, s4, 0xd0
	s_addc_u32 s37, s5, 0
.LBB33_9:                               ; =>This Inner Loop Header: Depth=1
	s_mul_hi_i32 s7, s43, s47
	s_mul_i32 s6, s43, s47
	v_cmp_gt_i32_e64 s3, 32, v56
	v_cmp_gt_i32_e64 s2, 32, v53
	;; [unrolled: 1-line block ×4, first 2 shown]
	v_mov_b32_e32 v104, v1
	v_add_nc_u32_e32 v1, s43, v0
	v_cmp_gt_i32_e32 vcc_lo, 32, v49
	s_lshl_b64 s[6:7], s[6:7], 2
	s_mul_hi_i32 s9, s43, s46
	s_mul_i32 s8, s43, s46
	s_add_u32 s6, s38, s6
	v_mov_b32_e32 v100, v5
	v_mov_b32_e32 v102, v3
	;; [unrolled: 1-line block ×3, first 2 shown]
	v_cndmask_b32_e64 v2, v51, v56, s3
	v_cndmask_b32_e64 v3, v51, v53, s2
	;; [unrolled: 1-line block ×3, first 2 shown]
	s_addc_u32 s1, s39, s7
	s_lshl_b64 s[2:3], s[8:9], 2
	v_mov_b32_e32 v98, v7
	v_cndmask_b32_e64 v7, v51, v50, s0
	v_add_co_u32 v12, s0, s6, v25
	v_mov_b32_e32 v97, v8
	v_mov_b32_e32 v99, v6
	;; [unrolled: 1-line block ×3, first 2 shown]
	v_cndmask_b32_e32 v9, v51, v49, vcc_lo
	v_add_nc_u32_e32 v4, v1, v66
	v_add_nc_u32_e32 v6, v1, v67
	v_add_nc_u32_e32 v8, v1, v68
	v_add_nc_u32_e32 v10, v1, v69
	v_add_co_u32 v1, vcc_lo, s6, v27
	s_add_u32 s2, s40, s2
	v_add_co_ci_u32_e64 v14, null, s1, v26, s0
	v_add_co_ci_u32_e64 v118, null, s1, v28, vcc_lo
	s_addc_u32 s1, s41, s3
	v_add_co_u32 v120, s0, s2, v31
	v_add_co_u32 v119, vcc_lo, s2, v29
	v_add_co_ci_u32_e64 v121, null, s1, v32, s0
	v_add_co_u32 v15, s0, v12, v74
	v_lshlrev_b32_e32 v117, 2, v2
	v_add_co_ci_u32_e64 v2, null, s1, v30, vcc_lo
	v_add_co_u32 v13, vcc_lo, v1, v74
	v_lshlrev_b32_e32 v115, 2, v5
	v_ashrrev_i32_e32 v5, 31, v4
	v_add_co_ci_u32_e64 v16, null, 0, v14, s0
	v_add_co_ci_u32_e64 v14, null, 0, v118, vcc_lo
	v_lshlrev_b32_e32 v116, 2, v3
	v_add_co_u32 v3, vcc_lo, v119, v76
	v_add_co_u32 v1, s0, v120, v76
	v_lshlrev_b64 v[126:127], 1, v[4:5]
	v_add_co_ci_u32_e64 v4, null, 0, v2, vcc_lo
	v_add_co_ci_u32_e64 v2, null, 0, v121, s0
	s_clause 0x1
	global_load_dwordx4 v[118:121], v[15:16], off
	global_load_dwordx4 v[122:125], v[13:14], off
	v_lshlrev_b32_e32 v114, 2, v7
	v_ashrrev_i32_e32 v7, 31, v6
	v_ashrrev_i32_e32 v11, 31, v10
	v_lshlrev_b32_e32 v113, 2, v9
	v_ashrrev_i32_e32 v9, 31, v8
	v_mov_b32_e32 v17, 0
	v_lshlrev_b64 v[5:6], 1, v[6:7]
	v_lshlrev_b64 v[128:129], 1, v[10:11]
	v_add_co_u32 v11, vcc_lo, s60, v126
	v_lshlrev_b64 v[7:8], 1, v[8:9]
	v_add_co_ci_u32_e64 v12, null, s61, v127, vcc_lo
	v_add_co_u32 v9, s0, s60, v5
	v_add_co_u32 v5, s2, s60, v128
	v_add_co_ci_u32_e64 v10, null, s61, v6, s0
	v_add_co_ci_u32_e64 v6, null, s61, v129, s2
	v_mov_b32_e32 v18, 0
	v_mov_b32_e32 v19, 0
	;; [unrolled: 1-line block ×15, first 2 shown]
	v_add_co_u32 v7, s1, s60, v7
	v_add_co_ci_u32_e64 v8, null, s61, v8, s1
	v_mov_b32_e32 v225, v62
	s_waitcnt vmcnt(1)
	ds_write_b128 v63, v[118:121]
	s_waitcnt vmcnt(0)
	ds_write_b128 v64, v[122:125]
	s_waitcnt lgkmcnt(0)
	s_barrier
	buffer_gl0_inv
	ds_read_b128 v[118:121], v65
	ds_read_b128 v[122:125], v48
	ds_read_b128 v[126:129], v48 offset:256
	ds_read_b128 v[130:133], v48 offset:512
	;; [unrolled: 1-line block ×8, first 2 shown]
	s_waitcnt lgkmcnt(8)
	;;#ASMSTART
	v_dot2_f32_f16 v17, v118, v122, v17
	;;#ASMEND
	;;#ASMSTART
	v_dot2_f32_f16 v17, v119, v123, v17
	;;#ASMEND
	;;#ASMSTART
	v_dot2_f32_f16 v17, v120, v124, v17
	;;#ASMEND
	;;#ASMSTART
	v_dot2_f32_f16 v17, v121, v125, v17
	;;#ASMEND
	s_waitcnt lgkmcnt(7)
	;;#ASMSTART
	v_dot2_f32_f16 v18, v118, v126, v18
	;;#ASMEND
	;;#ASMSTART
	v_dot2_f32_f16 v18, v119, v127, v18
	;;#ASMEND
	;;#ASMSTART
	v_dot2_f32_f16 v18, v120, v128, v18
	;;#ASMEND
	;;#ASMSTART
	v_dot2_f32_f16 v18, v121, v129, v18
	;;#ASMEND
	;; [unrolled: 13-line block ×8, first 2 shown]
	;;#ASMSTART
	v_dot2_f32_f16 v105, v138, v122, v105
	;;#ASMEND
	;;#ASMSTART
	v_dot2_f32_f16 v105, v139, v123, v105
	;;#ASMEND
	;; [unrolled: 3-line block ×32, first 2 shown]
	ds_read_b128 v[118:121], v65 offset:16
	ds_read_b128 v[122:125], v48 offset:16
	;; [unrolled: 1-line block ×10, first 2 shown]
	s_waitcnt lgkmcnt(8)
	;;#ASMSTART
	v_dot2_f32_f16 v17, v118, v122, v17
	;;#ASMEND
	;;#ASMSTART
	v_dot2_f32_f16 v17, v119, v123, v17
	;;#ASMEND
	;;#ASMSTART
	v_dot2_f32_f16 v17, v120, v124, v17
	;;#ASMEND
	;;#ASMSTART
	v_dot2_f32_f16 v17, v121, v125, v17
	;;#ASMEND
	s_waitcnt lgkmcnt(7)
	;;#ASMSTART
	v_dot2_f32_f16 v18, v118, v126, v18
	;;#ASMEND
	;;#ASMSTART
	v_dot2_f32_f16 v18, v119, v127, v18
	;;#ASMEND
	;;#ASMSTART
	v_dot2_f32_f16 v18, v120, v128, v18
	;;#ASMEND
	;;#ASMSTART
	v_dot2_f32_f16 v18, v121, v129, v18
	;;#ASMEND
	;; [unrolled: 13-line block ×8, first 2 shown]
	;;#ASMSTART
	v_dot2_f32_f16 v105, v138, v122, v105
	;;#ASMEND
	;;#ASMSTART
	v_dot2_f32_f16 v105, v139, v123, v105
	;;#ASMEND
	;; [unrolled: 3-line block ×32, first 2 shown]
	ds_read_b128 v[118:121], v65 offset:32
	ds_read_b128 v[122:125], v48 offset:32
	;; [unrolled: 1-line block ×10, first 2 shown]
	s_waitcnt lgkmcnt(8)
	;;#ASMSTART
	v_dot2_f32_f16 v17, v118, v122, v17
	;;#ASMEND
	;;#ASMSTART
	v_dot2_f32_f16 v17, v119, v123, v17
	;;#ASMEND
	;;#ASMSTART
	v_dot2_f32_f16 v17, v120, v124, v17
	;;#ASMEND
	;;#ASMSTART
	v_dot2_f32_f16 v17, v121, v125, v17
	;;#ASMEND
	s_waitcnt lgkmcnt(7)
	;;#ASMSTART
	v_dot2_f32_f16 v18, v118, v126, v18
	;;#ASMEND
	;;#ASMSTART
	v_dot2_f32_f16 v18, v119, v127, v18
	;;#ASMEND
	;;#ASMSTART
	v_dot2_f32_f16 v18, v120, v128, v18
	;;#ASMEND
	;;#ASMSTART
	v_dot2_f32_f16 v18, v121, v129, v18
	;;#ASMEND
	;; [unrolled: 13-line block ×8, first 2 shown]
	;;#ASMSTART
	v_dot2_f32_f16 v105, v138, v122, v105
	;;#ASMEND
	;;#ASMSTART
	v_dot2_f32_f16 v105, v139, v123, v105
	;;#ASMEND
	;; [unrolled: 3-line block ×32, first 2 shown]
	ds_read_b128 v[118:121], v65 offset:48
	ds_read_b128 v[122:125], v48 offset:48
	;; [unrolled: 1-line block ×10, first 2 shown]
	s_waitcnt lgkmcnt(8)
	;;#ASMSTART
	v_dot2_f32_f16 v17, v118, v122, v17
	;;#ASMEND
	;;#ASMSTART
	v_dot2_f32_f16 v17, v119, v123, v17
	;;#ASMEND
	;;#ASMSTART
	v_dot2_f32_f16 v17, v120, v124, v17
	;;#ASMEND
	;;#ASMSTART
	v_dot2_f32_f16 v17, v121, v125, v17
	;;#ASMEND
	s_waitcnt lgkmcnt(7)
	;;#ASMSTART
	v_dot2_f32_f16 v18, v118, v126, v18
	;;#ASMEND
	;;#ASMSTART
	v_dot2_f32_f16 v18, v119, v127, v18
	;;#ASMEND
	;;#ASMSTART
	v_dot2_f32_f16 v18, v120, v128, v18
	;;#ASMEND
	;;#ASMSTART
	v_dot2_f32_f16 v18, v121, v129, v18
	;;#ASMEND
	;; [unrolled: 13-line block ×8, first 2 shown]
	;;#ASMSTART
	v_dot2_f32_f16 v105, v138, v122, v105
	;;#ASMEND
	;;#ASMSTART
	v_dot2_f32_f16 v105, v139, v123, v105
	;;#ASMEND
	;; [unrolled: 3-line block ×32, first 2 shown]
	ds_read_b128 v[118:121], v65 offset:64
	ds_read_b128 v[122:125], v48 offset:64
	;; [unrolled: 1-line block ×10, first 2 shown]
	s_waitcnt lgkmcnt(8)
	;;#ASMSTART
	v_dot2_f32_f16 v17, v118, v122, v17
	;;#ASMEND
	;;#ASMSTART
	v_dot2_f32_f16 v17, v119, v123, v17
	;;#ASMEND
	;;#ASMSTART
	v_dot2_f32_f16 v17, v120, v124, v17
	;;#ASMEND
	;;#ASMSTART
	v_dot2_f32_f16 v17, v121, v125, v17
	;;#ASMEND
	s_waitcnt lgkmcnt(7)
	;;#ASMSTART
	v_dot2_f32_f16 v18, v118, v126, v18
	;;#ASMEND
	;;#ASMSTART
	v_dot2_f32_f16 v18, v119, v127, v18
	;;#ASMEND
	;;#ASMSTART
	v_dot2_f32_f16 v18, v120, v128, v18
	;;#ASMEND
	;;#ASMSTART
	v_dot2_f32_f16 v18, v121, v129, v18
	;;#ASMEND
	;; [unrolled: 13-line block ×8, first 2 shown]
	;;#ASMSTART
	v_dot2_f32_f16 v105, v138, v122, v105
	;;#ASMEND
	;;#ASMSTART
	v_dot2_f32_f16 v105, v139, v123, v105
	;;#ASMEND
	;; [unrolled: 3-line block ×32, first 2 shown]
	ds_read_b128 v[118:121], v65 offset:80
	ds_read_b128 v[122:125], v48 offset:80
	;; [unrolled: 1-line block ×10, first 2 shown]
	s_waitcnt lgkmcnt(8)
	;;#ASMSTART
	v_dot2_f32_f16 v17, v118, v122, v17
	;;#ASMEND
	;;#ASMSTART
	v_dot2_f32_f16 v17, v119, v123, v17
	;;#ASMEND
	;;#ASMSTART
	v_dot2_f32_f16 v17, v120, v124, v17
	;;#ASMEND
	;;#ASMSTART
	v_dot2_f32_f16 v17, v121, v125, v17
	;;#ASMEND
	s_waitcnt lgkmcnt(7)
	;;#ASMSTART
	v_dot2_f32_f16 v18, v118, v126, v18
	;;#ASMEND
	;;#ASMSTART
	v_dot2_f32_f16 v18, v119, v127, v18
	;;#ASMEND
	;;#ASMSTART
	v_dot2_f32_f16 v18, v120, v128, v18
	;;#ASMEND
	;;#ASMSTART
	v_dot2_f32_f16 v18, v121, v129, v18
	;;#ASMEND
	;; [unrolled: 13-line block ×8, first 2 shown]
	;;#ASMSTART
	v_dot2_f32_f16 v105, v138, v122, v105
	;;#ASMEND
	;;#ASMSTART
	v_dot2_f32_f16 v105, v139, v123, v105
	;;#ASMEND
	;; [unrolled: 3-line block ×32, first 2 shown]
	ds_read_b128 v[118:121], v65 offset:96
	ds_read_b128 v[122:125], v48 offset:96
	;; [unrolled: 1-line block ×10, first 2 shown]
	s_waitcnt lgkmcnt(8)
	;;#ASMSTART
	v_dot2_f32_f16 v17, v118, v122, v17
	;;#ASMEND
	;;#ASMSTART
	v_dot2_f32_f16 v17, v119, v123, v17
	;;#ASMEND
	;;#ASMSTART
	v_dot2_f32_f16 v17, v120, v124, v17
	;;#ASMEND
	;;#ASMSTART
	v_dot2_f32_f16 v17, v121, v125, v17
	;;#ASMEND
	s_waitcnt lgkmcnt(7)
	;;#ASMSTART
	v_dot2_f32_f16 v18, v118, v126, v18
	;;#ASMEND
	;;#ASMSTART
	v_dot2_f32_f16 v18, v119, v127, v18
	;;#ASMEND
	;;#ASMSTART
	v_dot2_f32_f16 v18, v120, v128, v18
	;;#ASMEND
	;;#ASMSTART
	v_dot2_f32_f16 v18, v121, v129, v18
	;;#ASMEND
	;; [unrolled: 13-line block ×8, first 2 shown]
	;;#ASMSTART
	v_dot2_f32_f16 v105, v138, v122, v105
	;;#ASMEND
	;;#ASMSTART
	v_dot2_f32_f16 v105, v139, v123, v105
	;;#ASMEND
	;; [unrolled: 3-line block ×32, first 2 shown]
	ds_read_b128 v[118:121], v65 offset:112
	ds_read_b128 v[122:125], v48 offset:112
	;; [unrolled: 1-line block ×10, first 2 shown]
	s_waitcnt lgkmcnt(8)
	;;#ASMSTART
	v_dot2_f32_f16 v17, v118, v122, v17
	;;#ASMEND
	;;#ASMSTART
	v_dot2_f32_f16 v17, v119, v123, v17
	;;#ASMEND
	;;#ASMSTART
	v_dot2_f32_f16 v17, v120, v124, v17
	;;#ASMEND
	;;#ASMSTART
	v_dot2_f32_f16 v17, v121, v125, v17
	;;#ASMEND
	s_waitcnt lgkmcnt(7)
	;;#ASMSTART
	v_dot2_f32_f16 v18, v118, v126, v18
	;;#ASMEND
	;;#ASMSTART
	v_dot2_f32_f16 v18, v119, v127, v18
	;;#ASMEND
	;;#ASMSTART
	v_dot2_f32_f16 v18, v120, v128, v18
	;;#ASMEND
	;;#ASMSTART
	v_dot2_f32_f16 v18, v121, v129, v18
	;;#ASMEND
	;; [unrolled: 13-line block ×8, first 2 shown]
	;;#ASMSTART
	v_dot2_f32_f16 v105, v138, v122, v105
	;;#ASMEND
	;;#ASMSTART
	v_dot2_f32_f16 v105, v139, v123, v105
	;;#ASMEND
	;; [unrolled: 3-line block ×32, first 2 shown]
	s_barrier
	buffer_gl0_inv
	s_clause 0x1
	global_load_dwordx4 v[118:121], v[15:16], off offset:128
	global_load_dwordx4 v[13:16], v[13:14], off offset:128
	s_waitcnt vmcnt(1)
	ds_write_b128 v63, v[118:121]
	s_waitcnt vmcnt(0)
	ds_write_b128 v64, v[13:16]
	s_waitcnt lgkmcnt(0)
	s_barrier
	buffer_gl0_inv
	ds_read_b128 v[13:16], v65
	ds_read_b128 v[118:121], v48 offset:128
	ds_read_b128 v[122:125], v48 offset:384
	;; [unrolled: 1-line block ×9, first 2 shown]
	s_waitcnt lgkmcnt(8)
	;;#ASMSTART
	v_dot2_f32_f16 v17, v13, v118, v17
	;;#ASMEND
	;;#ASMSTART
	v_dot2_f32_f16 v17, v14, v119, v17
	;;#ASMEND
	;;#ASMSTART
	v_dot2_f32_f16 v17, v15, v120, v17
	;;#ASMEND
	;;#ASMSTART
	v_dot2_f32_f16 v17, v16, v121, v17
	;;#ASMEND
	s_waitcnt lgkmcnt(7)
	;;#ASMSTART
	v_dot2_f32_f16 v18, v13, v122, v18
	;;#ASMEND
	;;#ASMSTART
	v_dot2_f32_f16 v18, v14, v123, v18
	;;#ASMEND
	;;#ASMSTART
	v_dot2_f32_f16 v18, v15, v124, v18
	;;#ASMEND
	;;#ASMSTART
	v_dot2_f32_f16 v18, v16, v125, v18
	;;#ASMEND
	;; [unrolled: 13-line block ×8, first 2 shown]
	;;#ASMSTART
	v_dot2_f32_f16 v105, v134, v118, v105
	;;#ASMEND
	;;#ASMSTART
	v_dot2_f32_f16 v105, v135, v119, v105
	;;#ASMEND
	;; [unrolled: 3-line block ×32, first 2 shown]
	ds_read_b128 v[13:16], v65 offset:16
	ds_read_b128 v[118:121], v48 offset:144
	;; [unrolled: 1-line block ×10, first 2 shown]
	s_waitcnt lgkmcnt(8)
	;;#ASMSTART
	v_dot2_f32_f16 v17, v13, v118, v17
	;;#ASMEND
	;;#ASMSTART
	v_dot2_f32_f16 v17, v14, v119, v17
	;;#ASMEND
	;;#ASMSTART
	v_dot2_f32_f16 v17, v15, v120, v17
	;;#ASMEND
	;;#ASMSTART
	v_dot2_f32_f16 v17, v16, v121, v17
	;;#ASMEND
	s_waitcnt lgkmcnt(7)
	;;#ASMSTART
	v_dot2_f32_f16 v18, v13, v122, v18
	;;#ASMEND
	;;#ASMSTART
	v_dot2_f32_f16 v18, v14, v123, v18
	;;#ASMEND
	;;#ASMSTART
	v_dot2_f32_f16 v18, v15, v124, v18
	;;#ASMEND
	;;#ASMSTART
	v_dot2_f32_f16 v18, v16, v125, v18
	;;#ASMEND
	;; [unrolled: 13-line block ×8, first 2 shown]
	;;#ASMSTART
	v_dot2_f32_f16 v105, v134, v118, v105
	;;#ASMEND
	;;#ASMSTART
	v_dot2_f32_f16 v105, v135, v119, v105
	;;#ASMEND
	;; [unrolled: 3-line block ×32, first 2 shown]
	ds_read_b128 v[13:16], v65 offset:32
	ds_read_b128 v[118:121], v48 offset:160
	;; [unrolled: 1-line block ×10, first 2 shown]
	s_waitcnt lgkmcnt(8)
	;;#ASMSTART
	v_dot2_f32_f16 v17, v13, v118, v17
	;;#ASMEND
	;;#ASMSTART
	v_dot2_f32_f16 v17, v14, v119, v17
	;;#ASMEND
	;;#ASMSTART
	v_dot2_f32_f16 v17, v15, v120, v17
	;;#ASMEND
	;;#ASMSTART
	v_dot2_f32_f16 v17, v16, v121, v17
	;;#ASMEND
	s_waitcnt lgkmcnt(7)
	;;#ASMSTART
	v_dot2_f32_f16 v18, v13, v122, v18
	;;#ASMEND
	;;#ASMSTART
	v_dot2_f32_f16 v18, v14, v123, v18
	;;#ASMEND
	;;#ASMSTART
	v_dot2_f32_f16 v18, v15, v124, v18
	;;#ASMEND
	;;#ASMSTART
	v_dot2_f32_f16 v18, v16, v125, v18
	;;#ASMEND
	;; [unrolled: 13-line block ×8, first 2 shown]
	;;#ASMSTART
	v_dot2_f32_f16 v105, v134, v118, v105
	;;#ASMEND
	;;#ASMSTART
	v_dot2_f32_f16 v105, v135, v119, v105
	;;#ASMEND
	;; [unrolled: 3-line block ×32, first 2 shown]
	ds_read_b128 v[13:16], v65 offset:48
	ds_read_b128 v[118:121], v48 offset:176
	;; [unrolled: 1-line block ×10, first 2 shown]
	s_waitcnt lgkmcnt(8)
	;;#ASMSTART
	v_dot2_f32_f16 v17, v13, v118, v17
	;;#ASMEND
	;;#ASMSTART
	v_dot2_f32_f16 v17, v14, v119, v17
	;;#ASMEND
	;;#ASMSTART
	v_dot2_f32_f16 v17, v15, v120, v17
	;;#ASMEND
	;;#ASMSTART
	v_dot2_f32_f16 v17, v16, v121, v17
	;;#ASMEND
	s_waitcnt lgkmcnt(7)
	;;#ASMSTART
	v_dot2_f32_f16 v18, v13, v122, v18
	;;#ASMEND
	;;#ASMSTART
	v_dot2_f32_f16 v18, v14, v123, v18
	;;#ASMEND
	;;#ASMSTART
	v_dot2_f32_f16 v18, v15, v124, v18
	;;#ASMEND
	;;#ASMSTART
	v_dot2_f32_f16 v18, v16, v125, v18
	;;#ASMEND
	;; [unrolled: 13-line block ×8, first 2 shown]
	;;#ASMSTART
	v_dot2_f32_f16 v105, v134, v118, v105
	;;#ASMEND
	;;#ASMSTART
	v_dot2_f32_f16 v105, v135, v119, v105
	;;#ASMEND
	;; [unrolled: 3-line block ×32, first 2 shown]
	ds_read_b128 v[13:16], v65 offset:64
	ds_read_b128 v[118:121], v48 offset:192
	;; [unrolled: 1-line block ×10, first 2 shown]
	s_waitcnt lgkmcnt(8)
	;;#ASMSTART
	v_dot2_f32_f16 v17, v13, v118, v17
	;;#ASMEND
	;;#ASMSTART
	v_dot2_f32_f16 v17, v14, v119, v17
	;;#ASMEND
	;;#ASMSTART
	v_dot2_f32_f16 v17, v15, v120, v17
	;;#ASMEND
	;;#ASMSTART
	v_dot2_f32_f16 v17, v16, v121, v17
	;;#ASMEND
	s_waitcnt lgkmcnt(7)
	;;#ASMSTART
	v_dot2_f32_f16 v18, v13, v122, v18
	;;#ASMEND
	;;#ASMSTART
	v_dot2_f32_f16 v18, v14, v123, v18
	;;#ASMEND
	;;#ASMSTART
	v_dot2_f32_f16 v18, v15, v124, v18
	;;#ASMEND
	;;#ASMSTART
	v_dot2_f32_f16 v18, v16, v125, v18
	;;#ASMEND
	;; [unrolled: 13-line block ×8, first 2 shown]
	;;#ASMSTART
	v_dot2_f32_f16 v105, v134, v118, v105
	;;#ASMEND
	;;#ASMSTART
	v_dot2_f32_f16 v105, v135, v119, v105
	;;#ASMEND
	;; [unrolled: 3-line block ×32, first 2 shown]
	ds_read_b128 v[13:16], v65 offset:80
	ds_read_b128 v[118:121], v48 offset:208
	;; [unrolled: 1-line block ×10, first 2 shown]
	s_waitcnt lgkmcnt(8)
	;;#ASMSTART
	v_dot2_f32_f16 v17, v13, v118, v17
	;;#ASMEND
	;;#ASMSTART
	v_dot2_f32_f16 v17, v14, v119, v17
	;;#ASMEND
	;;#ASMSTART
	v_dot2_f32_f16 v17, v15, v120, v17
	;;#ASMEND
	;;#ASMSTART
	v_dot2_f32_f16 v17, v16, v121, v17
	;;#ASMEND
	s_waitcnt lgkmcnt(7)
	;;#ASMSTART
	v_dot2_f32_f16 v18, v13, v122, v18
	;;#ASMEND
	;;#ASMSTART
	v_dot2_f32_f16 v18, v14, v123, v18
	;;#ASMEND
	;;#ASMSTART
	v_dot2_f32_f16 v18, v15, v124, v18
	;;#ASMEND
	;;#ASMSTART
	v_dot2_f32_f16 v18, v16, v125, v18
	;;#ASMEND
	;; [unrolled: 13-line block ×8, first 2 shown]
	;;#ASMSTART
	v_dot2_f32_f16 v105, v134, v118, v105
	;;#ASMEND
	;;#ASMSTART
	v_dot2_f32_f16 v105, v135, v119, v105
	;;#ASMEND
	;; [unrolled: 3-line block ×32, first 2 shown]
	ds_read_b128 v[13:16], v65 offset:96
	ds_read_b128 v[118:121], v48 offset:224
	;; [unrolled: 1-line block ×10, first 2 shown]
	s_waitcnt lgkmcnt(8)
	;;#ASMSTART
	v_dot2_f32_f16 v17, v13, v118, v17
	;;#ASMEND
	;;#ASMSTART
	v_dot2_f32_f16 v17, v14, v119, v17
	;;#ASMEND
	;;#ASMSTART
	v_dot2_f32_f16 v17, v15, v120, v17
	;;#ASMEND
	;;#ASMSTART
	v_dot2_f32_f16 v17, v16, v121, v17
	;;#ASMEND
	s_waitcnt lgkmcnt(7)
	;;#ASMSTART
	v_dot2_f32_f16 v18, v13, v122, v18
	;;#ASMEND
	;;#ASMSTART
	v_dot2_f32_f16 v18, v14, v123, v18
	;;#ASMEND
	;;#ASMSTART
	v_dot2_f32_f16 v18, v15, v124, v18
	;;#ASMEND
	;;#ASMSTART
	v_dot2_f32_f16 v18, v16, v125, v18
	;;#ASMEND
	;; [unrolled: 13-line block ×8, first 2 shown]
	;;#ASMSTART
	v_dot2_f32_f16 v105, v134, v118, v105
	;;#ASMEND
	;;#ASMSTART
	v_dot2_f32_f16 v105, v135, v119, v105
	;;#ASMEND
	;; [unrolled: 3-line block ×32, first 2 shown]
	ds_read_b128 v[13:16], v65 offset:112
	ds_read_b128 v[118:121], v48 offset:240
	ds_read_b128 v[122:125], v48 offset:496
	ds_read_b128 v[126:129], v48 offset:752
	ds_read_b128 v[130:133], v48 offset:1008
	ds_read_b128 v[134:137], v65 offset:4720
	ds_read_b128 v[138:141], v48 offset:1264
	ds_read_b128 v[142:145], v48 offset:1520
	ds_read_b128 v[146:149], v48 offset:1776
	ds_read_b128 v[150:153], v48 offset:2032
	s_waitcnt lgkmcnt(8)
	;;#ASMSTART
	v_dot2_f32_f16 v17, v13, v118, v17
	;;#ASMEND
	;;#ASMSTART
	v_dot2_f32_f16 v17, v14, v119, v17
	;;#ASMEND
	;;#ASMSTART
	v_dot2_f32_f16 v17, v15, v120, v17
	;;#ASMEND
	;;#ASMSTART
	v_dot2_f32_f16 v17, v16, v121, v17
	;;#ASMEND
	s_waitcnt lgkmcnt(7)
	;;#ASMSTART
	v_dot2_f32_f16 v18, v13, v122, v18
	;;#ASMEND
	;;#ASMSTART
	v_dot2_f32_f16 v18, v14, v123, v18
	;;#ASMEND
	;;#ASMSTART
	v_dot2_f32_f16 v18, v15, v124, v18
	;;#ASMEND
	;;#ASMSTART
	v_dot2_f32_f16 v18, v16, v125, v18
	;;#ASMEND
	;; [unrolled: 13-line block ×8, first 2 shown]
	;;#ASMSTART
	v_dot2_f32_f16 v105, v134, v118, v105
	;;#ASMEND
	;;#ASMSTART
	v_dot2_f32_f16 v105, v135, v119, v105
	;;#ASMEND
	;; [unrolled: 3-line block ×32, first 2 shown]
	s_clause 0x7
	global_load_ushort v118, v[11:12], off
	global_load_ushort v119, v[11:12], off offset:64
	global_load_ushort v120, v[9:10], off
	global_load_ushort v121, v[9:10], off offset:64
	;; [unrolled: 2-line block ×4, first 2 shown]
	s_waitcnt vmcnt(0)
	s_barrier
	buffer_gl0_inv
	s_clause 0x1
	global_load_dwordx4 v[9:12], v[3:4], off
	global_load_dwordx4 v[13:16], v[1:2], off
	v_cvt_f32_f16_e32 v1, v118
	v_cvt_f32_f16_e32 v2, v119
	;; [unrolled: 1-line block ×8, first 2 shown]
	v_add_f32_e32 v17, v17, v1
	v_add_f32_e32 v105, v105, v2
	;; [unrolled: 1-line block ×32, first 2 shown]
	v_max3_f32 v1, v104, v1, v2
	v_max3_f32 v2, v103, v3, v4
	;; [unrolled: 1-line block ×8, first 2 shown]
	ds_bpermute_b32 v118, v117, v1
	ds_bpermute_b32 v119, v117, v2
	ds_bpermute_b32 v120, v117, v3
	ds_bpermute_b32 v121, v117, v4
	ds_bpermute_b32 v122, v117, v5
	ds_bpermute_b32 v123, v117, v6
	ds_bpermute_b32 v124, v117, v7
	ds_bpermute_b32 v117, v117, v8
	s_waitcnt lgkmcnt(7)
	v_max_f32_e32 v118, v118, v118
	s_waitcnt lgkmcnt(6)
	v_max_f32_e32 v119, v119, v119
	s_waitcnt lgkmcnt(5)
	v_max_f32_e32 v120, v120, v120
	s_waitcnt lgkmcnt(4)
	v_max_f32_e32 v121, v121, v121
	s_waitcnt lgkmcnt(3)
	v_max_f32_e32 v122, v122, v122
	s_waitcnt lgkmcnt(2)
	v_max_f32_e32 v123, v123, v123
	s_waitcnt lgkmcnt(1)
	v_max_f32_e32 v124, v124, v124
	s_waitcnt lgkmcnt(0)
	v_max_f32_e32 v117, v117, v117
	v_max_f32_e32 v1, v1, v118
	v_max_f32_e32 v2, v2, v119
	v_max_f32_e32 v3, v3, v120
	v_max_f32_e32 v4, v4, v121
	v_max_f32_e32 v5, v5, v122
	v_max_f32_e32 v6, v6, v123
	v_max_f32_e32 v7, v7, v124
	v_max_f32_e32 v8, v8, v117
	ds_bpermute_b32 v117, v116, v1
	ds_bpermute_b32 v118, v116, v2
	ds_bpermute_b32 v119, v116, v3
	ds_bpermute_b32 v120, v116, v4
	ds_bpermute_b32 v121, v116, v5
	ds_bpermute_b32 v122, v116, v6
	ds_bpermute_b32 v123, v116, v7
	ds_bpermute_b32 v116, v116, v8
	s_waitcnt lgkmcnt(7)
	v_max_f32_e32 v117, v117, v117
	s_waitcnt lgkmcnt(6)
	v_max_f32_e32 v118, v118, v118
	s_waitcnt lgkmcnt(5)
	v_max_f32_e32 v119, v119, v119
	s_waitcnt lgkmcnt(4)
	v_max_f32_e32 v120, v120, v120
	s_waitcnt lgkmcnt(3)
	v_max_f32_e32 v121, v121, v121
	s_waitcnt lgkmcnt(2)
	v_max_f32_e32 v122, v122, v122
	s_waitcnt lgkmcnt(1)
	v_max_f32_e32 v123, v123, v123
	s_waitcnt lgkmcnt(0)
	v_max_f32_e32 v116, v116, v116
	v_max_f32_e32 v1, v1, v117
	v_max_f32_e32 v2, v2, v118
	v_max_f32_e32 v3, v3, v119
	v_max_f32_e32 v4, v4, v120
	v_max_f32_e32 v5, v5, v121
	v_max_f32_e32 v6, v6, v122
	v_max_f32_e32 v7, v7, v123
	v_max_f32_e32 v8, v8, v116
	;; [unrolled: 32-line block ×5, first 2 shown]
	v_sub_f32_e32 v17, v17, v1
	v_sub_f32_e32 v105, v105, v1
	v_sub_f32_e32 v18, v18, v2
	v_sub_f32_e32 v106, v106, v2
	v_sub_f32_e32 v19, v19, v3
	v_sub_f32_e32 v107, v107, v3
	v_sub_f32_e32 v20, v20, v4
	v_sub_f32_e32 v21, v21, v5
	v_sub_f32_e32 v22, v22, v6
	v_sub_f32_e32 v23, v23, v7
	v_sub_f32_e32 v24, v24, v8
	v_sub_f32_e32 v108, v108, v4
	v_sub_f32_e32 v109, v109, v5
	v_sub_f32_e32 v110, v110, v6
	v_sub_f32_e32 v111, v111, v7
	v_sub_f32_e32 v112, v112, v8
	v_mul_f32_e32 v113, 0x3fb8aa3b, v17
	v_mul_f32_e32 v114, 0x3fb8aa3b, v105
	;; [unrolled: 1-line block ×16, first 2 shown]
	v_fma_f32 v129, 0x3fb8aa3b, v17, -v113
	v_rndne_f32_e32 v130, v113
	v_fma_f32 v131, 0x3fb8aa3b, v105, -v114
	v_rndne_f32_e32 v132, v114
	;; [unrolled: 2-line block ×16, first 2 shown]
	v_cmp_ngt_f32_e64 s31, 0xc2ce8ed0, v105
	v_cmp_ngt_f32_e64 s30, 0xc2ce8ed0, v18
	;; [unrolled: 1-line block ×11, first 2 shown]
	v_cmp_nlt_f32_e32 vcc_lo, 0x42b17218, v105
	v_cmp_nlt_f32_e64 s0, 0x42b17218, v18
	v_cmp_nlt_f32_e64 s1, 0x42b17218, v106
	;; [unrolled: 1-line block ×10, first 2 shown]
	v_fmac_f32_e32 v129, 0x32a5705f, v17
	v_sub_f32_e32 v17, v113, v130
	v_fmac_f32_e32 v131, 0x32a5705f, v105
	v_sub_f32_e32 v105, v114, v132
	;; [unrolled: 2-line block ×11, first 2 shown]
	v_cmp_ngt_f32_e64 s24, 0xc2ce8ed0, v108
	v_cmp_ngt_f32_e64 s22, 0xc2ce8ed0, v109
	;; [unrolled: 1-line block ×5, first 2 shown]
	v_cmp_nlt_f32_e64 s7, 0x42b17218, v108
	v_cmp_nlt_f32_e64 s9, 0x42b17218, v109
	;; [unrolled: 1-line block ×5, first 2 shown]
	v_fmac_f32_e32 v143, 0x32a5705f, v108
	v_sub_f32_e32 v108, v120, v144
	v_fmac_f32_e32 v147, 0x32a5705f, v109
	v_sub_f32_e32 v109, v122, v148
	;; [unrolled: 2-line block ×5, first 2 shown]
	v_add_f32_e32 v17, v17, v129
	v_add_f32_e32 v105, v105, v131
	;; [unrolled: 1-line block ×16, first 2 shown]
	v_exp_f32_e32 v17, v17
	v_exp_f32_e32 v105, v105
	;; [unrolled: 1-line block ×16, first 2 shown]
	v_cvt_i32_f32_e32 v113, v130
	v_cvt_i32_f32_e32 v114, v132
	;; [unrolled: 1-line block ×16, first 2 shown]
	v_ldexp_f32 v17, v17, v113
	v_ldexp_f32 v105, v105, v114
	;; [unrolled: 1-line block ×16, first 2 shown]
	v_cndmask_b32_e64 v17, 0, v17, s33
	v_cndmask_b32_e64 v105, 0, v105, s31
	;; [unrolled: 1-line block ×17, first 2 shown]
	v_cndmask_b32_e32 v120, 0x7f800000, v105, vcc_lo
	v_cndmask_b32_e64 v116, 0x7f800000, v18, s0
	v_cndmask_b32_e64 v119, 0x7f800000, v106, s1
	v_cndmask_b32_e64 v114, 0x7f800000, v19, s2
	v_cndmask_b32_e64 v117, 0x7f800000, v107, s3
	v_cndmask_b32_e64 v112, 0x7f800000, v20, s6
	v_cndmask_b32_e64 v110, 0x7f800000, v21, s8
	v_cndmask_b32_e64 v107, 0x7f800000, v22, s10
	v_cndmask_b32_e64 v105, 0x7f800000, v23, s12
	v_cndmask_b32_e64 v106, 0x7f800000, v24, s14
	v_cndmask_b32_e64 v115, 0x7f800000, v108, s7
	v_cndmask_b32_e64 v113, 0x7f800000, v109, s9
	v_cndmask_b32_e64 v111, 0x7f800000, v121, s11
	v_cndmask_b32_e64 v108, 0x7f800000, v122, s13
	v_cndmask_b32_e64 v109, 0x7f800000, v123, s15
	v_cvt_f16_f32_e32 v17, v118
	v_cvt_f16_f32_e32 v22, v116
	;; [unrolled: 1-line block ×16, first 2 shown]
	v_pack_b32_f16 v20, v20, v24
	v_pack_b32_f16 v19, v19, v125
	;; [unrolled: 1-line block ×8, first 2 shown]
	ds_write_b128 v75, v[17:20]
	ds_write_b128 v75, v[21:24] offset:512
	s_waitcnt vmcnt(1)
	ds_write_b128 v71, v[9:12]
	s_waitcnt vmcnt(0)
	ds_write_b128 v72, v[13:16]
	s_waitcnt lgkmcnt(0)
	s_barrier
	buffer_gl0_inv
	ds_read_b128 v[21:24], v70
	ds_read_b128 v[17:20], v70 offset:16
	ds_read_b128 v[13:16], v70 offset:32
	;; [unrolled: 1-line block ×10, first 2 shown]
	v_add_f32_e32 v62, v118, v120
	s_waitcnt lgkmcnt(10)
	v_mul_u32_u24_sdwa v168, v23, v77 dst_sel:DWORD dst_unused:UNUSED_PAD src0_sel:WORD_0 src1_sel:DWORD
	v_mul_u32_u24_sdwa v162, v21, v77 dst_sel:DWORD dst_unused:UNUSED_PAD src0_sel:WORD_0 src1_sel:DWORD
	s_waitcnt lgkmcnt(8)
	v_mul_u32_u24_sdwa v208, v13, v77 dst_sel:DWORD dst_unused:UNUSED_PAD src0_sel:WORD_0 src1_sel:DWORD
	s_waitcnt lgkmcnt(7)
	v_mul_u32_u24_sdwa v143, v9, v77 dst_sel:DWORD dst_unused:UNUSED_PAD src0_sel:WORD_0 src1_sel:DWORD
	v_mul_u32_u24_sdwa v142, v9, v77 dst_sel:DWORD dst_unused:UNUSED_PAD src0_sel:WORD_1 src1_sel:DWORD
	v_mul_u32_u24_sdwa v141, v10, v77 dst_sel:DWORD dst_unused:UNUSED_PAD src0_sel:WORD_0 src1_sel:DWORD
	v_mul_u32_u24_sdwa v140, v10, v77 dst_sel:DWORD dst_unused:UNUSED_PAD src0_sel:WORD_1 src1_sel:DWORD
	;; [unrolled: 2-line block ×4, first 2 shown]
	ds_read_b128 v[9:12], v70 offset:176
	s_waitcnt lgkmcnt(6)
	v_mul_u32_u24_sdwa v135, v127, v77 dst_sel:DWORD dst_unused:UNUSED_PAD src0_sel:WORD_0 src1_sel:DWORD
	v_mul_u32_u24_sdwa v134, v127, v77 dst_sel:DWORD dst_unused:UNUSED_PAD src0_sel:WORD_1 src1_sel:DWORD
	v_mul_u32_u24_sdwa v133, v128, v77 dst_sel:DWORD dst_unused:UNUSED_PAD src0_sel:WORD_0 src1_sel:DWORD
	v_mul_u32_u24_sdwa v132, v128, v77 dst_sel:DWORD dst_unused:UNUSED_PAD src0_sel:WORD_1 src1_sel:DWORD
	;; [unrolled: 2-line block ×8, first 2 shown]
	v_mul_u32_u24_sdwa v207, v13, v77 dst_sel:DWORD dst_unused:UNUSED_PAD src0_sel:WORD_1 src1_sel:DWORD
	v_mul_u32_u24_sdwa v206, v14, v77 dst_sel:DWORD dst_unused:UNUSED_PAD src0_sel:WORD_0 src1_sel:DWORD
	v_mul_u32_u24_sdwa v170, v14, v77 dst_sel:DWORD dst_unused:UNUSED_PAD src0_sel:WORD_1 src1_sel:DWORD
	s_waitcnt lgkmcnt(0)
	v_mul_u32_u24_sdwa v128, v9, v77 dst_sel:DWORD dst_unused:UNUSED_PAD src0_sel:WORD_0 src1_sel:DWORD
	v_mul_u32_u24_sdwa v127, v9, v77 dst_sel:DWORD dst_unused:UNUSED_PAD src0_sel:WORD_1 src1_sel:DWORD
	v_sub_f32_e32 v9, v104, v1
	v_mul_u32_u24_sdwa v126, v10, v77 dst_sel:DWORD dst_unused:UNUSED_PAD src0_sel:WORD_0 src1_sel:DWORD
	v_mul_u32_u24_sdwa v125, v10, v77 dst_sel:DWORD dst_unused:UNUSED_PAD src0_sel:WORD_1 src1_sel:DWORD
	v_mul_u32_u24_sdwa v124, v11, v77 dst_sel:DWORD dst_unused:UNUSED_PAD src0_sel:WORD_0 src1_sel:DWORD
	v_mul_u32_u24_sdwa v123, v11, v77 dst_sel:DWORD dst_unused:UNUSED_PAD src0_sel:WORD_1 src1_sel:DWORD
	v_mul_f32_e32 v10, 0x3fb8aa3b, v9
	v_cmp_ngt_f32_e32 vcc_lo, 0xc2ce8ed0, v9
	v_cmp_nlt_f32_e64 s0, 0x42b17218, v9
	v_mul_u32_u24_sdwa v122, v12, v77 dst_sel:DWORD dst_unused:UNUSED_PAD src0_sel:WORD_0 src1_sel:DWORD
	v_mul_u32_u24_sdwa v121, v12, v77 dst_sel:DWORD dst_unused:UNUSED_PAD src0_sel:WORD_1 src1_sel:DWORD
	v_fma_f32 v11, 0x3fb8aa3b, v9, -v10
	v_mul_u32_u24_sdwa v169, v15, v77 dst_sel:DWORD dst_unused:UNUSED_PAD src0_sel:WORD_0 src1_sel:DWORD
	v_mul_u32_u24_sdwa v167, v15, v77 dst_sel:DWORD dst_unused:UNUSED_PAD src0_sel:WORD_1 src1_sel:DWORD
	v_mul_u32_u24_sdwa v164, v16, v77 dst_sel:DWORD dst_unused:UNUSED_PAD src0_sel:WORD_0 src1_sel:DWORD
	v_mul_u32_u24_sdwa v161, v16, v77 dst_sel:DWORD dst_unused:UNUSED_PAD src0_sel:WORD_1 src1_sel:DWORD
	v_fmac_f32_e32 v11, 0x32a5705f, v9
	v_sub_f32_e32 v9, v103, v2
	v_mul_u32_u24_sdwa v176, v158, v77 dst_sel:DWORD dst_unused:UNUSED_PAD src0_sel:WORD_0 src1_sel:DWORD
	v_mul_u32_u24_sdwa v175, v158, v77 dst_sel:DWORD dst_unused:UNUSED_PAD src0_sel:WORD_1 src1_sel:DWORD
	v_mul_u32_u24_sdwa v163, v21, v77 dst_sel:DWORD dst_unused:UNUSED_PAD src0_sel:WORD_1 src1_sel:DWORD
	v_mul_u32_u24_sdwa v165, v22, v77 dst_sel:DWORD dst_unused:UNUSED_PAD src0_sel:WORD_0 src1_sel:DWORD
	v_mul_f32_e32 v12, 0x3fb8aa3b, v9
	v_cmp_ngt_f32_e64 s1, 0xc2ce8ed0, v9
	v_cmp_nlt_f32_e64 s2, 0x42b17218, v9
	v_mul_u32_u24_sdwa v166, v22, v77 dst_sel:DWORD dst_unused:UNUSED_PAD src0_sel:WORD_1 src1_sel:DWORD
	v_mul_u32_u24_sdwa v179, v23, v77 dst_sel:DWORD dst_unused:UNUSED_PAD src0_sel:WORD_1 src1_sel:DWORD
	v_fma_f32 v13, 0x3fb8aa3b, v9, -v12
	v_mul_u32_u24_sdwa v213, v24, v77 dst_sel:DWORD dst_unused:UNUSED_PAD src0_sel:WORD_0 src1_sel:DWORD
	v_mul_u32_u24_sdwa v214, v24, v77 dst_sel:DWORD dst_unused:UNUSED_PAD src0_sel:WORD_1 src1_sel:DWORD
	v_mul_u32_u24_sdwa v219, v19, v77 dst_sel:DWORD dst_unused:UNUSED_PAD src0_sel:WORD_0 src1_sel:DWORD
	v_mul_u32_u24_sdwa v215, v17, v77 dst_sel:DWORD dst_unused:UNUSED_PAD src0_sel:WORD_0 src1_sel:DWORD
	v_fmac_f32_e32 v13, 0x32a5705f, v9
	v_sub_f32_e32 v9, v102, v3
	v_mul_u32_u24_sdwa v216, v17, v77 dst_sel:DWORD dst_unused:UNUSED_PAD src0_sel:WORD_1 src1_sel:DWORD
	v_mul_u32_u24_sdwa v217, v18, v77 dst_sel:DWORD dst_unused:UNUSED_PAD src0_sel:WORD_0 src1_sel:DWORD
	v_mul_u32_u24_sdwa v218, v18, v77 dst_sel:DWORD dst_unused:UNUSED_PAD src0_sel:WORD_1 src1_sel:DWORD
	v_mul_u32_u24_sdwa v148, v19, v77 dst_sel:DWORD dst_unused:UNUSED_PAD src0_sel:WORD_1 src1_sel:DWORD
	v_mul_f32_e32 v14, 0x3fb8aa3b, v9
	v_cmp_ngt_f32_e64 s3, 0xc2ce8ed0, v9
	v_cmp_nlt_f32_e64 s6, 0x42b17218, v9
	v_mul_u32_u24_sdwa v146, v20, v77 dst_sel:DWORD dst_unused:UNUSED_PAD src0_sel:WORD_0 src1_sel:DWORD
	v_mul_u32_u24_sdwa v145, v20, v77 dst_sel:DWORD dst_unused:UNUSED_PAD src0_sel:WORD_1 src1_sel:DWORD
	v_fma_f32 v15, 0x3fb8aa3b, v9, -v14
	v_mul_u32_u24_sdwa v194, v149, v77 dst_sel:DWORD dst_unused:UNUSED_PAD src0_sel:WORD_0 src1_sel:DWORD
	v_mul_u32_u24_sdwa v193, v149, v77 dst_sel:DWORD dst_unused:UNUSED_PAD src0_sel:WORD_1 src1_sel:DWORD
	v_mul_u32_u24_sdwa v192, v150, v77 dst_sel:DWORD dst_unused:UNUSED_PAD src0_sel:WORD_0 src1_sel:DWORD
	v_mul_u32_u24_sdwa v191, v150, v77 dst_sel:DWORD dst_unused:UNUSED_PAD src0_sel:WORD_1 src1_sel:DWORD
	v_fmac_f32_e32 v15, 0x32a5705f, v9
	v_sub_f32_e32 v9, v101, v4
	v_mul_u32_u24_sdwa v190, v151, v77 dst_sel:DWORD dst_unused:UNUSED_PAD src0_sel:WORD_0 src1_sel:DWORD
	v_mul_u32_u24_sdwa v189, v151, v77 dst_sel:DWORD dst_unused:UNUSED_PAD src0_sel:WORD_1 src1_sel:DWORD
	v_mul_u32_u24_sdwa v188, v152, v77 dst_sel:DWORD dst_unused:UNUSED_PAD src0_sel:WORD_0 src1_sel:DWORD
	v_mul_u32_u24_sdwa v187, v152, v77 dst_sel:DWORD dst_unused:UNUSED_PAD src0_sel:WORD_1 src1_sel:DWORD
	v_mul_f32_e32 v16, 0x3fb8aa3b, v9
	v_cmp_ngt_f32_e64 s7, 0xc2ce8ed0, v9
	v_cmp_nlt_f32_e64 s8, 0x42b17218, v9
	v_mul_u32_u24_sdwa v186, v153, v77 dst_sel:DWORD dst_unused:UNUSED_PAD src0_sel:WORD_0 src1_sel:DWORD
	v_mul_u32_u24_sdwa v185, v153, v77 dst_sel:DWORD dst_unused:UNUSED_PAD src0_sel:WORD_1 src1_sel:DWORD
	v_fma_f32 v101, 0x3fb8aa3b, v9, -v16
	v_mul_u32_u24_sdwa v180, v154, v77 dst_sel:DWORD dst_unused:UNUSED_PAD src0_sel:WORD_0 src1_sel:DWORD
	v_mul_u32_u24_sdwa v152, v154, v77 dst_sel:DWORD dst_unused:UNUSED_PAD src0_sel:WORD_1 src1_sel:DWORD
	v_mul_u32_u24_sdwa v151, v155, v77 dst_sel:DWORD dst_unused:UNUSED_PAD src0_sel:WORD_0 src1_sel:DWORD
	v_mul_u32_u24_sdwa v150, v155, v77 dst_sel:DWORD dst_unused:UNUSED_PAD src0_sel:WORD_1 src1_sel:DWORD
	v_fmac_f32_e32 v101, 0x32a5705f, v9
	v_sub_f32_e32 v9, v100, v5
	v_mul_u32_u24_sdwa v149, v156, v77 dst_sel:DWORD dst_unused:UNUSED_PAD src0_sel:WORD_0 src1_sel:DWORD
	v_mul_u32_u24_sdwa v147, v156, v77 dst_sel:DWORD dst_unused:UNUSED_PAD src0_sel:WORD_1 src1_sel:DWORD
	v_mul_u32_u24_sdwa v178, v157, v77 dst_sel:DWORD dst_unused:UNUSED_PAD src0_sel:WORD_0 src1_sel:DWORD
	;; [unrolled: 16-line block ×3, first 2 shown]
	v_mul_u32_u24_sdwa v173, v159, v77 dst_sel:DWORD dst_unused:UNUSED_PAD src0_sel:WORD_1 src1_sel:DWORD
	v_mul_f32_e32 v99, 0x3fb8aa3b, v9
	v_cmp_ngt_f32_e64 s11, 0xc2ce8ed0, v9
	v_cmp_nlt_f32_e64 s12, 0x42b17218, v9
	v_mul_u32_u24_sdwa v172, v160, v77 dst_sel:DWORD dst_unused:UNUSED_PAD src0_sel:WORD_0 src1_sel:DWORD
	v_mul_u32_u24_sdwa v171, v160, v77 dst_sel:DWORD dst_unused:UNUSED_PAD src0_sel:WORD_1 src1_sel:DWORD
	v_fma_f32 v103, 0x3fb8aa3b, v9, -v99
	v_mul_u32_u24_sdwa v20, v211, v77 dst_sel:DWORD dst_unused:UNUSED_PAD src0_sel:WORD_0 src1_sel:DWORD
	v_mul_u32_u24_sdwa v24, v209, v77 dst_sel:DWORD dst_unused:UNUSED_PAD src0_sel:WORD_0 src1_sel:DWORD
	v_mul_u32_u24_sdwa v23, v209, v77 dst_sel:DWORD dst_unused:UNUSED_PAD src0_sel:WORD_1 src1_sel:DWORD
	v_mul_u32_u24_sdwa v22, v210, v77 dst_sel:DWORD dst_unused:UNUSED_PAD src0_sel:WORD_0 src1_sel:DWORD
	v_fmac_f32_e32 v103, 0x32a5705f, v9
	v_sub_f32_e32 v9, v98, v7
	v_mul_u32_u24_sdwa v21, v210, v77 dst_sel:DWORD dst_unused:UNUSED_PAD src0_sel:WORD_1 src1_sel:DWORD
	v_mul_u32_u24_sdwa v19, v211, v77 dst_sel:DWORD dst_unused:UNUSED_PAD src0_sel:WORD_1 src1_sel:DWORD
	v_mul_u32_u24_sdwa v18, v212, v77 dst_sel:DWORD dst_unused:UNUSED_PAD src0_sel:WORD_0 src1_sel:DWORD
	v_mul_u32_u24_sdwa v17, v212, v77 dst_sel:DWORD dst_unused:UNUSED_PAD src0_sel:WORD_1 src1_sel:DWORD
	v_mul_f32_e32 v98, 0x3fb8aa3b, v9
	v_cmp_ngt_f32_e64 s13, 0xc2ce8ed0, v9
	v_cmp_nlt_f32_e64 s14, 0x42b17218, v9
	v_fma_f32 v104, 0x3fb8aa3b, v9, -v98
	v_fmac_f32_e32 v104, 0x32a5705f, v9
	v_sub_f32_e32 v9, v97, v8
	v_mul_f32_e32 v97, 0x3fb8aa3b, v9
	v_cmp_ngt_f32_e64 s15, 0xc2ce8ed0, v9
	v_cmp_nlt_f32_e64 s16, 0x42b17218, v9
	v_fma_f32 v158, 0x3fb8aa3b, v9, -v97
	v_fmac_f32_e32 v158, 0x32a5705f, v9
	v_rndne_f32_e32 v9, v10
	v_sub_f32_e32 v10, v10, v9
	v_cvt_i32_f32_e32 v9, v9
	v_add_f32_e32 v10, v10, v11
	v_rndne_f32_e32 v11, v12
	v_exp_f32_e32 v10, v10
	v_sub_f32_e32 v12, v12, v11
	v_add_f32_e32 v12, v12, v13
	v_rndne_f32_e32 v13, v14
	v_ldexp_f32 v9, v10, v9
	v_cvt_i32_f32_e32 v10, v11
	v_sub_f32_e32 v14, v14, v13
	v_exp_f32_e32 v11, v12
	v_cndmask_b32_e32 v9, 0, v9, vcc_lo
	v_add_f32_e32 v14, v14, v15
	v_rndne_f32_e32 v15, v16
	v_cndmask_b32_e64 v9, 0x7f800000, v9, s0
	s_or_b32 s0, s43, 32
	v_exp_f32_e32 v12, v14
	v_sub_f32_e32 v16, v16, v15
	v_ldexp_f32 v10, v11, v10
	v_cvt_i32_f32_e32 v11, v13
	v_fmac_f32_e32 v62, v225, v9
	v_add_f32_e32 v16, v16, v101
	v_rndne_f32_e32 v101, v100
	v_cndmask_b32_e64 v10, 0, v10, s1
	s_mul_hi_i32 s1, s0, s46
	v_ldexp_f32 v11, v12, v11
	v_exp_f32_e32 v13, v16
	v_sub_f32_e32 v100, v100, v101
	v_cvt_i32_f32_e32 v12, v15
	v_cndmask_b32_e64 v10, 0x7f800000, v10, s2
	v_cndmask_b32_e64 v11, 0, v11, s3
	s_mul_i32 s0, s0, s46
	v_add_f32_e32 v100, v100, v102
	v_rndne_f32_e32 v102, v99
	s_lshl_b64 s[0:1], s[0:1], 2
	v_cndmask_b32_e64 v11, 0x7f800000, v11, s6
	v_ldexp_f32 v12, v13, v12
	v_exp_f32_e32 v14, v100
	v_sub_f32_e32 v99, v99, v102
	v_cvt_i32_f32_e32 v13, v101
	s_add_u32 s0, s40, s0
	v_cndmask_b32_e64 v12, 0, v12, s7
	s_addc_u32 s1, s41, s1
	v_add_f32_e32 v99, v99, v103
	v_rndne_f32_e32 v103, v98
	v_cndmask_b32_e64 v12, 0x7f800000, v12, s8
	v_ldexp_f32 v13, v14, v13
	v_exp_f32_e32 v15, v99
	v_sub_f32_e32 v98, v98, v103
	v_cvt_i32_f32_e32 v14, v102
	v_cndmask_b32_e64 v13, 0, v13, s9
	v_add_f32_e32 v98, v98, v104
	v_rndne_f32_e32 v104, v97
	v_cndmask_b32_e64 v13, 0x7f800000, v13, s10
	v_ldexp_f32 v14, v15, v14
	v_exp_f32_e32 v16, v98
	v_sub_f32_e32 v97, v97, v104
	v_cvt_i32_f32_e32 v15, v103
	v_cndmask_b32_e64 v14, 0, v14, s11
	v_add_f32_e32 v97, v97, v158
	v_cndmask_b32_e64 v14, 0x7f800000, v14, s12
	v_ldexp_f32 v15, v16, v15
	v_exp_f32_e32 v97, v97
	v_cvt_i32_f32_e32 v16, v104
	v_cndmask_b32_e64 v15, 0, v15, s13
	v_cndmask_b32_e64 v15, 0x7f800000, v15, s14
	v_ldexp_f32 v16, v97, v16
	v_cvt_f16_f32_e32 v97, v9
	v_mov_b32_e32 v9, v61
	v_add_f32_e32 v61, v116, v119
	v_cndmask_b32_e64 v16, 0, v16, s15
	v_mul_u32_u24_sdwa v97, v97, v77 dst_sel:DWORD dst_unused:UNUSED_PAD src0_sel:WORD_0 src1_sel:DWORD
	v_fmac_f32_e32 v61, v9, v10
	v_mov_b32_e32 v9, v60
	v_cndmask_b32_e64 v16, 0x7f800000, v16, s16
	v_pk_mul_f16 v95, v95, v97
	v_pk_mul_f16 v96, v96, v97
	v_cvt_f16_f32_e32 v97, v10
	v_add_f32_e32 v60, v114, v117
	v_mov_b32_e32 v10, v54
	v_mul_u32_u24_sdwa v97, v97, v77 dst_sel:DWORD dst_unused:UNUSED_PAD src0_sel:WORD_0 src1_sel:DWORD
	v_fmac_f32_e32 v60, v9, v11
	v_mov_b32_e32 v9, v59
	v_add_f32_e32 v59, v112, v115
	v_pk_mul_f16 v93, v93, v97
	v_pk_mul_f16 v94, v94, v97
	v_cvt_f16_f32_e32 v97, v11
	v_fmac_f32_e32 v59, v9, v12
	v_mov_b32_e32 v9, v58
	v_add_f32_e32 v58, v110, v113
	v_mul_u32_u24_sdwa v97, v97, v77 dst_sel:DWORD dst_unused:UNUSED_PAD src0_sel:WORD_0 src1_sel:DWORD
	v_fmac_f32_e32 v58, v9, v13
	v_mov_b32_e32 v9, v57
	v_pk_mul_f16 v91, v91, v97
	v_pk_mul_f16 v92, v92, v97
	v_cvt_f16_f32_e32 v97, v12
	v_add_f32_e32 v57, v107, v111
	v_mul_u32_u24_sdwa v97, v97, v77 dst_sel:DWORD dst_unused:UNUSED_PAD src0_sel:WORD_0 src1_sel:DWORD
	v_fmac_f32_e32 v57, v9, v14
	v_mov_b32_e32 v9, v55
	v_add_f32_e32 v55, v105, v108
	v_pk_mul_f16 v89, v89, v97
	v_pk_mul_f16 v90, v90, v97
	v_cvt_f16_f32_e32 v97, v13
	v_fmac_f32_e32 v55, v9, v15
	v_add_f32_e32 v9, v106, v109
	v_mul_u32_u24_sdwa v97, v97, v77 dst_sel:DWORD dst_unused:UNUSED_PAD src0_sel:WORD_0 src1_sel:DWORD
	v_mov_b32_e32 v54, v9
	v_pk_mul_f16 v87, v87, v97
	v_pk_mul_f16 v88, v88, v97
	v_cvt_f16_f32_e32 v97, v14
	v_fmac_f32_e32 v54, v10, v16
	v_mul_u32_u24_sdwa v97, v97, v77 dst_sel:DWORD dst_unused:UNUSED_PAD src0_sel:WORD_0 src1_sel:DWORD
	v_pk_mul_f16 v85, v85, v97
	v_pk_mul_f16 v86, v86, v97
	v_cvt_f16_f32_e32 v97, v15
	v_mul_u32_u24_sdwa v97, v97, v77 dst_sel:DWORD dst_unused:UNUSED_PAD src0_sel:WORD_0 src1_sel:DWORD
	v_pk_mul_f16 v98, v83, v97
	v_cvt_f16_f32_e32 v83, v16
	v_pk_mul_f16 v97, v84, v97
	v_mul_u32_u24_sdwa v83, v83, v77 dst_sel:DWORD dst_unused:UNUSED_PAD src0_sel:WORD_0 src1_sel:DWORD
	v_pk_mul_f16 v99, v82, v83
	v_pk_mul_f16 v100, v81, v83
	ds_read2_b64 v[81:84], v73 offset1:32
	s_waitcnt lgkmcnt(0)
	v_pk_fma_f16 v87, v81, v168, v87
	v_pk_fma_f16 v88, v82, v168, v88
	;; [unrolled: 1-line block ×18, first 2 shown]
	ds_read_b128 v[85:88], v70 offset:192
	v_pk_fma_f16 v95, v83, v215, v95
	v_pk_fma_f16 v96, v84, v215, v96
	;; [unrolled: 1-line block ×13, first 2 shown]
	s_waitcnt lgkmcnt(0)
	v_mul_u32_u24_sdwa v162, v85, v77 dst_sel:DWORD dst_unused:UNUSED_PAD src0_sel:WORD_0 src1_sel:DWORD
	v_mul_u32_u24_sdwa v165, v85, v77 dst_sel:DWORD dst_unused:UNUSED_PAD src0_sel:WORD_1 src1_sel:DWORD
	v_pk_fma_f16 v85, v83, v145, v81
	ds_read_b128 v[81:84], v70 offset:208
	v_mul_u32_u24_sdwa v168, v86, v77 dst_sel:DWORD dst_unused:UNUSED_PAD src0_sel:WORD_0 src1_sel:DWORD
	v_mul_u32_u24_sdwa v166, v86, v77 dst_sel:DWORD dst_unused:UNUSED_PAD src0_sel:WORD_1 src1_sel:DWORD
	v_mul_u32_u24_sdwa v163, v87, v77 dst_sel:DWORD dst_unused:UNUSED_PAD src0_sel:WORD_0 src1_sel:DWORD
	v_mul_u32_u24_sdwa v160, v87, v77 dst_sel:DWORD dst_unused:UNUSED_PAD src0_sel:WORD_1 src1_sel:DWORD
	;; [unrolled: 2-line block ×3, first 2 shown]
	s_waitcnt lgkmcnt(0)
	v_mul_u32_u24_sdwa v184, v81, v77 dst_sel:DWORD dst_unused:UNUSED_PAD src0_sel:WORD_0 src1_sel:DWORD
	v_mul_u32_u24_sdwa v183, v81, v77 dst_sel:DWORD dst_unused:UNUSED_PAD src0_sel:WORD_1 src1_sel:DWORD
	v_mul_u32_u24_sdwa v182, v82, v77 dst_sel:DWORD dst_unused:UNUSED_PAD src0_sel:WORD_0 src1_sel:DWORD
	v_mul_u32_u24_sdwa v181, v82, v77 dst_sel:DWORD dst_unused:UNUSED_PAD src0_sel:WORD_1 src1_sel:DWORD
	;; [unrolled: 2-line block ×4, first 2 shown]
	ds_read2_b64 v[81:84], v73 offset0:64 offset1:96
	s_waitcnt lgkmcnt(0)
	v_pk_fma_f16 v86, v81, v208, v95
	v_pk_fma_f16 v87, v82, v208, v96
	;; [unrolled: 1-line block ×15, first 2 shown]
	ds_read_b128 v[85:88], v70 offset:224
	v_pk_fma_f16 v90, v82, v170, v90
	v_pk_fma_f16 v99, v82, v167, v102
	;; [unrolled: 1-line block ×16, first 2 shown]
	s_waitcnt lgkmcnt(0)
	v_mul_u32_u24_sdwa v139, v85, v77 dst_sel:DWORD dst_unused:UNUSED_PAD src0_sel:WORD_0 src1_sel:DWORD
	v_mul_u32_u24_sdwa v141, v85, v77 dst_sel:DWORD dst_unused:UNUSED_PAD src0_sel:WORD_1 src1_sel:DWORD
	v_pk_fma_f16 v85, v83, v136, v81
	ds_read_b128 v[81:84], v70 offset:240
	v_mul_u32_u24_sdwa v143, v86, v77 dst_sel:DWORD dst_unused:UNUSED_PAD src0_sel:WORD_0 src1_sel:DWORD
	v_mul_u32_u24_sdwa v142, v86, v77 dst_sel:DWORD dst_unused:UNUSED_PAD src0_sel:WORD_1 src1_sel:DWORD
	v_mul_u32_u24_sdwa v140, v87, v77 dst_sel:DWORD dst_unused:UNUSED_PAD src0_sel:WORD_0 src1_sel:DWORD
	v_mul_u32_u24_sdwa v138, v87, v77 dst_sel:DWORD dst_unused:UNUSED_PAD src0_sel:WORD_1 src1_sel:DWORD
	;; [unrolled: 2-line block ×3, first 2 shown]
	s_waitcnt lgkmcnt(0)
	v_mul_u32_u24_sdwa v170, v81, v77 dst_sel:DWORD dst_unused:UNUSED_PAD src0_sel:WORD_0 src1_sel:DWORD
	v_mul_u32_u24_sdwa v169, v81, v77 dst_sel:DWORD dst_unused:UNUSED_PAD src0_sel:WORD_1 src1_sel:DWORD
	v_mul_u32_u24_sdwa v167, v82, v77 dst_sel:DWORD dst_unused:UNUSED_PAD src0_sel:WORD_0 src1_sel:DWORD
	v_mul_u32_u24_sdwa v164, v82, v77 dst_sel:DWORD dst_unused:UNUSED_PAD src0_sel:WORD_1 src1_sel:DWORD
	;; [unrolled: 2-line block ×4, first 2 shown]
	ds_read2_b64 v[81:84], v73 offset0:128 offset1:160
	s_waitcnt lgkmcnt(0)
	v_pk_fma_f16 v86, v81, v205, v100
	v_pk_fma_f16 v87, v82, v205, v101
	;; [unrolled: 1-line block ×19, first 2 shown]
	ds_read_b128 v[85:88], v70 offset:256
	v_pk_fma_f16 v93, v84, v196, v93
	v_pk_fma_f16 v196, v83, v195, v91
	;; [unrolled: 1-line block ×12, first 2 shown]
	s_waitcnt lgkmcnt(0)
	v_mul_u32_u24_sdwa v97, v85, v77 dst_sel:DWORD dst_unused:UNUSED_PAD src0_sel:WORD_0 src1_sel:DWORD
	v_mul_u32_u24_sdwa v99, v85, v77 dst_sel:DWORD dst_unused:UNUSED_PAD src0_sel:WORD_1 src1_sel:DWORD
	v_pk_fma_f16 v85, v83, v132, v81
	v_mul_u32_u24_sdwa v95, v88, v77 dst_sel:DWORD dst_unused:UNUSED_PAD src0_sel:WORD_0 src1_sel:DWORD
	v_mul_u32_u24_sdwa v94, v88, v77 dst_sel:DWORD dst_unused:UNUSED_PAD src0_sel:WORD_1 src1_sel:DWORD
	ds_read_b128 v[81:84], v70 offset:272
	ds_read2_b64 v[88:91], v73 offset0:192 offset1:224
	v_mul_u32_u24_sdwa v101, v86, v77 dst_sel:DWORD dst_unused:UNUSED_PAD src0_sel:WORD_0 src1_sel:DWORD
	v_mul_u32_u24_sdwa v100, v86, v77 dst_sel:DWORD dst_unused:UNUSED_PAD src0_sel:WORD_1 src1_sel:DWORD
	v_mul_u32_u24_sdwa v98, v87, v77 dst_sel:DWORD dst_unused:UNUSED_PAD src0_sel:WORD_0 src1_sel:DWORD
	v_mul_u32_u24_sdwa v96, v87, v77 dst_sel:DWORD dst_unused:UNUSED_PAD src0_sel:WORD_1 src1_sel:DWORD
	s_waitcnt lgkmcnt(1)
	v_mul_u32_u24_sdwa v144, v81, v77 dst_sel:DWORD dst_unused:UNUSED_PAD src0_sel:WORD_0 src1_sel:DWORD
	v_mul_u32_u24_sdwa v135, v81, v77 dst_sel:DWORD dst_unused:UNUSED_PAD src0_sel:WORD_1 src1_sel:DWORD
	v_mul_u32_u24_sdwa v134, v82, v77 dst_sel:DWORD dst_unused:UNUSED_PAD src0_sel:WORD_0 src1_sel:DWORD
	v_mul_u32_u24_sdwa v133, v82, v77 dst_sel:DWORD dst_unused:UNUSED_PAD src0_sel:WORD_1 src1_sel:DWORD
	;; [unrolled: 2-line block ×3, first 2 shown]
	s_waitcnt lgkmcnt(0)
	v_pk_fma_f16 v84, v88, v194, v198
	v_pk_fma_f16 v86, v89, v194, v197
	v_pk_fma_f16 v87, v88, v193, v199
	v_pk_fma_f16 v93, v89, v193, v93
	v_pk_fma_f16 v193, v88, v192, v196
	v_pk_fma_f16 v92, v89, v192, v92
	v_pk_fma_f16 v192, v88, v191, v195
	v_pk_fma_f16 v191, v89, v191, v200
	v_pk_fma_f16 v194, v88, v190, v201
	v_pk_fma_f16 v195, v88, v189, v203
	v_pk_fma_f16 v196, v88, v188, v205
	v_pk_fma_f16 v197, v89, v188, v206
	v_pk_fma_f16 v85, v88, v187, v85
	v_pk_fma_f16 v88, v89, v187, v207
	v_pk_fma_f16 v198, v90, v186, v84
	v_pk_fma_f16 v199, v91, v186, v86
	v_pk_fma_f16 v200, v90, v185, v87
	v_pk_fma_f16 v201, v91, v185, v93
	ds_read_b128 v[185:188], v70 offset:288
	v_pk_fma_f16 v190, v89, v190, v202
	v_pk_fma_f16 v189, v89, v189, v204
	;; [unrolled: 1-line block ×14, first 2 shown]
	v_mul_u32_u24_sdwa v132, v83, v77 dst_sel:DWORD dst_unused:UNUSED_PAD src0_sel:WORD_0 src1_sel:DWORD
	v_mul_u32_u24_sdwa v83, v83, v77 dst_sel:DWORD dst_unused:UNUSED_PAD src0_sel:WORD_1 src1_sel:DWORD
	s_waitcnt lgkmcnt(0)
	v_mul_u32_u24_sdwa v87, v185, v77 dst_sel:DWORD dst_unused:UNUSED_PAD src0_sel:WORD_0 src1_sel:DWORD
	v_mul_u32_u24_sdwa v89, v185, v77 dst_sel:DWORD dst_unused:UNUSED_PAD src0_sel:WORD_1 src1_sel:DWORD
	v_mul_u32_u24_sdwa v91, v186, v77 dst_sel:DWORD dst_unused:UNUSED_PAD src0_sel:WORD_0 src1_sel:DWORD
	v_mul_u32_u24_sdwa v90, v186, v77 dst_sel:DWORD dst_unused:UNUSED_PAD src0_sel:WORD_1 src1_sel:DWORD
	;; [unrolled: 2-line block ×4, first 2 shown]
	ds_read_b128 v[185:188], v70 offset:304
	s_waitcnt lgkmcnt(0)
	v_mul_u32_u24_sdwa v180, v185, v77 dst_sel:DWORD dst_unused:UNUSED_PAD src0_sel:WORD_0 src1_sel:DWORD
	v_mul_u32_u24_sdwa v152, v185, v77 dst_sel:DWORD dst_unused:UNUSED_PAD src0_sel:WORD_1 src1_sel:DWORD
	v_mul_u32_u24_sdwa v151, v186, v77 dst_sel:DWORD dst_unused:UNUSED_PAD src0_sel:WORD_0 src1_sel:DWORD
	v_mul_u32_u24_sdwa v150, v186, v77 dst_sel:DWORD dst_unused:UNUSED_PAD src0_sel:WORD_1 src1_sel:DWORD
	;; [unrolled: 2-line block ×4, first 2 shown]
	ds_read2_b64 v[185:188], v78 offset1:32
	s_waitcnt lgkmcnt(0)
	v_pk_fma_f16 v198, v185, v178, v198
	v_pk_fma_f16 v178, v186, v178, v199
	;; [unrolled: 1-line block ×26, first 2 shown]
	ds_read_b128 v[171:174], v70 offset:320
	v_pk_fma_f16 v190, v187, v131, v190
	v_pk_fma_f16 v189, v188, v131, v189
	;; [unrolled: 1-line block ×6, first 2 shown]
	ds_read_b128 v[185:188], v70 offset:336
	s_waitcnt lgkmcnt(1)
	v_mul_u32_u24_sdwa v157, v171, v77 dst_sel:DWORD dst_unused:UNUSED_PAD src0_sel:WORD_0 src1_sel:DWORD
	v_mul_u32_u24_sdwa v154, v171, v77 dst_sel:DWORD dst_unused:UNUSED_PAD src0_sel:WORD_1 src1_sel:DWORD
	v_mul_u32_u24_sdwa v156, v172, v77 dst_sel:DWORD dst_unused:UNUSED_PAD src0_sel:WORD_0 src1_sel:DWORD
	v_mul_u32_u24_sdwa v155, v172, v77 dst_sel:DWORD dst_unused:UNUSED_PAD src0_sel:WORD_1 src1_sel:DWORD
	;; [unrolled: 2-line block ×4, first 2 shown]
	s_waitcnt lgkmcnt(0)
	v_mul_u32_u24_sdwa v175, v185, v77 dst_sel:DWORD dst_unused:UNUSED_PAD src0_sel:WORD_0 src1_sel:DWORD
	v_mul_u32_u24_sdwa v178, v185, v77 dst_sel:DWORD dst_unused:UNUSED_PAD src0_sel:WORD_1 src1_sel:DWORD
	v_mul_u32_u24_sdwa v177, v186, v77 dst_sel:DWORD dst_unused:UNUSED_PAD src0_sel:WORD_0 src1_sel:DWORD
	v_mul_u32_u24_sdwa v176, v186, v77 dst_sel:DWORD dst_unused:UNUSED_PAD src0_sel:WORD_1 src1_sel:DWORD
	;; [unrolled: 2-line block ×4, first 2 shown]
	ds_read2_b64 v[185:188], v78 offset0:64 offset1:96
	s_waitcnt lgkmcnt(0)
	v_pk_fma_f16 v191, v185, v20, v191
	v_pk_fma_f16 v20, v186, v20, v202
	;; [unrolled: 1-line block ×18, first 2 shown]
	ds_read_b128 v[17:20], v70 offset:352
	v_pk_fma_f16 v201, v187, v128, v196
	v_pk_fma_f16 v128, v188, v128, v24
	;; [unrolled: 1-line block ×14, first 2 shown]
	ds_read2_b64 v[21:24], v78 offset0:128 offset1:160
	s_waitcnt lgkmcnt(1)
	v_mul_u32_u24_sdwa v191, v17, v77 dst_sel:DWORD dst_unused:UNUSED_PAD src0_sel:WORD_0 src1_sel:DWORD
	v_mul_u32_u24_sdwa v192, v17, v77 dst_sel:DWORD dst_unused:UNUSED_PAD src0_sel:WORD_1 src1_sel:DWORD
	v_mul_u32_u24_sdwa v194, v18, v77 dst_sel:DWORD dst_unused:UNUSED_PAD src0_sel:WORD_0 src1_sel:DWORD
	v_mul_u32_u24_sdwa v193, v18, v77 dst_sel:DWORD dst_unused:UNUSED_PAD src0_sel:WORD_1 src1_sel:DWORD
	;; [unrolled: 2-line block ×4, first 2 shown]
	ds_read_b128 v[17:20], v70 offset:368
	s_waitcnt lgkmcnt(1)
	v_pk_fma_f16 v126, v22, v168, v126
	v_pk_fma_f16 v125, v22, v166, v125
	;; [unrolled: 1-line block ×3, first 2 shown]
	s_waitcnt lgkmcnt(0)
	v_mul_u32_u24_sdwa v200, v17, v77 dst_sel:DWORD dst_unused:UNUSED_PAD src0_sel:WORD_0 src1_sel:DWORD
	v_mul_u32_u24_sdwa v199, v17, v77 dst_sel:DWORD dst_unused:UNUSED_PAD src0_sel:WORD_1 src1_sel:DWORD
	v_mul_u32_u24_sdwa v198, v18, v77 dst_sel:DWORD dst_unused:UNUSED_PAD src0_sel:WORD_0 src1_sel:DWORD
	v_mul_u32_u24_sdwa v197, v18, v77 dst_sel:DWORD dst_unused:UNUSED_PAD src0_sel:WORD_1 src1_sel:DWORD
	v_mul_u32_u24_sdwa v196, v19, v77 dst_sel:DWORD dst_unused:UNUSED_PAD src0_sel:WORD_0 src1_sel:DWORD
	v_mul_u32_u24_sdwa v195, v19, v77 dst_sel:DWORD dst_unused:UNUSED_PAD src0_sel:WORD_1 src1_sel:DWORD
	v_mul_u32_u24_sdwa v186, v20, v77 dst_sel:DWORD dst_unused:UNUSED_PAD src0_sel:WORD_0 src1_sel:DWORD
	v_mul_u32_u24_sdwa v185, v20, v77 dst_sel:DWORD dst_unused:UNUSED_PAD src0_sel:WORD_1 src1_sel:DWORD
	v_pk_fma_f16 v17, v21, v162, v201
	v_pk_fma_f16 v18, v22, v162, v128
	;; [unrolled: 1-line block ×23, first 2 shown]
	ds_read_b128 v[121:124], v70 offset:384
	ds_read_b128 v[181:184], v70 offset:400
	v_pk_fma_f16 v163, v23, v148, v163
	v_pk_fma_f16 v148, v24, v148, v160
	;; [unrolled: 1-line block ×6, first 2 shown]
	s_waitcnt lgkmcnt(1)
	v_mul_u32_u24_sdwa v20, v121, v77 dst_sel:DWORD dst_unused:UNUSED_PAD src0_sel:WORD_0 src1_sel:DWORD
	v_mul_u32_u24_sdwa v22, v121, v77 dst_sel:DWORD dst_unused:UNUSED_PAD src0_sel:WORD_1 src1_sel:DWORD
	v_mul_u32_u24_sdwa v24, v122, v77 dst_sel:DWORD dst_unused:UNUSED_PAD src0_sel:WORD_0 src1_sel:DWORD
	v_mul_u32_u24_sdwa v23, v122, v77 dst_sel:DWORD dst_unused:UNUSED_PAD src0_sel:WORD_1 src1_sel:DWORD
	;; [unrolled: 2-line block ×4, first 2 shown]
	s_waitcnt lgkmcnt(0)
	v_mul_u32_u24_sdwa v123, v181, v77 dst_sel:DWORD dst_unused:UNUSED_PAD src0_sel:WORD_0 src1_sel:DWORD
	v_mul_u32_u24_sdwa v128, v181, v77 dst_sel:DWORD dst_unused:UNUSED_PAD src0_sel:WORD_1 src1_sel:DWORD
	v_mul_u32_u24_sdwa v124, v182, v77 dst_sel:DWORD dst_unused:UNUSED_PAD src0_sel:WORD_0 src1_sel:DWORD
	v_mul_u32_u24_sdwa v125, v182, v77 dst_sel:DWORD dst_unused:UNUSED_PAD src0_sel:WORD_1 src1_sel:DWORD
	;; [unrolled: 2-line block ×4, first 2 shown]
	ds_read2_b64 v[181:184], v78 offset0:192 offset1:224
	s_waitcnt lgkmcnt(0)
	v_pk_fma_f16 v158, v181, v139, v166
	v_pk_fma_f16 v139, v182, v139, v168
	;; [unrolled: 1-line block ×25, first 2 shown]
	ds_read_b128 v[140:143], v70 offset:416
	ds_read_b128 v[158:161], v70 offset:432
	v_pk_fma_f16 v170, v184, v170, v139
	v_pk_fma_f16 v201, v183, v104, v163
	;; [unrolled: 1-line block ×7, first 2 shown]
	s_waitcnt lgkmcnt(1)
	v_mul_u32_u24_sdwa v102, v141, v77 dst_sel:DWORD dst_unused:UNUSED_PAD src0_sel:WORD_0 src1_sel:DWORD
	v_mul_u32_u24_sdwa v103, v141, v77 dst_sel:DWORD dst_unused:UNUSED_PAD src0_sel:WORD_1 src1_sel:DWORD
	v_mul_u32_u24_sdwa v104, v142, v77 dst_sel:DWORD dst_unused:UNUSED_PAD src0_sel:WORD_0 src1_sel:DWORD
	v_mul_u32_u24_sdwa v136, v142, v77 dst_sel:DWORD dst_unused:UNUSED_PAD src0_sel:WORD_1 src1_sel:DWORD
	;; [unrolled: 2-line block ×3, first 2 shown]
	s_waitcnt lgkmcnt(0)
	v_mul_u32_u24_sdwa v141, v158, v77 dst_sel:DWORD dst_unused:UNUSED_PAD src0_sel:WORD_0 src1_sel:DWORD
	v_mul_u32_u24_sdwa v142, v158, v77 dst_sel:DWORD dst_unused:UNUSED_PAD src0_sel:WORD_1 src1_sel:DWORD
	v_mul_u32_u24_sdwa v143, v159, v77 dst_sel:DWORD dst_unused:UNUSED_PAD src0_sel:WORD_0 src1_sel:DWORD
	v_mul_u32_u24_sdwa v145, v159, v77 dst_sel:DWORD dst_unused:UNUSED_PAD src0_sel:WORD_1 src1_sel:DWORD
	v_mul_u32_u24_sdwa v146, v160, v77 dst_sel:DWORD dst_unused:UNUSED_PAD src0_sel:WORD_0 src1_sel:DWORD
	v_mul_u32_u24_sdwa v148, v160, v77 dst_sel:DWORD dst_unused:UNUSED_PAD src0_sel:WORD_1 src1_sel:DWORD
	v_mul_u32_u24_sdwa v158, v161, v77 dst_sel:DWORD dst_unused:UNUSED_PAD src0_sel:WORD_0 src1_sel:DWORD
	v_mul_u32_u24_sdwa v159, v161, v77 dst_sel:DWORD dst_unused:UNUSED_PAD src0_sel:WORD_1 src1_sel:DWORD
	ds_read2_b64 v[160:163], v79 offset1:32
	v_mul_u32_u24_sdwa v139, v140, v77 dst_sel:DWORD dst_unused:UNUSED_PAD src0_sel:WORD_0 src1_sel:DWORD
	v_mul_u32_u24_sdwa v140, v140, v77 dst_sel:DWORD dst_unused:UNUSED_PAD src0_sel:WORD_1 src1_sel:DWORD
	s_waitcnt lgkmcnt(0)
	v_pk_fma_f16 v179, v160, v97, v179
	v_pk_fma_f16 v165, v160, v99, v165
	;; [unrolled: 1-line block ×18, first 2 shown]
	v_add_co_u32 v99, vcc_lo, s0, v29
	v_pk_fma_f16 v183, v163, v133, v100
	v_add_co_ci_u32_e64 v100, null, s1, v30, vcc_lo
	v_add_co_u32 v99, vcc_lo, v99, v76
	v_pk_fma_f16 v164, v162, v132, v164
	v_pk_fma_f16 v184, v163, v132, v98
	v_add_co_ci_u32_e64 v100, null, 0, v100, vcc_lo
	v_add_co_u32 v132, vcc_lo, s0, v31
	v_pk_fma_f16 v167, v162, v133, v167
	v_add_co_ci_u32_e64 v133, null, s1, v32, vcc_lo
	v_pk_fma_f16 v201, v163, v82, v181
	v_add_co_u32 v181, vcc_lo, v132, v76
	v_pk_fma_f16 v165, v162, v135, v165
	v_pk_fma_f16 v166, v162, v134, v166
	;; [unrolled: 1-line block ×3, first 2 shown]
	v_add_co_ci_u32_e64 v182, null, 0, v133, vcc_lo
	ds_read2_b64 v[132:135], v79 offset0:64 offset1:96
	v_pk_fma_f16 v144, v163, v144, v97
	v_pk_fma_f16 v168, v162, v83, v168
	;; [unrolled: 1-line block ×6, first 2 shown]
	ds_read_b128 v[95:98], v70 offset:448
	s_waitcnt lgkmcnt(1)
	v_pk_fma_f16 v161, v132, v87, v161
	v_pk_fma_f16 v87, v133, v87, v144
	;; [unrolled: 1-line block ×23, first 2 shown]
	ds_read2_b64 v[149:152], v79 offset0:128 offset1:160
	v_pk_fma_f16 v132, v132, v84, v160
	v_pk_fma_f16 v160, v134, v180, v161
	;; [unrolled: 1-line block ×9, first 2 shown]
	ds_read_b128 v[132:135], v70 offset:480
	ds_read_b128 v[88:91], v70 offset:464
	s_waitcnt lgkmcnt(3)
	v_mul_u32_u24_sdwa v83, v95, v77 dst_sel:DWORD dst_unused:UNUSED_PAD src0_sel:WORD_0 src1_sel:DWORD
	v_mul_u32_u24_sdwa v82, v95, v77 dst_sel:DWORD dst_unused:UNUSED_PAD src0_sel:WORD_1 src1_sel:DWORD
	v_mul_u32_u24_sdwa v81, v96, v77 dst_sel:DWORD dst_unused:UNUSED_PAD src0_sel:WORD_0 src1_sel:DWORD
	v_mul_u32_u24_sdwa v94, v96, v77 dst_sel:DWORD dst_unused:UNUSED_PAD src0_sel:WORD_1 src1_sel:DWORD
	;; [unrolled: 2-line block ×4, first 2 shown]
	s_waitcnt lgkmcnt(2)
	v_pk_fma_f16 v160, v149, v157, v160
	v_pk_fma_f16 v157, v150, v157, v161
	;; [unrolled: 1-line block ×11, first 2 shown]
	ds_read2_b64 v[160:163], v79 offset0:192 offset1:224
	v_pk_fma_f16 v165, v149, v155, v165
	v_pk_fma_f16 v166, v150, v155, v166
	;; [unrolled: 1-line block ×21, first 2 shown]
	s_waitcnt lgkmcnt(0)
	v_pk_fma_f16 v171, v160, v191, v129
	v_pk_fma_f16 v176, v161, v191, v149
	;; [unrolled: 1-line block ×5, first 2 shown]
	ds_read_b128 v[153:156], v70 offset:496
	ds_read2_b64 v[164:167], v80 offset1:32
	v_mul_u32_u24_sdwa v180, v132, v77 dst_sel:DWORD dst_unused:UNUSED_PAD src0_sel:WORD_0 src1_sel:DWORD
	v_mul_u32_u24_sdwa v183, v132, v77 dst_sel:DWORD dst_unused:UNUSED_PAD src0_sel:WORD_1 src1_sel:DWORD
	ds_read2_b64 v[129:132], v80 offset0:64 offset1:96
	v_pk_fma_f16 v144, v160, v192, v144
	v_pk_fma_f16 v157, v160, v194, v157
	;; [unrolled: 1-line block ×5, first 2 shown]
	ds_read2_b64 v[149:152], v80 offset0:128 offset1:160
	v_pk_fma_f16 v192, v160, v189, v168
	v_pk_fma_f16 v189, v161, v189, v173
	;; [unrolled: 1-line block ×7, first 2 shown]
	ds_read2_b64 v[168:171], v80 offset0:192 offset1:224
	s_waitcnt lgkmcnt(0)
	s_barrier
	buffer_gl0_inv
	global_load_dwordx4 v[172:175], v[99:100], off
	v_pk_fma_f16 v187, v163, v200, v176
	v_pk_fma_f16 v188, v163, v199, v177
	;; [unrolled: 1-line block ×4, first 2 shown]
	global_load_dwordx4 v[176:179], v[181:182], off
	v_pk_fma_f16 v144, v162, v199, v144
	v_pk_fma_f16 v157, v162, v198, v157
	v_pk_fma_f16 v101, v163, v198, v101
	v_pk_fma_f16 v191, v162, v196, v191
	v_pk_fma_f16 v181, v162, v195, v192
	v_pk_fma_f16 v182, v163, v195, v189
	v_pk_fma_f16 v147, v162, v186, v147
	v_pk_fma_f16 v93, v163, v186, v93
	v_pk_fma_f16 v160, v162, v185, v160
	v_pk_fma_f16 v92, v163, v185, v92
	v_pk_fma_f16 v190, v163, v196, v190
	v_pk_fma_f16 v161, v164, v20, v161
	v_pk_fma_f16 v20, v165, v20, v187
	v_pk_fma_f16 v144, v164, v22, v144
	v_pk_fma_f16 v157, v164, v24, v157
	v_pk_fma_f16 v24, v165, v24, v101
	v_pk_fma_f16 v99, v164, v23, v99
	v_pk_fma_f16 v23, v165, v23, v100
	v_pk_fma_f16 v100, v164, v21, v191
	v_pk_fma_f16 v101, v164, v19, v181
	v_pk_fma_f16 v19, v165, v19, v182
	v_pk_fma_f16 v147, v164, v17, v147
	v_pk_fma_f16 v160, v164, v18, v160
	v_pk_fma_f16 v17, v165, v17, v93
	v_pk_fma_f16 v18, v165, v18, v92
	v_pk_fma_f16 v22, v165, v22, v188
	v_pk_fma_f16 v21, v165, v21, v190
	v_pk_fma_f16 v92, v166, v123, v161
	v_pk_fma_f16 v93, v166, v128, v144
	v_pk_fma_f16 v20, v167, v123, v20
	v_pk_fma_f16 v123, v166, v124, v157
	v_pk_fma_f16 v99, v166, v125, v99
	v_pk_fma_f16 v100, v166, v126, v100
	v_pk_fma_f16 v101, v166, v127, v101
	v_pk_fma_f16 v24, v167, v124, v24
	v_pk_fma_f16 v23, v167, v125, v23
	v_pk_fma_f16 v19, v167, v127, v19
	v_pk_fma_f16 v124, v166, v121, v147
	v_pk_fma_f16 v125, v166, v122, v160
	v_pk_fma_f16 v17, v167, v121, v17
	v_pk_fma_f16 v18, v167, v122, v18
	v_pk_fma_f16 v22, v167, v128, v22
	v_pk_fma_f16 v21, v167, v126, v21
	v_pk_fma_f16 v92, v129, v139, v92
	v_pk_fma_f16 v93, v129, v140, v93
	v_pk_fma_f16 v121, v129, v102, v123
	v_pk_fma_f16 v99, v129, v103, v99
	v_pk_fma_f16 v100, v129, v104, v100
	v_pk_fma_f16 v101, v129, v136, v101
	v_pk_fma_f16 v122, v129, v137, v124
	v_pk_fma_f16 v123, v129, v138, v125
	v_pk_fma_f16 v23, v130, v103, v23
	v_pk_fma_f16 v19, v130, v136, v19
	v_pk_fma_f16 v17, v130, v137, v17
	v_pk_fma_f16 v18, v130, v138, v18
	v_pk_fma_f16 v20, v130, v139, v20
	v_pk_fma_f16 v22, v130, v140, v22
	v_pk_fma_f16 v24, v130, v102, v24
	v_pk_fma_f16 v21, v130, v104, v21
	v_pk_fma_f16 v92, v131, v141, v92
	v_pk_fma_f16 v93, v131, v142, v93
	v_pk_fma_f16 v102, v131, v143, v121
	v_pk_fma_f16 v99, v131, v145, v99
	v_pk_fma_f16 v100, v131, v146, v100
	v_pk_fma_f16 v101, v131, v148, v101
	v_pk_fma_f16 v103, v131, v158, v122
	v_pk_fma_f16 v104, v131, v159, v123
	v_pk_fma_f16 v23, v132, v145, v23
	v_pk_fma_f16 v19, v132, v148, v19
	v_pk_fma_f16 v17, v132, v158, v17
	v_pk_fma_f16 v18, v132, v159, v18
	v_mul_u32_u24_sdwa v84, v88, v77 dst_sel:DWORD dst_unused:UNUSED_PAD src0_sel:WORD_0 src1_sel:DWORD
	v_mul_u32_u24_sdwa v85, v88, v77 dst_sel:DWORD dst_unused:UNUSED_PAD src0_sel:WORD_1 src1_sel:DWORD
	v_mul_u32_u24_sdwa v86, v89, v77 dst_sel:DWORD dst_unused:UNUSED_PAD src0_sel:WORD_0 src1_sel:DWORD
	v_mul_u32_u24_sdwa v87, v89, v77 dst_sel:DWORD dst_unused:UNUSED_PAD src0_sel:WORD_1 src1_sel:DWORD
	;; [unrolled: 2-line block ×4, first 2 shown]
	v_pk_fma_f16 v20, v132, v141, v20
	v_pk_fma_f16 v22, v132, v142, v22
	;; [unrolled: 1-line block ×16, first 2 shown]
	v_mul_u32_u24_sdwa v184, v133, v77 dst_sel:DWORD dst_unused:UNUSED_PAD src0_sel:WORD_0 src1_sel:DWORD
	v_mul_u32_u24_sdwa v133, v133, v77 dst_sel:DWORD dst_unused:UNUSED_PAD src0_sel:WORD_1 src1_sel:DWORD
	v_mul_u32_u24_sdwa v201, v134, v77 dst_sel:DWORD dst_unused:UNUSED_PAD src0_sel:WORD_0 src1_sel:DWORD
	v_mul_u32_u24_sdwa v134, v134, v77 dst_sel:DWORD dst_unused:UNUSED_PAD src0_sel:WORD_1 src1_sel:DWORD
	;; [unrolled: 2-line block ×3, first 2 shown]
	v_pk_fma_f16 v20, v150, v83, v20
	v_pk_fma_f16 v22, v150, v82, v22
	;; [unrolled: 1-line block ×16, first 2 shown]
	v_mul_u32_u24_sdwa v189, v153, v77 dst_sel:DWORD dst_unused:UNUSED_PAD src0_sel:WORD_0 src1_sel:DWORD
	v_mul_u32_u24_sdwa v162, v154, v77 dst_sel:DWORD dst_unused:UNUSED_PAD src0_sel:WORD_0 src1_sel:DWORD
	v_mul_u32_u24_sdwa v154, v154, v77 dst_sel:DWORD dst_unused:UNUSED_PAD src0_sel:WORD_1 src1_sel:DWORD
	v_mul_u32_u24_sdwa v163, v155, v77 dst_sel:DWORD dst_unused:UNUSED_PAD src0_sel:WORD_0 src1_sel:DWORD
	v_mul_u32_u24_sdwa v155, v155, v77 dst_sel:DWORD dst_unused:UNUSED_PAD src0_sel:WORD_1 src1_sel:DWORD
	;; [unrolled: 2-line block ×3, first 2 shown]
	v_pk_fma_f16 v20, v152, v84, v20
	v_pk_fma_f16 v22, v152, v85, v22
	;; [unrolled: 1-line block ×26, first 2 shown]
	s_waitcnt vmcnt(1)
	ds_write_b128 v71, v[172:175]
	s_waitcnt vmcnt(0)
	ds_write_b128 v72, v[176:179]
	s_waitcnt lgkmcnt(0)
	s_barrier
	buffer_gl0_inv
	ds_read_b128 v[95:98], v70 offset:512
	ds_read_b128 v[99:102], v70 offset:528
	;; [unrolled: 1-line block ×11, first 2 shown]
	v_mul_u32_u24_sdwa v153, v153, v77 dst_sel:DWORD dst_unused:UNUSED_PAD src0_sel:WORD_1 src1_sel:DWORD
	v_pk_fma_f16 v82, v168, v183, v82
	v_pk_fma_f16 v21, v169, v201, v21
	;; [unrolled: 1-line block ×8, first 2 shown]
	s_waitcnt lgkmcnt(10)
	v_mul_u32_u24_sdwa v103, v95, v77 dst_sel:DWORD dst_unused:UNUSED_PAD src0_sel:WORD_0 src1_sel:DWORD
	v_mul_u32_u24_sdwa v104, v95, v77 dst_sel:DWORD dst_unused:UNUSED_PAD src0_sel:WORD_1 src1_sel:DWORD
	v_mul_u32_u24_sdwa v162, v96, v77 dst_sel:DWORD dst_unused:UNUSED_PAD src0_sel:WORD_0 src1_sel:DWORD
	v_mul_u32_u24_sdwa v163, v96, v77 dst_sel:DWORD dst_unused:UNUSED_PAD src0_sel:WORD_1 src1_sel:DWORD
	;; [unrolled: 2-line block ×4, first 2 shown]
	ds_read_b128 v[95:98], v70 offset:688
	v_pk_fma_f16 v93, v171, v153, v22
	v_pk_fma_f16 v94, v171, v189, v20
	s_waitcnt lgkmcnt(10)
	v_mul_u32_u24_sdwa v171, v99, v77 dst_sel:DWORD dst_unused:UNUSED_PAD src0_sel:WORD_0 src1_sel:DWORD
	v_mul_u32_u24_sdwa v99, v99, v77 dst_sel:DWORD dst_unused:UNUSED_PAD src0_sel:WORD_1 src1_sel:DWORD
	v_mul_u32_u24_sdwa v172, v100, v77 dst_sel:DWORD dst_unused:UNUSED_PAD src0_sel:WORD_0 src1_sel:DWORD
	s_waitcnt lgkmcnt(9)
	v_mul_u32_u24_sdwa v203, v124, v77 dst_sel:DWORD dst_unused:UNUSED_PAD src0_sel:WORD_0 src1_sel:DWORD
	v_mul_u32_u24_sdwa v204, v124, v77 dst_sel:DWORD dst_unused:UNUSED_PAD src0_sel:WORD_1 src1_sel:DWORD
	s_waitcnt lgkmcnt(8)
	v_mul_u32_u24_sdwa v205, v125, v77 dst_sel:DWORD dst_unused:UNUSED_PAD src0_sel:WORD_0 src1_sel:DWORD
	v_mul_u32_u24_sdwa v206, v125, v77 dst_sel:DWORD dst_unused:UNUSED_PAD src0_sel:WORD_1 src1_sel:DWORD
	v_mul_u32_u24_sdwa v207, v126, v77 dst_sel:DWORD dst_unused:UNUSED_PAD src0_sel:WORD_0 src1_sel:DWORD
	v_mul_u32_u24_sdwa v208, v126, v77 dst_sel:DWORD dst_unused:UNUSED_PAD src0_sel:WORD_1 src1_sel:DWORD
	v_mul_u32_u24_sdwa v209, v127, v77 dst_sel:DWORD dst_unused:UNUSED_PAD src0_sel:WORD_0 src1_sel:DWORD
	v_mul_u32_u24_sdwa v210, v127, v77 dst_sel:DWORD dst_unused:UNUSED_PAD src0_sel:WORD_1 src1_sel:DWORD
	v_mul_u32_u24_sdwa v211, v128, v77 dst_sel:DWORD dst_unused:UNUSED_PAD src0_sel:WORD_0 src1_sel:DWORD
	v_mul_u32_u24_sdwa v212, v128, v77 dst_sel:DWORD dst_unused:UNUSED_PAD src0_sel:WORD_1 src1_sel:DWORD
	s_waitcnt lgkmcnt(7)
	v_mul_u32_u24_sdwa v197, v129, v77 dst_sel:DWORD dst_unused:UNUSED_PAD src0_sel:WORD_0 src1_sel:DWORD
	v_mul_u32_u24_sdwa v196, v129, v77 dst_sel:DWORD dst_unused:UNUSED_PAD src0_sel:WORD_1 src1_sel:DWORD
	v_mul_u32_u24_sdwa v195, v130, v77 dst_sel:DWORD dst_unused:UNUSED_PAD src0_sel:WORD_0 src1_sel:DWORD
	v_mul_u32_u24_sdwa v194, v130, v77 dst_sel:DWORD dst_unused:UNUSED_PAD src0_sel:WORD_1 src1_sel:DWORD
	s_waitcnt lgkmcnt(0)
	v_mul_u32_u24_sdwa v178, v95, v77 dst_sel:DWORD dst_unused:UNUSED_PAD src0_sel:WORD_0 src1_sel:DWORD
	v_mul_u32_u24_sdwa v176, v95, v77 dst_sel:DWORD dst_unused:UNUSED_PAD src0_sel:WORD_1 src1_sel:DWORD
	v_mul_u32_u24_sdwa v175, v96, v77 dst_sel:DWORD dst_unused:UNUSED_PAD src0_sel:WORD_0 src1_sel:DWORD
	v_mul_u32_u24_sdwa v174, v96, v77 dst_sel:DWORD dst_unused:UNUSED_PAD src0_sel:WORD_1 src1_sel:DWORD
	;; [unrolled: 2-line block ×4, first 2 shown]
	ds_read2_b64 v[95:98], v73 offset1:32
	v_mul_u32_u24_sdwa v193, v131, v77 dst_sel:DWORD dst_unused:UNUSED_PAD src0_sel:WORD_0 src1_sel:DWORD
	v_mul_u32_u24_sdwa v192, v131, v77 dst_sel:DWORD dst_unused:UNUSED_PAD src0_sel:WORD_1 src1_sel:DWORD
	v_mul_u32_u24_sdwa v184, v137, v77 dst_sel:DWORD dst_unused:UNUSED_PAD src0_sel:WORD_0 src1_sel:DWORD
	v_mul_u32_u24_sdwa v183, v137, v77 dst_sel:DWORD dst_unused:UNUSED_PAD src0_sel:WORD_1 src1_sel:DWORD
	;; [unrolled: 2-line block ×9, first 2 shown]
	v_mul_u32_u24_sdwa v177, v145, v77 dst_sel:DWORD dst_unused:UNUSED_PAD src0_sel:WORD_0 src1_sel:DWORD
	s_waitcnt lgkmcnt(0)
	v_pk_fma_f16 v83, v95, v103, v83
	v_pk_fma_f16 v82, v95, v104, v82
	;; [unrolled: 1-line block ×20, first 2 shown]
	ds_read_b128 v[81:84], v70 offset:704
	v_mul_u32_u24_sdwa v143, v145, v77 dst_sel:DWORD dst_unused:UNUSED_PAD src0_sel:WORD_1 src1_sel:DWORD
	v_mul_u32_u24_sdwa v142, v146, v77 dst_sel:DWORD dst_unused:UNUSED_PAD src0_sel:WORD_0 src1_sel:DWORD
	v_mul_u32_u24_sdwa v141, v146, v77 dst_sel:DWORD dst_unused:UNUSED_PAD src0_sel:WORD_1 src1_sel:DWORD
	v_mul_u32_u24_sdwa v140, v147, v77 dst_sel:DWORD dst_unused:UNUSED_PAD src0_sel:WORD_0 src1_sel:DWORD
	;; [unrolled: 2-line block ×9, first 2 shown]
	v_mul_u32_u24_sdwa v190, v132, v77 dst_sel:DWORD dst_unused:UNUSED_PAD src0_sel:WORD_1 src1_sel:DWORD
	s_waitcnt lgkmcnt(0)
	v_mul_u32_u24_sdwa v160, v81, v77 dst_sel:DWORD dst_unused:UNUSED_PAD src0_sel:WORD_0 src1_sel:DWORD
	v_mul_u32_u24_sdwa v162, v81, v77 dst_sel:DWORD dst_unused:UNUSED_PAD src0_sel:WORD_1 src1_sel:DWORD
	v_mul_u32_u24_sdwa v164, v82, v77 dst_sel:DWORD dst_unused:UNUSED_PAD src0_sel:WORD_0 src1_sel:DWORD
	v_mul_u32_u24_sdwa v163, v82, v77 dst_sel:DWORD dst_unused:UNUSED_PAD src0_sel:WORD_1 src1_sel:DWORD
	;; [unrolled: 2-line block ×4, first 2 shown]
	ds_read_b128 v[81:84], v70 offset:720
	v_mul_u32_u24_sdwa v189, v133, v77 dst_sel:DWORD dst_unused:UNUSED_PAD src0_sel:WORD_0 src1_sel:DWORD
	v_mul_u32_u24_sdwa v188, v133, v77 dst_sel:DWORD dst_unused:UNUSED_PAD src0_sel:WORD_1 src1_sel:DWORD
	v_mul_u32_u24_sdwa v187, v134, v77 dst_sel:DWORD dst_unused:UNUSED_PAD src0_sel:WORD_0 src1_sel:DWORD
	v_mul_u32_u24_sdwa v186, v134, v77 dst_sel:DWORD dst_unused:UNUSED_PAD src0_sel:WORD_1 src1_sel:DWORD
	;; [unrolled: 2-line block ×7, first 2 shown]
	v_pk_fma_f16 v94, v98, v171, v94
	v_pk_fma_f16 v92, v98, v172, v92
	v_mul_u32_u24_sdwa v100, v100, v77 dst_sel:DWORD dst_unused:UNUSED_PAD src0_sel:WORD_1 src1_sel:DWORD
	v_mul_u32_u24_sdwa v198, v101, v77 dst_sel:DWORD dst_unused:UNUSED_PAD src0_sel:WORD_0 src1_sel:DWORD
	v_mul_u32_u24_sdwa v101, v101, v77 dst_sel:DWORD dst_unused:UNUSED_PAD src0_sel:WORD_1 src1_sel:DWORD
	s_waitcnt lgkmcnt(0)
	v_mul_u32_u24_sdwa v172, v81, v77 dst_sel:DWORD dst_unused:UNUSED_PAD src0_sel:WORD_0 src1_sel:DWORD
	v_mul_u32_u24_sdwa v171, v81, v77 dst_sel:DWORD dst_unused:UNUSED_PAD src0_sel:WORD_1 src1_sel:DWORD
	v_mul_u32_u24_sdwa v170, v82, v77 dst_sel:DWORD dst_unused:UNUSED_PAD src0_sel:WORD_0 src1_sel:DWORD
	v_mul_u32_u24_sdwa v169, v82, v77 dst_sel:DWORD dst_unused:UNUSED_PAD src0_sel:WORD_1 src1_sel:DWORD
	;; [unrolled: 2-line block ×4, first 2 shown]
	ds_read2_b64 v[81:84], v73 offset0:64 offset1:96
	v_mul_u32_u24_sdwa v199, v102, v77 dst_sel:DWORD dst_unused:UNUSED_PAD src0_sel:WORD_0 src1_sel:DWORD
	v_mul_u32_u24_sdwa v102, v102, v77 dst_sel:DWORD dst_unused:UNUSED_PAD src0_sel:WORD_1 src1_sel:DWORD
	v_mul_u32_u24_sdwa v200, v121, v77 dst_sel:DWORD dst_unused:UNUSED_PAD src0_sel:WORD_0 src1_sel:DWORD
	v_mul_u32_u24_sdwa v121, v121, v77 dst_sel:DWORD dst_unused:UNUSED_PAD src0_sel:WORD_1 src1_sel:DWORD
	;; [unrolled: 2-line block ×3, first 2 shown]
	v_mul_u32_u24_sdwa v202, v123, v77 dst_sel:DWORD dst_unused:UNUSED_PAD src0_sel:WORD_0 src1_sel:DWORD
	v_pk_fma_f16 v91, v98, v100, v91
	v_pk_fma_f16 v90, v98, v198, v90
	v_mul_u32_u24_sdwa v123, v123, v77 dst_sel:DWORD dst_unused:UNUSED_PAD src0_sel:WORD_1 src1_sel:DWORD
	v_pk_fma_f16 v24, v97, v100, v24
	v_pk_fma_f16 v23, v97, v198, v23
	;; [unrolled: 1-line block ×8, first 2 shown]
	ds_read2_b64 v[9:12], v78 offset0:192 offset1:224
	s_waitcnt lgkmcnt(1)
	v_pk_fma_f16 v93, v82, v121, v93
	v_pk_fma_f16 v92, v82, v201, v92
	;; [unrolled: 1-line block ×19, first 2 shown]
	ds_read_b128 v[90:93], v70 offset:736
	v_pk_fma_f16 v86, v82, v123, v86
	v_pk_fma_f16 v198, v83, v205, v96
	;; [unrolled: 1-line block ×12, first 2 shown]
	s_waitcnt lgkmcnt(0)
	v_mul_u32_u24_sdwa v98, v90, v77 dst_sel:DWORD dst_unused:UNUSED_PAD src0_sel:WORD_0 src1_sel:DWORD
	v_mul_u32_u24_sdwa v100, v90, v77 dst_sel:DWORD dst_unused:UNUSED_PAD src0_sel:WORD_1 src1_sel:DWORD
	v_pk_fma_f16 v90, v83, v212, v17
	ds_read_b128 v[81:84], v70 offset:752
	v_mul_u32_u24_sdwa v102, v91, v77 dst_sel:DWORD dst_unused:UNUSED_PAD src0_sel:WORD_0 src1_sel:DWORD
	v_mul_u32_u24_sdwa v101, v91, v77 dst_sel:DWORD dst_unused:UNUSED_PAD src0_sel:WORD_1 src1_sel:DWORD
	v_mul_u32_u24_sdwa v99, v92, v77 dst_sel:DWORD dst_unused:UNUSED_PAD src0_sel:WORD_0 src1_sel:DWORD
	v_mul_u32_u24_sdwa v97, v92, v77 dst_sel:DWORD dst_unused:UNUSED_PAD src0_sel:WORD_1 src1_sel:DWORD
	;; [unrolled: 2-line block ×3, first 2 shown]
	s_waitcnt lgkmcnt(0)
	v_mul_u32_u24_sdwa v103, v83, v77 dst_sel:DWORD dst_unused:UNUSED_PAD src0_sel:WORD_0 src1_sel:DWORD
	v_mul_u32_u24_sdwa v19, v83, v77 dst_sel:DWORD dst_unused:UNUSED_PAD src0_sel:WORD_1 src1_sel:DWORD
	v_mul_u32_u24_sdwa v18, v84, v77 dst_sel:DWORD dst_unused:UNUSED_PAD src0_sel:WORD_0 src1_sel:DWORD
	v_mul_u32_u24_sdwa v17, v84, v77 dst_sel:DWORD dst_unused:UNUSED_PAD src0_sel:WORD_1 src1_sel:DWORD
	ds_read2_b64 v[83:86], v73 offset0:128 offset1:160
	v_mul_u32_u24_sdwa v121, v82, v77 dst_sel:DWORD dst_unused:UNUSED_PAD src0_sel:WORD_0 src1_sel:DWORD
	v_mul_u32_u24_sdwa v104, v82, v77 dst_sel:DWORD dst_unused:UNUSED_PAD src0_sel:WORD_1 src1_sel:DWORD
	v_mul_u32_u24_sdwa v123, v81, v77 dst_sel:DWORD dst_unused:UNUSED_PAD src0_sel:WORD_0 src1_sel:DWORD
	v_mul_u32_u24_sdwa v122, v81, v77 dst_sel:DWORD dst_unused:UNUSED_PAD src0_sel:WORD_1 src1_sel:DWORD
	s_waitcnt lgkmcnt(0)
	v_pk_fma_f16 v82, v84, v197, v94
	v_pk_fma_f16 v91, v83, v196, v199
	v_pk_fma_f16 v92, v84, v196, v200
	v_pk_fma_f16 v93, v83, v195, v201
	v_pk_fma_f16 v94, v84, v195, v202
	v_pk_fma_f16 v24, v83, v194, v24
	v_pk_fma_f16 v194, v84, v194, v203
	v_pk_fma_f16 v23, v83, v193, v23
	v_pk_fma_f16 v193, v84, v193, v204
	v_pk_fma_f16 v81, v83, v197, v198
	v_pk_fma_f16 v195, v83, v192, v205
	v_pk_fma_f16 v196, v83, v191, v207
	v_pk_fma_f16 v83, v83, v190, v90
	v_pk_fma_f16 v198, v85, v188, v91
	v_pk_fma_f16 v199, v86, v188, v92
	v_pk_fma_f16 v200, v85, v187, v93
	v_pk_fma_f16 v201, v86, v187, v94
	v_pk_fma_f16 v202, v85, v186, v24
	v_pk_fma_f16 v194, v86, v186, v194
	v_pk_fma_f16 v203, v85, v185, v23
	v_pk_fma_f16 v193, v86, v185, v193
	ds_read_b128 v[90:93], v70 offset:768
	ds_read_b128 v[185:188], v70 offset:784
	v_pk_fma_f16 v192, v84, v192, v206
	v_pk_fma_f16 v191, v84, v191, v208
	v_pk_fma_f16 v190, v84, v190, v209
	v_pk_fma_f16 v197, v85, v189, v81
	v_pk_fma_f16 v189, v86, v189, v82
	v_pk_fma_f16 v195, v85, v22, v195
	v_pk_fma_f16 v192, v86, v22, v192
	v_pk_fma_f16 v196, v85, v21, v196
	v_pk_fma_f16 v191, v86, v21, v191
	v_pk_fma_f16 v204, v85, v20, v83
	v_pk_fma_f16 v190, v86, v20, v190
	ds_read_b128 v[205:208], v70 offset:960
	s_waitcnt lgkmcnt(2)
	v_mul_u32_u24_sdwa v81, v90, v77 dst_sel:DWORD dst_unused:UNUSED_PAD src0_sel:WORD_0 src1_sel:DWORD
	v_mul_u32_u24_sdwa v84, v90, v77 dst_sel:DWORD dst_unused:UNUSED_PAD src0_sel:WORD_1 src1_sel:DWORD
	v_mul_u32_u24_sdwa v86, v91, v77 dst_sel:DWORD dst_unused:UNUSED_PAD src0_sel:WORD_0 src1_sel:DWORD
	v_mul_u32_u24_sdwa v85, v91, v77 dst_sel:DWORD dst_unused:UNUSED_PAD src0_sel:WORD_1 src1_sel:DWORD
	;; [unrolled: 2-line block ×4, first 2 shown]
	s_waitcnt lgkmcnt(1)
	v_mul_u32_u24_sdwa v94, v185, v77 dst_sel:DWORD dst_unused:UNUSED_PAD src0_sel:WORD_0 src1_sel:DWORD
	v_mul_u32_u24_sdwa v93, v185, v77 dst_sel:DWORD dst_unused:UNUSED_PAD src0_sel:WORD_1 src1_sel:DWORD
	v_mul_u32_u24_sdwa v92, v186, v77 dst_sel:DWORD dst_unused:UNUSED_PAD src0_sel:WORD_0 src1_sel:DWORD
	v_mul_u32_u24_sdwa v91, v186, v77 dst_sel:DWORD dst_unused:UNUSED_PAD src0_sel:WORD_1 src1_sel:DWORD
	;; [unrolled: 2-line block ×4, first 2 shown]
	ds_read2_b64 v[185:188], v73 offset0:192 offset1:224
	s_waitcnt lgkmcnt(0)
	v_pk_fma_f16 v197, v185, v184, v197
	v_pk_fma_f16 v184, v186, v184, v189
	;; [unrolled: 1-line block ×25, first 2 shown]
	ds_read_b128 v[179:182], v70 offset:800
	v_pk_fma_f16 v193, v187, v126, v193
	v_pk_fma_f16 v195, v187, v125, v195
	;; [unrolled: 1-line block ×3, first 2 shown]
	ds_read_b128 v[184:187], v70 offset:816
	v_pk_fma_f16 v196, v188, v130, v183
	v_pk_fma_f16 v192, v188, v126, v192
	;; [unrolled: 1-line block ×4, first 2 shown]
	s_waitcnt lgkmcnt(1)
	v_mul_u32_u24_sdwa v128, v179, v77 dst_sel:DWORD dst_unused:UNUSED_PAD src0_sel:WORD_0 src1_sel:DWORD
	v_mul_u32_u24_sdwa v129, v179, v77 dst_sel:DWORD dst_unused:UNUSED_PAD src0_sel:WORD_1 src1_sel:DWORD
	v_mul_u32_u24_sdwa v131, v180, v77 dst_sel:DWORD dst_unused:UNUSED_PAD src0_sel:WORD_0 src1_sel:DWORD
	v_mul_u32_u24_sdwa v130, v180, v77 dst_sel:DWORD dst_unused:UNUSED_PAD src0_sel:WORD_1 src1_sel:DWORD
	;; [unrolled: 2-line block ×4, first 2 shown]
	s_waitcnt lgkmcnt(0)
	v_mul_u32_u24_sdwa v182, v185, v77 dst_sel:DWORD dst_unused:UNUSED_PAD src0_sel:WORD_0 src1_sel:DWORD
	v_mul_u32_u24_sdwa v181, v185, v77 dst_sel:DWORD dst_unused:UNUSED_PAD src0_sel:WORD_1 src1_sel:DWORD
	v_mul_u32_u24_sdwa v180, v186, v77 dst_sel:DWORD dst_unused:UNUSED_PAD src0_sel:WORD_0 src1_sel:DWORD
	v_mul_u32_u24_sdwa v179, v186, v77 dst_sel:DWORD dst_unused:UNUSED_PAD src0_sel:WORD_1 src1_sel:DWORD
	;; [unrolled: 2-line block ×3, first 2 shown]
	ds_read2_b64 v[185:188], v78 offset1:32
	v_mul_u32_u24_sdwa v183, v184, v77 dst_sel:DWORD dst_unused:UNUSED_PAD src0_sel:WORD_0 src1_sel:DWORD
	v_mul_u32_u24_sdwa v184, v184, v77 dst_sel:DWORD dst_unused:UNUSED_PAD src0_sel:WORD_1 src1_sel:DWORD
	s_waitcnt lgkmcnt(0)
	v_pk_fma_f16 v190, v185, v177, v190
	v_pk_fma_f16 v177, v186, v177, v191
	;; [unrolled: 1-line block ×26, first 2 shown]
	ds_read_b128 v[132:135], v70 offset:832
	v_pk_fma_f16 v193, v187, v89, v193
	v_pk_fma_f16 v201, v188, v89, v139
	;; [unrolled: 1-line block ×6, first 2 shown]
	ds_read_b128 v[185:188], v70 offset:848
	s_waitcnt lgkmcnt(1)
	v_mul_u32_u24_sdwa v177, v132, v77 dst_sel:DWORD dst_unused:UNUSED_PAD src0_sel:WORD_0 src1_sel:DWORD
	v_mul_u32_u24_sdwa v141, v132, v77 dst_sel:DWORD dst_unused:UNUSED_PAD src0_sel:WORD_1 src1_sel:DWORD
	v_mul_u32_u24_sdwa v143, v133, v77 dst_sel:DWORD dst_unused:UNUSED_PAD src0_sel:WORD_0 src1_sel:DWORD
	v_mul_u32_u24_sdwa v142, v133, v77 dst_sel:DWORD dst_unused:UNUSED_PAD src0_sel:WORD_1 src1_sel:DWORD
	;; [unrolled: 2-line block ×4, first 2 shown]
	s_waitcnt lgkmcnt(0)
	v_mul_u32_u24_sdwa v138, v185, v77 dst_sel:DWORD dst_unused:UNUSED_PAD src0_sel:WORD_0 src1_sel:DWORD
	v_mul_u32_u24_sdwa v139, v185, v77 dst_sel:DWORD dst_unused:UNUSED_PAD src0_sel:WORD_1 src1_sel:DWORD
	v_mul_u32_u24_sdwa v134, v186, v77 dst_sel:DWORD dst_unused:UNUSED_PAD src0_sel:WORD_0 src1_sel:DWORD
	v_mul_u32_u24_sdwa v135, v186, v77 dst_sel:DWORD dst_unused:UNUSED_PAD src0_sel:WORD_1 src1_sel:DWORD
	;; [unrolled: 2-line block ×4, first 2 shown]
	ds_read2_b64 v[185:188], v78 offset0:64 offset1:96
	s_waitcnt lgkmcnt(0)
	v_pk_fma_f16 v190, v185, v151, v190
	v_pk_fma_f16 v151, v186, v151, v195
	;; [unrolled: 1-line block ×26, first 2 shown]
	ds_read_b128 v[173:176], v70 offset:864
	v_pk_fma_f16 v193, v187, v167, v193
	v_pk_fma_f16 v201, v188, v167, v146
	v_pk_fma_f16 v192, v187, v166, v192
	v_pk_fma_f16 v202, v188, v166, v145
	v_pk_fma_f16 v203, v187, v165, v185
	v_pk_fma_f16 v204, v188, v165, v144
	ds_read_b128 v[185:188], v70 offset:880
	s_waitcnt lgkmcnt(1)
	v_mul_u32_u24_sdwa v146, v173, v77 dst_sel:DWORD dst_unused:UNUSED_PAD src0_sel:WORD_0 src1_sel:DWORD
	v_mul_u32_u24_sdwa v151, v173, v77 dst_sel:DWORD dst_unused:UNUSED_PAD src0_sel:WORD_1 src1_sel:DWORD
	v_mul_u32_u24_sdwa v147, v174, v77 dst_sel:DWORD dst_unused:UNUSED_PAD src0_sel:WORD_0 src1_sel:DWORD
	v_mul_u32_u24_sdwa v148, v174, v77 dst_sel:DWORD dst_unused:UNUSED_PAD src0_sel:WORD_1 src1_sel:DWORD
	;; [unrolled: 2-line block ×4, first 2 shown]
	s_waitcnt lgkmcnt(0)
	v_mul_u32_u24_sdwa v176, v185, v77 dst_sel:DWORD dst_unused:UNUSED_PAD src0_sel:WORD_0 src1_sel:DWORD
	v_mul_u32_u24_sdwa v178, v185, v77 dst_sel:DWORD dst_unused:UNUSED_PAD src0_sel:WORD_1 src1_sel:DWORD
	v_mul_u32_u24_sdwa v165, v186, v77 dst_sel:DWORD dst_unused:UNUSED_PAD src0_sel:WORD_0 src1_sel:DWORD
	v_mul_u32_u24_sdwa v166, v186, v77 dst_sel:DWORD dst_unused:UNUSED_PAD src0_sel:WORD_1 src1_sel:DWORD
	;; [unrolled: 2-line block ×4, first 2 shown]
	ds_read2_b64 v[185:188], v78 offset0:128 offset1:160
	s_waitcnt lgkmcnt(0)
	v_pk_fma_f16 v190, v185, v160, v190
	v_pk_fma_f16 v160, v186, v160, v196
	;; [unrolled: 1-line block ×59, first 2 shown]
	ds_read2_b64 v[95:98], v79 offset1:32
	v_pk_fma_f16 v109, v11, v123, v13
	v_pk_fma_f16 v110, v12, v123, v14
	;; [unrolled: 1-line block ×5, first 2 shown]
	ds_read_b128 v[158:161], v70 offset:896
	ds_read_b128 v[169:172], v70 offset:912
	;; [unrolled: 1-line block ×5, first 2 shown]
	v_mul_u32_u24_sdwa v201, v205, v77 dst_sel:DWORD dst_unused:UNUSED_PAD src0_sel:WORD_0 src1_sel:DWORD
	v_mul_u32_u24_sdwa v202, v205, v77 dst_sel:DWORD dst_unused:UNUSED_PAD src0_sel:WORD_1 src1_sel:DWORD
	v_mul_u32_u24_sdwa v203, v206, v77 dst_sel:DWORD dst_unused:UNUSED_PAD src0_sel:WORD_0 src1_sel:DWORD
	v_mul_u32_u24_sdwa v204, v206, v77 dst_sel:DWORD dst_unused:UNUSED_PAD src0_sel:WORD_1 src1_sel:DWORD
	;; [unrolled: 2-line block ×4, first 2 shown]
	s_waitcnt lgkmcnt(5)
	v_pk_fma_f16 v107, v95, v81, v109
	v_pk_fma_f16 v81, v96, v81, v110
	v_pk_fma_f16 v108, v95, v84, v111
	v_pk_fma_f16 v84, v96, v84, v112
	v_pk_fma_f16 v109, v95, v86, v113
	v_pk_fma_f16 v86, v96, v86, v100
	v_pk_fma_f16 v110, v95, v85, v102
	v_pk_fma_f16 v85, v96, v85, v101
	v_pk_fma_f16 v111, v95, v82, v104
	v_pk_fma_f16 v82, v96, v82, v99
	ds_read_b128 v[99:102], v70 offset:992
	v_pk_fma_f16 v112, v95, v22, v103
	v_pk_fma_f16 v19, v96, v22, v19
	;; [unrolled: 1-line block ×5, first 2 shown]
	ds_read2_b64 v[103:106], v79 offset0:64 offset1:96
	v_pk_fma_f16 v81, v98, v94, v81
	v_pk_fma_f16 v20, v96, v20, v17
	;; [unrolled: 1-line block ×11, first 2 shown]
	ds_read_b128 v[90:93], v70 offset:1008
	v_pk_fma_f16 v111, v97, v83, v112
	v_pk_fma_f16 v112, v98, v83, v19
	s_waitcnt lgkmcnt(2)
	v_mul_u32_u24_sdwa v17, v99, v77 dst_sel:DWORD dst_unused:UNUSED_PAD src0_sel:WORD_0 src1_sel:DWORD
	v_pk_fma_f16 v113, v97, v24, v22
	v_pk_fma_f16 v114, v98, v24, v18
	v_mul_u32_u24_sdwa v18, v99, v77 dst_sel:DWORD dst_unused:UNUSED_PAD src0_sel:WORD_1 src1_sel:DWORD
	v_pk_fma_f16 v99, v97, v23, v21
	v_mul_u32_u24_sdwa v21, v101, v77 dst_sel:DWORD dst_unused:UNUSED_PAD src0_sel:WORD_0 src1_sel:DWORD
	v_mul_u32_u24_sdwa v22, v101, v77 dst_sel:DWORD dst_unused:UNUSED_PAD src0_sel:WORD_1 src1_sel:DWORD
	s_waitcnt lgkmcnt(1)
	v_pk_fma_f16 v101, v104, v128, v81
	ds_read2_b64 v[81:84], v79 offset0:128 offset1:160
	v_pk_fma_f16 v98, v98, v23, v20
	v_mul_u32_u24_sdwa v19, v100, v77 dst_sel:DWORD dst_unused:UNUSED_PAD src0_sel:WORD_0 src1_sel:DWORD
	v_mul_u32_u24_sdwa v20, v100, v77 dst_sel:DWORD dst_unused:UNUSED_PAD src0_sel:WORD_1 src1_sel:DWORD
	v_mul_u32_u24_sdwa v23, v102, v77 dst_sel:DWORD dst_unused:UNUSED_PAD src0_sel:WORD_0 src1_sel:DWORD
	v_mul_u32_u24_sdwa v24, v102, v77 dst_sel:DWORD dst_unused:UNUSED_PAD src0_sel:WORD_1 src1_sel:DWORD
	v_pk_fma_f16 v100, v103, v128, v95
	v_pk_fma_f16 v102, v103, v129, v94
	;; [unrolled: 1-line block ×9, first 2 shown]
	ds_read2_b64 v[94:97], v79 offset0:192 offset1:224
	v_pk_fma_f16 v111, v103, v126, v111
	v_pk_fma_f16 v112, v104, v126, v112
	;; [unrolled: 1-line block ×22, first 2 shown]
	ds_read2_b64 v[98:101], v80 offset1:32
	s_waitcnt lgkmcnt(2)
	v_pk_fma_f16 v116, v81, v177, v116
	v_pk_fma_f16 v117, v82, v177, v117
	;; [unrolled: 1-line block ×32, first 2 shown]
	ds_read2_b64 v[107:110], v80 offset0:64 offset1:96
	s_waitcnt lgkmcnt(2)
	v_pk_fma_f16 v84, v94, v146, v87
	v_pk_fma_f16 v87, v94, v151, v113
	;; [unrolled: 1-line block ×16, first 2 shown]
	v_mul_u32_u24_sdwa v156, v158, v77 dst_sel:DWORD dst_unused:UNUSED_PAD src0_sel:WORD_0 src1_sel:DWORD
	v_mul_u32_u24_sdwa v155, v158, v77 dst_sel:DWORD dst_unused:UNUSED_PAD src0_sel:WORD_1 src1_sel:DWORD
	v_mul_u32_u24_sdwa v154, v159, v77 dst_sel:DWORD dst_unused:UNUSED_PAD src0_sel:WORD_0 src1_sel:DWORD
	v_mul_u32_u24_sdwa v157, v159, v77 dst_sel:DWORD dst_unused:UNUSED_PAD src0_sel:WORD_1 src1_sel:DWORD
	;; [unrolled: 2-line block ×4, first 2 shown]
	v_pk_fma_f16 v84, v96, v176, v84
	v_pk_fma_f16 v87, v96, v178, v87
	;; [unrolled: 1-line block ×16, first 2 shown]
	v_mul_u32_u24_sdwa v162, v169, v77 dst_sel:DWORD dst_unused:UNUSED_PAD src0_sel:WORD_0 src1_sel:DWORD
	v_mul_u32_u24_sdwa v163, v169, v77 dst_sel:DWORD dst_unused:UNUSED_PAD src0_sel:WORD_1 src1_sel:DWORD
	v_mul_u32_u24_sdwa v164, v170, v77 dst_sel:DWORD dst_unused:UNUSED_PAD src0_sel:WORD_0 src1_sel:DWORD
	v_mul_u32_u24_sdwa v168, v170, v77 dst_sel:DWORD dst_unused:UNUSED_PAD src0_sel:WORD_1 src1_sel:DWORD
	;; [unrolled: 2-line block ×8, first 2 shown]
	ds_read2_b64 v[90:93], v80 offset0:128 offset1:160
	s_waitcnt lgkmcnt(2)
	v_pk_fma_f16 v84, v98, v156, v84
	v_pk_fma_f16 v87, v98, v155, v87
	;; [unrolled: 1-line block ×16, first 2 shown]
	v_mul_u32_u24_sdwa v185, v189, v77 dst_sel:DWORD dst_unused:UNUSED_PAD src0_sel:WORD_0 src1_sel:DWORD
	v_mul_u32_u24_sdwa v186, v189, v77 dst_sel:DWORD dst_unused:UNUSED_PAD src0_sel:WORD_1 src1_sel:DWORD
	v_mul_u32_u24_sdwa v187, v190, v77 dst_sel:DWORD dst_unused:UNUSED_PAD src0_sel:WORD_0 src1_sel:DWORD
	v_mul_u32_u24_sdwa v188, v190, v77 dst_sel:DWORD dst_unused:UNUSED_PAD src0_sel:WORD_1 src1_sel:DWORD
	v_mul_u32_u24_sdwa v189, v191, v77 dst_sel:DWORD dst_unused:UNUSED_PAD src0_sel:WORD_0 src1_sel:DWORD
	v_mul_u32_u24_sdwa v190, v191, v77 dst_sel:DWORD dst_unused:UNUSED_PAD src0_sel:WORD_1 src1_sel:DWORD
	v_mul_u32_u24_sdwa v191, v192, v77 dst_sel:DWORD dst_unused:UNUSED_PAD src0_sel:WORD_0 src1_sel:DWORD
	v_mul_u32_u24_sdwa v192, v192, v77 dst_sel:DWORD dst_unused:UNUSED_PAD src0_sel:WORD_1 src1_sel:DWORD
	v_pk_fma_f16 v84, v100, v162, v84
	v_pk_fma_f16 v87, v100, v163, v87
	;; [unrolled: 1-line block ×16, first 2 shown]
	v_mul_u32_u24_sdwa v193, v197, v77 dst_sel:DWORD dst_unused:UNUSED_PAD src0_sel:WORD_0 src1_sel:DWORD
	v_mul_u32_u24_sdwa v194, v197, v77 dst_sel:DWORD dst_unused:UNUSED_PAD src0_sel:WORD_1 src1_sel:DWORD
	v_mul_u32_u24_sdwa v195, v198, v77 dst_sel:DWORD dst_unused:UNUSED_PAD src0_sel:WORD_0 src1_sel:DWORD
	v_mul_u32_u24_sdwa v196, v198, v77 dst_sel:DWORD dst_unused:UNUSED_PAD src0_sel:WORD_1 src1_sel:DWORD
	;; [unrolled: 2-line block ×4, first 2 shown]
	ds_read2_b64 v[102:105], v80 offset0:192 offset1:224
	s_waitcnt lgkmcnt(2)
	v_pk_fma_f16 v84, v107, v185, v84
	v_pk_fma_f16 v87, v107, v186, v87
	;; [unrolled: 1-line block ×16, first 2 shown]
	s_waitcnt lgkmcnt(0)
	s_barrier
	buffer_gl0_inv
	s_load_dword s0, s[36:37], 0x4
	v_pk_fma_f16 v84, v109, v193, v84
	v_pk_fma_f16 v87, v109, v194, v87
	;; [unrolled: 1-line block ×16, first 2 shown]
	v_mul_u32_u24_sdwa v9, v13, v77 dst_sel:DWORD dst_unused:UNUSED_PAD src0_sel:WORD_0 src1_sel:DWORD
	v_mul_u32_u24_sdwa v10, v13, v77 dst_sel:DWORD dst_unused:UNUSED_PAD src0_sel:WORD_1 src1_sel:DWORD
	v_mul_u32_u24_sdwa v11, v14, v77 dst_sel:DWORD dst_unused:UNUSED_PAD src0_sel:WORD_0 src1_sel:DWORD
	v_mul_u32_u24_sdwa v12, v14, v77 dst_sel:DWORD dst_unused:UNUSED_PAD src0_sel:WORD_1 src1_sel:DWORD
	;; [unrolled: 2-line block ×4, first 2 shown]
	v_pk_fma_f16 v84, v90, v201, v84
	v_pk_fma_f16 v87, v90, v202, v87
	;; [unrolled: 1-line block ×48, first 2 shown]
	s_waitcnt lgkmcnt(0)
	s_lshl_b32 s0, s0, 6
	v_pk_fma_f16 v95, v104, v122, v82
	v_pk_fma_f16 v93, v104, v123, v83
	;; [unrolled: 1-line block ×16, first 2 shown]
	s_add_i32 s43, s0, s43
	s_cmp_ge_i32 s43, s58
	s_cbranch_scc0 .LBB33_9
; %bb.10:
	v_mov_b32_e32 v9, 32
	v_mov_b32_e32 v10, v51
.LBB33_11:
	v_cmp_lt_i32_e32 vcc_lo, v56, v9
	s_cmp_lg_u64 s[44:45], 0
	s_cselect_b32 s0, -1, 0
	s_cmp_eq_u32 s34, 0
	v_cndmask_b32_e32 v11, v10, v56, vcc_lo
	v_cmp_lt_i32_e32 vcc_lo, v53, v9
	s_cselect_b32 s1, -1, 0
	s_and_b32 s0, s1, s0
	v_lshlrev_b32_e32 v11, 2, v11
	v_cndmask_b32_e32 v19, v10, v53, vcc_lo
	v_cmp_lt_i32_e32 vcc_lo, v52, v9
	ds_bpermute_b32 v12, v11, v62
	ds_bpermute_b32 v13, v11, v61
	;; [unrolled: 1-line block ×8, first 2 shown]
	v_lshlrev_b32_e32 v19, 2, v19
	v_cndmask_b32_e32 v27, v10, v52, vcc_lo
	v_cmp_lt_i32_e32 vcc_lo, v50, v9
	v_lshlrev_b32_e32 v27, 2, v27
	s_waitcnt lgkmcnt(7)
	v_add_f32_e32 v12, v62, v12
	s_waitcnt lgkmcnt(6)
	v_add_f32_e32 v13, v61, v13
	;; [unrolled: 2-line block ×8, first 2 shown]
	ds_bpermute_b32 v20, v19, v12
	ds_bpermute_b32 v21, v19, v13
	;; [unrolled: 1-line block ×8, first 2 shown]
	s_waitcnt lgkmcnt(7)
	v_add_f32_e32 v12, v12, v20
	s_waitcnt lgkmcnt(6)
	v_add_f32_e32 v13, v13, v21
	;; [unrolled: 2-line block ×8, first 2 shown]
	ds_bpermute_b32 v19, v27, v12
	ds_bpermute_b32 v20, v27, v13
	ds_bpermute_b32 v21, v27, v14
	ds_bpermute_b32 v22, v27, v15
	ds_bpermute_b32 v23, v27, v16
	ds_bpermute_b32 v24, v27, v17
	ds_bpermute_b32 v25, v27, v18
	ds_bpermute_b32 v26, v27, v11
	v_cndmask_b32_e32 v27, v10, v50, vcc_lo
	v_cmp_lt_i32_e32 vcc_lo, v49, v9
	v_lshlrev_b32_e32 v27, 2, v27
	v_cndmask_b32_e32 v9, v10, v49, vcc_lo
	s_and_b32 vcc_lo, exec_lo, s0
	v_lshlrev_b32_e32 v9, 2, v9
	s_waitcnt lgkmcnt(7)
	v_add_f32_e32 v12, v12, v19
	s_waitcnt lgkmcnt(6)
	v_add_f32_e32 v13, v13, v20
	;; [unrolled: 2-line block ×8, first 2 shown]
	ds_bpermute_b32 v19, v27, v12
	ds_bpermute_b32 v20, v27, v13
	;; [unrolled: 1-line block ×8, first 2 shown]
	s_waitcnt lgkmcnt(7)
	v_add_f32_e32 v10, v12, v19
	s_waitcnt lgkmcnt(6)
	v_add_f32_e32 v12, v13, v20
	;; [unrolled: 2-line block ×8, first 2 shown]
	ds_bpermute_b32 v11, v9, v10
	ds_bpermute_b32 v19, v9, v12
	;; [unrolled: 1-line block ×8, first 2 shown]
	s_waitcnt lgkmcnt(7)
	v_add_f32_e32 v9, v10, v11
	s_waitcnt lgkmcnt(6)
	v_add_f32_e32 v10, v12, v19
	;; [unrolled: 2-line block ×8, first 2 shown]
	s_cbranch_vccz .LBB33_14
; %bb.12:
	s_ashr_i32 s57, s56, 31
	v_mov_b32_e32 v17, 0
	s_lshl_b64 s[0:1], s[56:57], 2
	v_max_f32_e32 v18, v2, v2
	s_add_u32 s0, s44, s0
	s_addc_u32 s1, s45, s1
	v_max_f32_e32 v19, v3, v3
	global_load_dwordx2 v[26:27], v17, s[0:1]
	v_max_f32_e32 v17, v1, v1
	v_max_f32_e32 v20, v4, v4
	;; [unrolled: 1-line block ×6, first 2 shown]
	v_mov_b32_e32 v25, 0x10001
	s_waitcnt vmcnt(0)
	v_max_f32_e32 v23, v26, v26
	v_max_f32_e32 v24, v27, v27
	;; [unrolled: 1-line block ×10, first 2 shown]
	v_sub_f32_e32 v28, v1, v17
	v_sub_f32_e32 v30, v2, v18
	v_sub_f32_e32 v32, v3, v19
	v_sub_f32_e32 v49, v4, v20
	v_sub_f32_e32 v51, v5, v21
	v_sub_f32_e32 v53, v6, v22
	v_sub_f32_e32 v55, v7, v23
	v_sub_f32_e32 v56, v8, v24
	v_mov_b32_e32 v1, v17
	v_sub_f32_e32 v29, v26, v17
	v_mov_b32_e32 v2, v18
	v_mov_b32_e32 v3, v19
	;; [unrolled: 1-line block ×7, first 2 shown]
	v_mul_f32_e32 v17, 0x3fb8aa3b, v28
	v_sub_f32_e32 v31, v27, v18
	v_mul_f32_e32 v18, 0x3fb8aa3b, v29
	v_sub_f32_e32 v48, v26, v19
	v_mul_f32_e32 v19, 0x3fb8aa3b, v30
	v_fma_f32 v65, 0x3fb8aa3b, v28, -v17
	v_rndne_f32_e32 v66, v17
	v_fma_f32 v67, 0x3fb8aa3b, v29, -v18
	v_rndne_f32_e32 v68, v18
	v_sub_f32_e32 v50, v27, v20
	v_fmac_f32_e32 v65, 0x32a5705f, v28
	v_sub_f32_e32 v17, v17, v66
	v_mul_f32_e32 v20, 0x3fb8aa3b, v31
	v_fma_f32 v69, 0x3fb8aa3b, v30, -v19
	v_rndne_f32_e32 v70, v19
	v_fmac_f32_e32 v67, 0x32a5705f, v29
	v_sub_f32_e32 v18, v18, v68
	v_add_f32_e32 v17, v17, v65
	v_sub_f32_e32 v52, v26, v21
	v_mul_f32_e32 v21, 0x3fb8aa3b, v32
	v_fma_f32 v71, 0x3fb8aa3b, v31, -v20
	v_rndne_f32_e32 v72, v20
	v_fmac_f32_e32 v69, 0x32a5705f, v30
	v_sub_f32_e32 v19, v19, v70
	v_add_f32_e32 v18, v18, v67
	v_exp_f32_e32 v17, v17
	v_sub_f32_e32 v54, v27, v22
	v_mul_f32_e32 v22, 0x3fb8aa3b, v48
	v_fma_f32 v73, 0x3fb8aa3b, v32, -v21
	v_rndne_f32_e32 v74, v21
	v_cvt_i32_f32_e32 v66, v66
	v_fmac_f32_e32 v71, 0x32a5705f, v31
	v_sub_f32_e32 v20, v20, v72
	v_add_f32_e32 v19, v19, v69
	v_exp_f32_e32 v18, v18
	v_sub_f32_e32 v26, v26, v23
	v_mul_f32_e32 v23, 0x3fb8aa3b, v49
	v_fma_f32 v75, 0x3fb8aa3b, v48, -v22
	v_rndne_f32_e32 v76, v22
	v_cvt_i32_f32_e32 v68, v68
	v_fmac_f32_e32 v73, 0x32a5705f, v32
	v_sub_f32_e32 v21, v21, v74
	v_add_f32_e32 v20, v20, v71
	v_exp_f32_e32 v19, v19
	v_ldexp_f32 v17, v17, v66
	v_cmp_ngt_f32_e32 vcc_lo, 0xc2ce8ed0, v28
	v_sub_f32_e32 v27, v27, v24
	v_mul_f32_e32 v24, 0x3fb8aa3b, v50
	v_fma_f32 v77, 0x3fb8aa3b, v49, -v23
	v_rndne_f32_e32 v78, v23
	v_cvt_i32_f32_e32 v70, v70
	v_fmac_f32_e32 v75, 0x32a5705f, v48
	v_sub_f32_e32 v22, v22, v76
	v_add_f32_e32 v21, v21, v73
	v_exp_f32_e32 v20, v20
	v_ldexp_f32 v18, v18, v68
	v_cndmask_b32_e32 v17, 0, v17, vcc_lo
	v_cmp_ngt_f32_e32 vcc_lo, 0xc2ce8ed0, v29
	v_mul_f32_e32 v57, 0x3fb8aa3b, v51
	v_fma_f32 v79, 0x3fb8aa3b, v50, -v24
	v_rndne_f32_e32 v80, v24
	v_cvt_i32_f32_e32 v72, v72
	v_fmac_f32_e32 v77, 0x32a5705f, v49
	v_sub_f32_e32 v23, v23, v78
	v_add_f32_e32 v22, v22, v75
	v_exp_f32_e32 v21, v21
	v_ldexp_f32 v19, v19, v70
	v_cndmask_b32_e32 v18, 0, v18, vcc_lo
	v_cmp_ngt_f32_e32 vcc_lo, 0xc2ce8ed0, v30
	;; [unrolled: 11-line block ×9, first 2 shown]
	v_fma_f32 v111, 0x3fb8aa3b, v27, -v64
	v_rndne_f32_e32 v112, v64
	v_cvt_i32_f32_e32 v104, v104
	v_fmac_f32_e32 v109, 0x32a5705f, v56
	v_sub_f32_e32 v63, v63, v110
	v_add_f32_e32 v62, v62, v107
	v_exp_f32_e32 v61, v61
	v_ldexp_f32 v59, v59, v102
	v_cndmask_b32_e32 v58, 0, v58, vcc_lo
	v_cmp_ngt_f32_e32 vcc_lo, 0xc2ce8ed0, v53
	v_cvt_i32_f32_e32 v106, v106
	v_fmac_f32_e32 v111, 0x32a5705f, v27
	v_sub_f32_e32 v64, v64, v112
	v_add_f32_e32 v63, v63, v109
	v_exp_f32_e32 v62, v62
	v_ldexp_f32 v60, v60, v104
	v_cndmask_b32_e32 v59, 0, v59, vcc_lo
	v_cmp_ngt_f32_e32 vcc_lo, 0xc2ce8ed0, v54
	v_cvt_i32_f32_e32 v108, v108
	v_add_f32_e32 v64, v64, v111
	v_exp_f32_e32 v63, v63
	v_ldexp_f32 v61, v61, v106
	v_cndmask_b32_e32 v60, 0, v60, vcc_lo
	v_cmp_ngt_f32_e32 vcc_lo, 0xc2ce8ed0, v55
	v_cvt_i32_f32_e32 v110, v110
	v_exp_f32_e32 v64, v64
	v_ldexp_f32 v62, v62, v108
	v_cvt_i32_f32_e32 v112, v112
	v_cndmask_b32_e32 v61, 0, v61, vcc_lo
	v_cmp_ngt_f32_e32 vcc_lo, 0xc2ce8ed0, v26
	v_ldexp_f32 v63, v63, v110
	v_cndmask_b32_e32 v62, 0, v62, vcc_lo
	v_cmp_ngt_f32_e32 vcc_lo, 0xc2ce8ed0, v56
	v_ldexp_f32 v64, v64, v112
	v_cndmask_b32_e32 v63, 0, v63, vcc_lo
	v_cmp_ngt_f32_e32 vcc_lo, 0xc2ce8ed0, v27
	v_cndmask_b32_e32 v64, 0, v64, vcc_lo
	v_cmp_nlt_f32_e32 vcc_lo, 0x42b17218, v28
	v_cndmask_b32_e32 v28, 0x7f800000, v17, vcc_lo
	v_cmp_nlt_f32_e32 vcc_lo, 0x42b17218, v29
	;; [unrolled: 2-line block ×3, first 2 shown]
	v_fmac_f32_e32 v17, v9, v28
	v_cndmask_b32_e32 v29, 0x7f800000, v19, vcc_lo
	v_cmp_nlt_f32_e32 vcc_lo, 0x42b17218, v31
	v_cvt_f16_f32_e32 v9, v28
	v_cndmask_b32_e32 v18, 0x7f800000, v20, vcc_lo
	v_cmp_nlt_f32_e32 vcc_lo, 0x42b17218, v32
	v_fmac_f32_e32 v18, v10, v29
	v_cndmask_b32_e32 v30, 0x7f800000, v21, vcc_lo
	v_cmp_nlt_f32_e32 vcc_lo, 0x42b17218, v48
	v_cvt_f16_f32_e32 v10, v29
	v_cndmask_b32_e32 v19, 0x7f800000, v22, vcc_lo
	v_cmp_nlt_f32_e32 vcc_lo, 0x42b17218, v49
	;; [unrolled: 6-line block ×3, first 2 shown]
	v_mul_u32_u24_sdwa v28, v11, v25 dst_sel:DWORD dst_unused:UNUSED_PAD src0_sel:WORD_0 src1_sel:DWORD
	v_mov_b32_e32 v11, v19
	v_fmac_f32_e32 v20, v12, v31
	v_cndmask_b32_e32 v32, 0x7f800000, v57, vcc_lo
	v_cmp_nlt_f32_e32 vcc_lo, 0x42b17218, v52
	v_cvt_f16_f32_e32 v12, v31
	v_pk_mul_f16 v91, v91, v28
	v_pk_mul_f16 v92, v92, v28
	v_cndmask_b32_e32 v21, 0x7f800000, v58, vcc_lo
	v_cmp_nlt_f32_e32 vcc_lo, 0x42b17218, v53
	v_mul_u32_u24_sdwa v29, v12, v25 dst_sel:DWORD dst_unused:UNUSED_PAD src0_sel:WORD_0 src1_sel:DWORD
	v_mov_b32_e32 v12, v20
	v_fmac_f32_e32 v21, v13, v32
	v_cndmask_b32_e32 v48, 0x7f800000, v59, vcc_lo
	v_cmp_nlt_f32_e32 vcc_lo, 0x42b17218, v54
	v_cvt_f16_f32_e32 v13, v32
	v_pk_mul_f16 v89, v89, v29
	v_pk_mul_f16 v90, v90, v29
	v_cndmask_b32_e32 v22, 0x7f800000, v60, vcc_lo
	v_cmp_nlt_f32_e32 vcc_lo, 0x42b17218, v55
	;; [unrolled: 10-line block ×3, first 2 shown]
	v_mul_u32_u24_sdwa v31, v14, v25 dst_sel:DWORD dst_unused:UNUSED_PAD src0_sel:WORD_0 src1_sel:DWORD
	v_mov_b32_e32 v14, v22
	v_fmac_f32_e32 v23, v15, v49
	v_cndmask_b32_e32 v26, 0x7f800000, v63, vcc_lo
	v_cmp_nlt_f32_e32 vcc_lo, 0x42b17218, v27
	v_cvt_f16_f32_e32 v15, v49
	v_mul_u32_u24_sdwa v27, v10, v25 dst_sel:DWORD dst_unused:UNUSED_PAD src0_sel:WORD_0 src1_sel:DWORD
	v_mov_b32_e32 v10, v18
	v_pk_mul_f16 v85, v85, v31
	v_cndmask_b32_e32 v24, 0x7f800000, v64, vcc_lo
	v_mul_u32_u24_sdwa v32, v15, v25 dst_sel:DWORD dst_unused:UNUSED_PAD src0_sel:WORD_0 src1_sel:DWORD
	v_mov_b32_e32 v15, v23
	v_pk_mul_f16 v93, v93, v27
	v_pk_mul_f16 v94, v94, v27
	v_fmac_f32_e32 v24, v16, v26
	v_cvt_f16_f32_e32 v16, v26
	v_mul_u32_u24_sdwa v26, v9, v25 dst_sel:DWORD dst_unused:UNUSED_PAD src0_sel:WORD_0 src1_sel:DWORD
	v_mov_b32_e32 v9, v17
	v_pk_mul_f16 v86, v86, v31
	v_pk_mul_f16 v83, v83, v32
	v_mul_u32_u24_sdwa v16, v16, v25 dst_sel:DWORD dst_unused:UNUSED_PAD src0_sel:WORD_0 src1_sel:DWORD
	v_pk_mul_f16 v95, v95, v26
	v_pk_mul_f16 v96, v96, v26
	;; [unrolled: 1-line block ×5, first 2 shown]
	v_mov_b32_e32 v16, v24
	s_mov_b32 s0, exec_lo
	v_cmpx_gt_i32_e64 s54, v47
	s_cbranch_execnz .LBB33_15
.LBB33_13:
	s_endpgm
.LBB33_14:
	v_mov_b32_e32 v24, v16
	v_mov_b32_e32 v23, v15
	;; [unrolled: 1-line block ×8, first 2 shown]
	s_mov_b32 s0, exec_lo
	v_cmpx_gt_i32_e64 s54, v47
	s_cbranch_execz .LBB33_13
.LBB33_15:
	s_load_dword s1, s[4:5], 0xd4
	v_mov_b32_e32 v28, 1.0
	s_waitcnt lgkmcnt(0)
	s_cmp_lg_u32 s1, 1
	s_cselect_b32 s3, -1, 0
	s_cmp_eq_u32 s1, 1
	s_cselect_b32 s4, -1, 0
	s_and_b32 vcc_lo, exec_lo, s3
	s_cbranch_vccnz .LBB33_17
; %bb.16:
	v_div_scale_f32 v25, null, v9, v9, 1.0
	v_rcp_f32_e32 v26, v25
	v_fma_f32 v27, -v25, v26, 1.0
	v_fmac_f32_e32 v26, v27, v26
	v_div_scale_f32 v27, vcc_lo, 1.0, v9, 1.0
	v_mul_f32_e32 v28, v27, v26
	v_fma_f32 v29, -v25, v28, v27
	v_fmac_f32_e32 v28, v29, v26
	v_fma_f32 v25, -v25, v28, v27
	v_div_fmas_f32 v25, v25, v26, v28
	v_div_fixup_f32 v28, v25, v9, 1.0
.LBB33_17:
	s_mul_i32 s2, s35, s54
	v_mov_b32_e32 v30, 0
	s_add_i32 s2, s2, s42
	v_cmp_eq_u32_e32 vcc_lo, 0, v0
	v_add_nc_u32_e32 v9, s2, v45
	v_cvt_f32_f16_e32 v0, v95
	v_cvt_f32_f16_sdwa v32, v96 dst_sel:DWORD dst_unused:UNUSED_PAD src0_sel:WORD_1
	s_and_b32 s3, vcc_lo, s3
	v_mul_lo_u32 v27, v9, s55
	v_mul_f32_e32 v32, v28, v32
	v_add_nc_u32_e32 v9, s56, v27
	v_mad_u64_u32 v[25:26], null, s1, v9, s[34:35]
	v_cvt_f32_f16_sdwa v9, v95 dst_sel:DWORD dst_unused:UNUSED_PAD src0_sel:WORD_1
	v_cvt_f32_f16_e32 v26, v96
	v_mul_f32_e32 v31, v28, v26
	v_lshl_add_u32 v29, v25, 7, v44
	v_lshlrev_b64 v[47:48], 2, v[29:30]
	v_mul_f32_e32 v29, v28, v0
	v_mul_f32_e32 v30, v28, v9
	v_add_co_u32 v47, s0, s48, v47
	v_add_co_ci_u32_e64 v48, null, s49, v48, s0
	global_store_dwordx4 v[47:48], v[29:32], off
	s_and_saveexec_b32 s0, s3
	s_cbranch_execz .LBB33_19
; %bb.18:
	v_ashrrev_i32_e32 v26, 31, v25
	v_mov_b32_e32 v0, v1
	v_mov_b32_e32 v1, v17
	v_lshlrev_b64 v[25:26], 3, v[25:26]
	v_add_co_u32 v25, vcc_lo, s50, v25
	v_add_co_ci_u32_e64 v26, null, s51, v26, vcc_lo
	global_store_dwordx2 v[25:26], v[0:1], off
.LBB33_19:
	s_or_b32 exec_lo, exec_lo, s0
	v_cndmask_b32_e64 v9, 0, 1, s4
	v_mov_b32_e32 v17, 1.0
	s_andn2_b32 vcc_lo, exec_lo, s4
	s_cbranch_vccnz .LBB33_21
; %bb.20:
	v_div_scale_f32 v0, null, v10, v10, 1.0
	v_rcp_f32_e32 v1, v0
	v_fma_f32 v17, -v0, v1, 1.0
	v_fmac_f32_e32 v1, v17, v1
	v_div_scale_f32 v17, vcc_lo, 1.0, v10, 1.0
	v_mul_f32_e32 v25, v17, v1
	v_fma_f32 v26, -v0, v25, v17
	v_fmac_f32_e32 v25, v26, v1
	v_fma_f32 v0, -v0, v25, v17
	v_div_fmas_f32 v0, v0, v1, v25
	v_div_fixup_f32 v17, v0, v10, 1.0
.LBB33_21:
	s_add_i32 s0, s56, 1
	v_mov_b32_e32 v26, 0
	v_add_nc_u32_e32 v0, s0, v27
	v_cvt_f32_f16_sdwa v10, v93 dst_sel:DWORD dst_unused:UNUSED_PAD src0_sel:WORD_1
	v_cvt_f32_f16_e32 v27, v94
	v_cvt_f32_f16_sdwa v28, v94 dst_sel:DWORD dst_unused:UNUSED_PAD src0_sel:WORD_1
	v_mad_u64_u32 v[0:1], null, s1, v0, s[34:35]
	v_cvt_f32_f16_e32 v1, v93
	v_mul_f32_e32 v27, v17, v27
	v_mul_f32_e32 v28, v17, v28
	v_lshl_add_u32 v25, v0, 7, v44
	v_lshlrev_b64 v[29:30], 2, v[25:26]
	v_mul_f32_e32 v25, v17, v1
	v_mul_f32_e32 v26, v17, v10
	v_add_co_u32 v29, vcc_lo, s48, v29
	v_add_co_ci_u32_e64 v30, null, s49, v30, vcc_lo
	global_store_dwordx4 v[29:30], v[25:28], off
	s_and_saveexec_b32 s4, s3
	s_cbranch_execz .LBB33_23
; %bb.22:
	v_ashrrev_i32_e32 v1, 31, v0
	v_mov_b32_e32 v17, v2
	v_lshlrev_b64 v[0:1], 3, v[0:1]
	v_add_co_u32 v0, vcc_lo, s50, v0
	v_add_co_ci_u32_e64 v1, null, s51, v1, vcc_lo
	global_store_dwordx2 v[0:1], v[17:18], off
.LBB33_23:
	s_or_b32 exec_lo, exec_lo, s4
	v_cmp_gt_i32_e32 vcc_lo, s54, v46
	s_and_b32 exec_lo, exec_lo, vcc_lo
	s_cbranch_execz .LBB33_13
; %bb.24:
	v_cmp_ne_u32_e32 vcc_lo, 1, v9
	v_mov_b32_e32 v2, 1.0
	s_cbranch_vccnz .LBB33_26
; %bb.25:
	v_div_scale_f32 v0, null, v11, v11, 1.0
	v_rcp_f32_e32 v1, v0
	v_fma_f32 v2, -v0, v1, 1.0
	v_fmac_f32_e32 v1, v2, v1
	v_div_scale_f32 v2, vcc_lo, 1.0, v11, 1.0
	v_mul_f32_e32 v10, v2, v1
	v_fma_f32 v17, -v0, v10, v2
	v_fmac_f32_e32 v10, v17, v1
	v_fma_f32 v0, -v0, v10, v2
	v_div_fmas_f32 v0, v0, v1, v10
	v_div_fixup_f32 v2, v0, v11, 1.0
.LBB33_26:
	v_add_nc_u32_e32 v0, s2, v43
	v_mov_b32_e32 v11, 0
	v_cvt_f32_f16_sdwa v17, v91 dst_sel:DWORD dst_unused:UNUSED_PAD src0_sel:WORD_1
	v_cvt_f32_f16_e32 v18, v92
	v_cvt_f32_f16_sdwa v28, v92 dst_sel:DWORD dst_unused:UNUSED_PAD src0_sel:WORD_1
	v_mad_u64_u32 v[0:1], null, v0, s55, s[56:57]
	v_mul_f32_e32 v26, v2, v17
	v_mul_f32_e32 v27, v2, v18
	v_mul_f32_e32 v28, v2, v28
	v_mad_u64_u32 v[0:1], null, s1, v0, s[34:35]
	v_cvt_f32_f16_e32 v1, v91
	v_mul_f32_e32 v25, v2, v1
	v_lshl_add_u32 v10, v0, 7, v44
	v_lshlrev_b64 v[10:11], 2, v[10:11]
	v_add_co_u32 v1, vcc_lo, s48, v10
	v_add_co_ci_u32_e64 v2, null, s49, v11, vcc_lo
	global_store_dwordx4 v[1:2], v[25:28], off
	s_and_saveexec_b32 s4, s3
	s_cbranch_execz .LBB33_28
; %bb.27:
	v_ashrrev_i32_e32 v1, 31, v0
	v_mov_b32_e32 v18, v3
	v_lshlrev_b64 v[0:1], 3, v[0:1]
	v_add_co_u32 v0, vcc_lo, s50, v0
	v_add_co_ci_u32_e64 v1, null, s51, v1, vcc_lo
	global_store_dwordx2 v[0:1], v[18:19], off
.LBB33_28:
	s_or_b32 exec_lo, exec_lo, s4
	v_cmp_gt_i32_e32 vcc_lo, s54, v42
	s_and_b32 exec_lo, exec_lo, vcc_lo
	s_cbranch_execz .LBB33_13
; %bb.29:
	v_cmp_ne_u32_e32 vcc_lo, 1, v9
	v_mov_b32_e32 v2, 1.0
	s_cbranch_vccnz .LBB33_31
; %bb.30:
	v_div_scale_f32 v0, null, v12, v12, 1.0
	v_rcp_f32_e32 v1, v0
	v_fma_f32 v2, -v0, v1, 1.0
	v_fmac_f32_e32 v1, v2, v1
	v_div_scale_f32 v2, vcc_lo, 1.0, v12, 1.0
	v_mul_f32_e32 v3, v2, v1
	v_fma_f32 v10, -v0, v3, v2
	v_fmac_f32_e32 v3, v10, v1
	v_fma_f32 v0, -v0, v3, v2
	v_div_fmas_f32 v0, v0, v1, v3
	v_div_fixup_f32 v2, v0, v12, 1.0
.LBB33_31:
	v_add_nc_u32_e32 v0, s2, v40
	v_mov_b32_e32 v11, 0
	v_cvt_f32_f16_sdwa v3, v89 dst_sel:DWORD dst_unused:UNUSED_PAD src0_sel:WORD_1
	v_cvt_f32_f16_e32 v12, v90
	v_cvt_f32_f16_sdwa v17, v90 dst_sel:DWORD dst_unused:UNUSED_PAD src0_sel:WORD_1
	v_mad_u64_u32 v[0:1], null, v0, s55, s[0:1]
	v_mul_f32_e32 v26, v2, v3
	v_mul_f32_e32 v27, v2, v12
	v_mul_f32_e32 v28, v2, v17
	v_mad_u64_u32 v[0:1], null, s1, v0, s[34:35]
	v_cvt_f32_f16_e32 v1, v89
	v_mul_f32_e32 v25, v2, v1
	v_lshl_add_u32 v10, v0, 7, v44
	v_lshlrev_b64 v[10:11], 2, v[10:11]
	;; [unrolled: 48-line block ×4, first 2 shown]
	v_add_co_u32 v1, vcc_lo, s48, v3
	v_add_co_ci_u32_e64 v2, null, s49, v4, vcc_lo
	global_store_dwordx4 v[1:2], v[10:13], off
	s_and_saveexec_b32 s4, s3
	s_cbranch_execz .LBB33_43
; %bb.42:
	v_ashrrev_i32_e32 v1, 31, v0
	v_mov_b32_e32 v21, v6
	v_lshlrev_b64 v[0:1], 3, v[0:1]
	v_add_co_u32 v0, vcc_lo, s50, v0
	v_add_co_ci_u32_e64 v1, null, s51, v1, vcc_lo
	global_store_dwordx2 v[0:1], v[21:22], off
.LBB33_43:
	s_or_b32 exec_lo, exec_lo, s4
	v_cmp_gt_i32_e32 vcc_lo, s54, v37
	s_and_b32 exec_lo, exec_lo, vcc_lo
	s_cbranch_execz .LBB33_13
; %bb.44:
	v_cmp_ne_u32_e32 vcc_lo, 1, v9
	v_mov_b32_e32 v2, 1.0
	s_cbranch_vccnz .LBB33_46
; %bb.45:
	v_div_scale_f32 v0, null, v15, v15, 1.0
	v_rcp_f32_e32 v1, v0
	v_fma_f32 v2, -v0, v1, 1.0
	v_fmac_f32_e32 v1, v2, v1
	v_div_scale_f32 v2, vcc_lo, 1.0, v15, 1.0
	v_mul_f32_e32 v3, v2, v1
	v_fma_f32 v4, -v0, v3, v2
	v_fmac_f32_e32 v3, v4, v1
	v_fma_f32 v0, -v0, v3, v2
	v_div_fmas_f32 v0, v0, v1, v3
	v_div_fixup_f32 v2, v0, v15, 1.0
.LBB33_46:
	v_add_nc_u32_e32 v0, s2, v35
	v_mov_b32_e32 v4, 0
	v_cvt_f32_f16_sdwa v5, v83 dst_sel:DWORD dst_unused:UNUSED_PAD src0_sel:WORD_1
	v_cvt_f32_f16_e32 v6, v84
	v_cvt_f32_f16_sdwa v12, v84 dst_sel:DWORD dst_unused:UNUSED_PAD src0_sel:WORD_1
	v_mad_u64_u32 v[0:1], null, v0, s55, s[56:57]
	v_mad_u64_u32 v[0:1], null, s1, v0, s[34:35]
	v_cvt_f32_f16_e32 v1, v83
	v_lshl_add_u32 v3, v0, 7, v44
	v_lshlrev_b64 v[10:11], 2, v[3:4]
	v_mul_f32_e32 v3, v2, v1
	v_mul_f32_e32 v4, v2, v5
	;; [unrolled: 1-line block ×4, first 2 shown]
	v_add_co_u32 v1, vcc_lo, s48, v10
	v_add_co_ci_u32_e64 v2, null, s49, v11, vcc_lo
	global_store_dwordx4 v[1:2], v[3:6], off
	s_and_saveexec_b32 s4, s3
	s_cbranch_execz .LBB33_48
; %bb.47:
	v_ashrrev_i32_e32 v1, 31, v0
	v_mov_b32_e32 v22, v7
	v_lshlrev_b64 v[0:1], 3, v[0:1]
	v_add_co_u32 v0, vcc_lo, s50, v0
	v_add_co_ci_u32_e64 v1, null, s51, v1, vcc_lo
	global_store_dwordx2 v[0:1], v[22:23], off
.LBB33_48:
	s_or_b32 exec_lo, exec_lo, s4
	v_cmp_gt_i32_e32 vcc_lo, s54, v34
	s_and_b32 exec_lo, exec_lo, vcc_lo
	s_cbranch_execz .LBB33_13
; %bb.49:
	v_cmp_ne_u32_e32 vcc_lo, 1, v9
	v_mov_b32_e32 v2, 1.0
	s_cbranch_vccnz .LBB33_51
; %bb.50:
	v_div_scale_f32 v0, null, v16, v16, 1.0
	v_rcp_f32_e32 v1, v0
	v_fma_f32 v2, -v0, v1, 1.0
	v_fmac_f32_e32 v1, v2, v1
	v_div_scale_f32 v2, vcc_lo, 1.0, v16, 1.0
	v_mul_f32_e32 v3, v2, v1
	v_fma_f32 v4, -v0, v3, v2
	v_fmac_f32_e32 v3, v4, v1
	v_fma_f32 v0, -v0, v3, v2
	v_div_fmas_f32 v0, v0, v1, v3
	v_div_fixup_f32 v2, v0, v16, 1.0
.LBB33_51:
	v_add_nc_u32_e32 v0, s2, v33
	v_mov_b32_e32 v4, 0
	v_cvt_f32_f16_sdwa v5, v82 dst_sel:DWORD dst_unused:UNUSED_PAD src0_sel:WORD_1
	v_cvt_f32_f16_e32 v6, v81
	v_cvt_f32_f16_sdwa v7, v81 dst_sel:DWORD dst_unused:UNUSED_PAD src0_sel:WORD_1
	v_mad_u64_u32 v[0:1], null, v0, s55, s[0:1]
	v_mad_u64_u32 v[0:1], null, s1, v0, s[34:35]
	v_cvt_f32_f16_e32 v1, v82
	v_lshl_add_u32 v3, v0, 7, v44
	v_lshlrev_b64 v[9:10], 2, v[3:4]
	v_mul_f32_e32 v3, v2, v1
	v_mul_f32_e32 v4, v2, v5
	;; [unrolled: 1-line block ×4, first 2 shown]
	v_add_co_u32 v1, vcc_lo, s48, v9
	v_add_co_ci_u32_e64 v2, null, s49, v10, vcc_lo
	global_store_dwordx4 v[1:2], v[3:6], off
	s_and_b32 exec_lo, exec_lo, s3
	s_cbranch_execz .LBB33_13
; %bb.52:
	v_ashrrev_i32_e32 v1, 31, v0
	v_mov_b32_e32 v23, v8
	v_lshlrev_b64 v[0:1], 3, v[0:1]
	v_add_co_u32 v0, vcc_lo, s50, v0
	v_add_co_ci_u32_e64 v1, null, s51, v1, vcc_lo
	global_store_dwordx2 v[0:1], v[23:24], off
	s_endpgm
	.section	.rodata,"a",@progbits
	.p2align	6, 0x0
	.amdhsa_kernel _ZL15flash_attn_tileILi128ELi128ELi32ELi2ELb0EEvPKcS1_S1_S1_S1_PKiPfP15HIP_vector_typeIfLj2EEffffjfiS5_IjLj3EEiiiiiiiiiiiliiliiiiil
		.amdhsa_group_segment_fixed_size 33792
		.amdhsa_private_segment_fixed_size 0
		.amdhsa_kernarg_size 464
		.amdhsa_user_sgpr_count 6
		.amdhsa_user_sgpr_private_segment_buffer 1
		.amdhsa_user_sgpr_dispatch_ptr 0
		.amdhsa_user_sgpr_queue_ptr 0
		.amdhsa_user_sgpr_kernarg_segment_ptr 1
		.amdhsa_user_sgpr_dispatch_id 0
		.amdhsa_user_sgpr_flat_scratch_init 0
		.amdhsa_user_sgpr_private_segment_size 0
		.amdhsa_wavefront_size32 1
		.amdhsa_uses_dynamic_stack 0
		.amdhsa_system_sgpr_private_segment_wavefront_offset 0
		.amdhsa_system_sgpr_workgroup_id_x 1
		.amdhsa_system_sgpr_workgroup_id_y 1
		.amdhsa_system_sgpr_workgroup_id_z 1
		.amdhsa_system_sgpr_workgroup_info 0
		.amdhsa_system_vgpr_workitem_id 1
		.amdhsa_next_free_vgpr 226
		.amdhsa_next_free_sgpr 62
		.amdhsa_reserve_vcc 1
		.amdhsa_reserve_flat_scratch 0
		.amdhsa_float_round_mode_32 0
		.amdhsa_float_round_mode_16_64 0
		.amdhsa_float_denorm_mode_32 3
		.amdhsa_float_denorm_mode_16_64 3
		.amdhsa_dx10_clamp 1
		.amdhsa_ieee_mode 1
		.amdhsa_fp16_overflow 0
		.amdhsa_workgroup_processor_mode 1
		.amdhsa_memory_ordered 1
		.amdhsa_forward_progress 1
		.amdhsa_shared_vgpr_count 0
		.amdhsa_exception_fp_ieee_invalid_op 0
		.amdhsa_exception_fp_denorm_src 0
		.amdhsa_exception_fp_ieee_div_zero 0
		.amdhsa_exception_fp_ieee_overflow 0
		.amdhsa_exception_fp_ieee_underflow 0
		.amdhsa_exception_fp_ieee_inexact 0
		.amdhsa_exception_int_div_zero 0
	.end_amdhsa_kernel
	.section	.text._ZL15flash_attn_tileILi128ELi128ELi32ELi2ELb0EEvPKcS1_S1_S1_S1_PKiPfP15HIP_vector_typeIfLj2EEffffjfiS5_IjLj3EEiiiiiiiiiiiliiliiiiil,"axG",@progbits,_ZL15flash_attn_tileILi128ELi128ELi32ELi2ELb0EEvPKcS1_S1_S1_S1_PKiPfP15HIP_vector_typeIfLj2EEffffjfiS5_IjLj3EEiiiiiiiiiiiliiliiiiil,comdat
.Lfunc_end33:
	.size	_ZL15flash_attn_tileILi128ELi128ELi32ELi2ELb0EEvPKcS1_S1_S1_S1_PKiPfP15HIP_vector_typeIfLj2EEffffjfiS5_IjLj3EEiiiiiiiiiiiliiliiiiil, .Lfunc_end33-_ZL15flash_attn_tileILi128ELi128ELi32ELi2ELb0EEvPKcS1_S1_S1_S1_PKiPfP15HIP_vector_typeIfLj2EEffffjfiS5_IjLj3EEiiiiiiiiiiiliiliiiiil
                                        ; -- End function
	.set _ZL15flash_attn_tileILi128ELi128ELi32ELi2ELb0EEvPKcS1_S1_S1_S1_PKiPfP15HIP_vector_typeIfLj2EEffffjfiS5_IjLj3EEiiiiiiiiiiiliiliiiiil.num_vgpr, 226
	.set _ZL15flash_attn_tileILi128ELi128ELi32ELi2ELb0EEvPKcS1_S1_S1_S1_PKiPfP15HIP_vector_typeIfLj2EEffffjfiS5_IjLj3EEiiiiiiiiiiiliiliiiiil.num_agpr, 0
	.set _ZL15flash_attn_tileILi128ELi128ELi32ELi2ELb0EEvPKcS1_S1_S1_S1_PKiPfP15HIP_vector_typeIfLj2EEffffjfiS5_IjLj3EEiiiiiiiiiiiliiliiiiil.numbered_sgpr, 62
	.set _ZL15flash_attn_tileILi128ELi128ELi32ELi2ELb0EEvPKcS1_S1_S1_S1_PKiPfP15HIP_vector_typeIfLj2EEffffjfiS5_IjLj3EEiiiiiiiiiiiliiliiiiil.num_named_barrier, 0
	.set _ZL15flash_attn_tileILi128ELi128ELi32ELi2ELb0EEvPKcS1_S1_S1_S1_PKiPfP15HIP_vector_typeIfLj2EEffffjfiS5_IjLj3EEiiiiiiiiiiiliiliiiiil.private_seg_size, 0
	.set _ZL15flash_attn_tileILi128ELi128ELi32ELi2ELb0EEvPKcS1_S1_S1_S1_PKiPfP15HIP_vector_typeIfLj2EEffffjfiS5_IjLj3EEiiiiiiiiiiiliiliiiiil.uses_vcc, 1
	.set _ZL15flash_attn_tileILi128ELi128ELi32ELi2ELb0EEvPKcS1_S1_S1_S1_PKiPfP15HIP_vector_typeIfLj2EEffffjfiS5_IjLj3EEiiiiiiiiiiiliiliiiiil.uses_flat_scratch, 0
	.set _ZL15flash_attn_tileILi128ELi128ELi32ELi2ELb0EEvPKcS1_S1_S1_S1_PKiPfP15HIP_vector_typeIfLj2EEffffjfiS5_IjLj3EEiiiiiiiiiiiliiliiiiil.has_dyn_sized_stack, 0
	.set _ZL15flash_attn_tileILi128ELi128ELi32ELi2ELb0EEvPKcS1_S1_S1_S1_PKiPfP15HIP_vector_typeIfLj2EEffffjfiS5_IjLj3EEiiiiiiiiiiiliiliiiiil.has_recursion, 0
	.set _ZL15flash_attn_tileILi128ELi128ELi32ELi2ELb0EEvPKcS1_S1_S1_S1_PKiPfP15HIP_vector_typeIfLj2EEffffjfiS5_IjLj3EEiiiiiiiiiiiliiliiiiil.has_indirect_call, 0
	.section	.AMDGPU.csdata,"",@progbits
; Kernel info:
; codeLenInByte = 48516
; TotalNumSgprs: 64
; NumVgprs: 226
; ScratchSize: 0
; MemoryBound: 0
; FloatMode: 240
; IeeeMode: 1
; LDSByteSize: 33792 bytes/workgroup (compile time only)
; SGPRBlocks: 0
; VGPRBlocks: 28
; NumSGPRsForWavesPerEU: 64
; NumVGPRsForWavesPerEU: 226
; Occupancy: 4
; WaveLimiterHint : 1
; COMPUTE_PGM_RSRC2:SCRATCH_EN: 0
; COMPUTE_PGM_RSRC2:USER_SGPR: 6
; COMPUTE_PGM_RSRC2:TRAP_HANDLER: 0
; COMPUTE_PGM_RSRC2:TGID_X_EN: 1
; COMPUTE_PGM_RSRC2:TGID_Y_EN: 1
; COMPUTE_PGM_RSRC2:TGID_Z_EN: 1
; COMPUTE_PGM_RSRC2:TIDIG_COMP_CNT: 1
	.section	.text._ZL25flash_attn_mask_to_KV_maxILi32EEvPK7__half2Piiii,"axG",@progbits,_ZL25flash_attn_mask_to_KV_maxILi32EEvPK7__half2Piiii,comdat
	.globl	_ZL25flash_attn_mask_to_KV_maxILi32EEvPK7__half2Piiii ; -- Begin function _ZL25flash_attn_mask_to_KV_maxILi32EEvPK7__half2Piiii
	.p2align	8
	.type	_ZL25flash_attn_mask_to_KV_maxILi32EEvPK7__half2Piiii,@function
_ZL25flash_attn_mask_to_KV_maxILi32EEvPK7__half2Piiii: ; @_ZL25flash_attn_mask_to_KV_maxILi32EEvPK7__half2Piiii
; %bb.0:
	s_load_dwordx4 s[8:11], s[4:5], 0x0
	s_mov_b32 s0, exec_lo
	v_cmpx_gt_u32_e32 32, v0
; %bb.1:
	v_lshlrev_b32_e32 v1, 2, v0
	v_mov_b32_e32 v2, 1
	ds_write_b32 v1, v2
; %bb.2:
	s_or_b32 exec_lo, exec_lo, s0
	s_clause 0x1
	s_load_dwordx4 s[12:15], s[4:5], 0x10
	s_load_dword s1, s[4:5], 0x20
	v_and_b32_e32 v1, 31, v0
	v_lshrrev_b32_e32 v5, 3, v0
	v_mov_b32_e32 v2, 0
	v_mov_b32_e32 v6, 0x204
	s_waitcnt lgkmcnt(0)
	v_lshlrev_b32_e32 v7, 2, v1
	s_barrier
	buffer_gl0_inv
	s_mul_i32 s0, s6, s13
	s_mul_i32 s2, s14, s7
	s_lshl_b32 s0, s0, 5
	s_add_i32 s2, s2, s0
	v_cmp_eq_u32_e64 s0, 0, v1
	s_ashr_i32 s3, s2, 31
	s_lshl_b64 s[4:5], s[2:3], 2
	s_add_u32 s3, s8, s4
	s_addc_u32 s4, s9, s5
	s_lshl_b32 s5, s12, 8
	s_branch .LBB34_4
.LBB34_3:                               ;   in Loop: Header=BB34_4 Depth=1
	s_or_b32 exec_lo, exec_lo, s8
	s_waitcnt lgkmcnt(0)
	s_barrier
	buffer_gl0_inv
	ds_read_b32 v1, v7
	s_waitcnt lgkmcnt(0)
	s_barrier
	buffer_gl0_inv
	v_cmp_ne_u32_e32 vcc_lo, 0, v1
	s_cmp_lg_u32 vcc_lo, exec_lo
	s_cselect_b32 s8, -1, 0
	s_and_b32 vcc_lo, exec_lo, s8
	s_cbranch_vccnz .LBB34_132
.LBB34_4:                               ; =>This Inner Loop Header: Depth=1
	s_mov_b32 s2, s5
	s_addk_i32 s5, 0xff00
	s_cmp_lt_i32 s5, 0
	s_cbranch_scc1 .LBB34_131
; %bb.5:                                ;   in Loop: Header=BB34_4 Depth=1
	s_lshr_b32 s8, s5, 1
	v_add_nc_u32_e32 v1, s8, v0
	v_lshlrev_b64 v[3:4], 2, v[1:2]
	v_add_co_u32 v3, vcc_lo, s3, v3
	v_add_co_ci_u32_e64 v4, null, s4, v4, vcc_lo
	global_load_dword v3, v[3:4], off
	s_waitcnt vmcnt(0)
	v_cmp_class_f16_e64 s8, v3, 0x204
	v_cmp_class_f16_sdwa s9, v3, v6 src0_sel:WORD_1 src1_sel:DWORD
	s_and_b32 s12, s8, s9
	s_mov_b32 s9, 0
	s_and_saveexec_b32 s8, s12
	s_cbranch_execz .LBB34_129
; %bb.6:                                ;   in Loop: Header=BB34_4 Depth=1
	v_add_nc_u32_e32 v3, s13, v1
	s_mov_b32 s12, 0
	v_ashrrev_i32_e32 v4, 31, v3
	v_lshlrev_b64 v[8:9], 2, v[3:4]
	v_add_co_u32 v8, vcc_lo, s3, v8
	v_add_co_ci_u32_e64 v9, null, s4, v9, vcc_lo
	global_load_dword v1, v[8:9], off
	s_waitcnt vmcnt(0)
	v_cmp_class_f16_e64 s14, v1, 0x204
	s_and_saveexec_b32 s9, s14
	s_cbranch_execz .LBB34_128
; %bb.7:                                ;   in Loop: Header=BB34_4 Depth=1
	v_cmp_class_f16_sdwa s15, v1, v6 src0_sel:WORD_1 src1_sel:DWORD
	s_mov_b32 s14, 0
	s_and_saveexec_b32 s12, s15
	s_cbranch_execz .LBB34_127
; %bb.8:                                ;   in Loop: Header=BB34_4 Depth=1
	v_add_nc_u32_e32 v3, s13, v3
	s_mov_b32 s15, 0
	v_ashrrev_i32_e32 v4, 31, v3
	v_lshlrev_b64 v[8:9], 2, v[3:4]
	v_add_co_u32 v8, vcc_lo, s3, v8
	v_add_co_ci_u32_e64 v9, null, s4, v9, vcc_lo
	global_load_dword v1, v[8:9], off
	s_waitcnt vmcnt(0)
	v_cmp_class_f16_e64 s16, v1, 0x204
	s_and_saveexec_b32 s14, s16
	s_cbranch_execz .LBB34_126
; %bb.9:                                ;   in Loop: Header=BB34_4 Depth=1
	v_cmp_class_f16_sdwa s17, v1, v6 src0_sel:WORD_1 src1_sel:DWORD
	s_mov_b32 s16, 0
	s_and_saveexec_b32 s15, s17
	s_cbranch_execz .LBB34_125
; %bb.10:                               ;   in Loop: Header=BB34_4 Depth=1
	v_add_nc_u32_e32 v3, s13, v3
	s_mov_b32 s17, 0
	v_ashrrev_i32_e32 v4, 31, v3
	v_lshlrev_b64 v[8:9], 2, v[3:4]
	v_add_co_u32 v8, vcc_lo, s3, v8
	v_add_co_ci_u32_e64 v9, null, s4, v9, vcc_lo
	global_load_dword v1, v[8:9], off
	s_waitcnt vmcnt(0)
	v_cmp_class_f16_e64 s18, v1, 0x204
	s_and_saveexec_b32 s16, s18
	s_cbranch_execz .LBB34_124
; %bb.11:                               ;   in Loop: Header=BB34_4 Depth=1
	v_cmp_class_f16_sdwa s19, v1, v6 src0_sel:WORD_1 src1_sel:DWORD
	s_mov_b32 s18, 0
	s_and_saveexec_b32 s17, s19
	s_cbranch_execz .LBB34_123
; %bb.12:                               ;   in Loop: Header=BB34_4 Depth=1
	v_add_nc_u32_e32 v3, s13, v3
	s_mov_b32 s19, 0
	v_ashrrev_i32_e32 v4, 31, v3
	v_lshlrev_b64 v[8:9], 2, v[3:4]
	v_add_co_u32 v8, vcc_lo, s3, v8
	v_add_co_ci_u32_e64 v9, null, s4, v9, vcc_lo
	global_load_dword v1, v[8:9], off
	s_waitcnt vmcnt(0)
	v_cmp_class_f16_e64 s20, v1, 0x204
	s_and_saveexec_b32 s18, s20
	s_cbranch_execz .LBB34_122
; %bb.13:                               ;   in Loop: Header=BB34_4 Depth=1
	;; [unrolled: 17-line block ×28, first 2 shown]
	v_cmp_class_f16_sdwa s74, v1, v6 src0_sel:WORD_1 src1_sel:DWORD
	s_mov_b32 s73, 0
	s_and_saveexec_b32 s72, s74
	s_cbranch_execz .LBB34_69
; %bb.66:                               ;   in Loop: Header=BB34_4 Depth=1
	v_add_nc_u32_e32 v3, s13, v3
	v_ashrrev_i32_e32 v4, 31, v3
	v_lshlrev_b64 v[3:4], 2, v[3:4]
	v_add_co_u32 v3, vcc_lo, s3, v3
	v_add_co_ci_u32_e64 v4, null, s4, v4, vcc_lo
	global_load_dword v1, v[3:4], off
	s_waitcnt vmcnt(0)
	v_cmp_class_f16_e64 s75, v1, 0x204
	s_and_saveexec_b32 s74, s75
; %bb.67:                               ;   in Loop: Header=BB34_4 Depth=1
	v_cmp_class_f16_sdwa s73, v1, v6 src0_sel:WORD_1 src1_sel:DWORD
	s_and_b32 s73, s73, exec_lo
; %bb.68:                               ;   in Loop: Header=BB34_4 Depth=1
	s_or_b32 exec_lo, exec_lo, s74
	s_and_b32 s73, s73, exec_lo
.LBB34_69:                              ;   in Loop: Header=BB34_4 Depth=1
	s_or_b32 exec_lo, exec_lo, s72
	s_and_b32 s72, s73, exec_lo
.LBB34_70:                              ;   in Loop: Header=BB34_4 Depth=1
	s_or_b32 exec_lo, exec_lo, s71
	s_and_b32 s71, s72, exec_lo
.LBB34_71:                              ;   in Loop: Header=BB34_4 Depth=1
	s_or_b32 exec_lo, exec_lo, s70
	s_and_b32 s70, s71, exec_lo
.LBB34_72:                              ;   in Loop: Header=BB34_4 Depth=1
	s_or_b32 exec_lo, exec_lo, s69
	s_and_b32 s69, s70, exec_lo
.LBB34_73:                              ;   in Loop: Header=BB34_4 Depth=1
	s_or_b32 exec_lo, exec_lo, s68
	s_and_b32 s68, s69, exec_lo
.LBB34_74:                              ;   in Loop: Header=BB34_4 Depth=1
	s_or_b32 exec_lo, exec_lo, s67
	s_and_b32 s67, s68, exec_lo
.LBB34_75:                              ;   in Loop: Header=BB34_4 Depth=1
	s_or_b32 exec_lo, exec_lo, s66
	s_and_b32 s66, s67, exec_lo
.LBB34_76:                              ;   in Loop: Header=BB34_4 Depth=1
	s_or_b32 exec_lo, exec_lo, s65
	s_and_b32 s65, s66, exec_lo
.LBB34_77:                              ;   in Loop: Header=BB34_4 Depth=1
	s_or_b32 exec_lo, exec_lo, s64
	s_and_b32 s64, s65, exec_lo
.LBB34_78:                              ;   in Loop: Header=BB34_4 Depth=1
	s_or_b32 exec_lo, exec_lo, s63
	s_and_b32 s63, s64, exec_lo
.LBB34_79:                              ;   in Loop: Header=BB34_4 Depth=1
	s_or_b32 exec_lo, exec_lo, s62
	s_and_b32 s62, s63, exec_lo
.LBB34_80:                              ;   in Loop: Header=BB34_4 Depth=1
	s_or_b32 exec_lo, exec_lo, s61
	s_and_b32 s61, s62, exec_lo
.LBB34_81:                              ;   in Loop: Header=BB34_4 Depth=1
	s_or_b32 exec_lo, exec_lo, s60
	s_and_b32 s60, s61, exec_lo
.LBB34_82:                              ;   in Loop: Header=BB34_4 Depth=1
	s_or_b32 exec_lo, exec_lo, s59
	s_and_b32 s59, s60, exec_lo
.LBB34_83:                              ;   in Loop: Header=BB34_4 Depth=1
	s_or_b32 exec_lo, exec_lo, s58
	s_and_b32 s58, s59, exec_lo
.LBB34_84:                              ;   in Loop: Header=BB34_4 Depth=1
	s_or_b32 exec_lo, exec_lo, s57
	s_and_b32 s57, s58, exec_lo
.LBB34_85:                              ;   in Loop: Header=BB34_4 Depth=1
	s_or_b32 exec_lo, exec_lo, s56
	s_and_b32 s56, s57, exec_lo
.LBB34_86:                              ;   in Loop: Header=BB34_4 Depth=1
	s_or_b32 exec_lo, exec_lo, s55
	s_and_b32 s55, s56, exec_lo
.LBB34_87:                              ;   in Loop: Header=BB34_4 Depth=1
	s_or_b32 exec_lo, exec_lo, s54
	s_and_b32 s54, s55, exec_lo
.LBB34_88:                              ;   in Loop: Header=BB34_4 Depth=1
	s_or_b32 exec_lo, exec_lo, s53
	s_and_b32 s53, s54, exec_lo
.LBB34_89:                              ;   in Loop: Header=BB34_4 Depth=1
	s_or_b32 exec_lo, exec_lo, s52
	s_and_b32 s52, s53, exec_lo
.LBB34_90:                              ;   in Loop: Header=BB34_4 Depth=1
	s_or_b32 exec_lo, exec_lo, s51
	s_and_b32 s51, s52, exec_lo
.LBB34_91:                              ;   in Loop: Header=BB34_4 Depth=1
	s_or_b32 exec_lo, exec_lo, s50
	s_and_b32 s50, s51, exec_lo
.LBB34_92:                              ;   in Loop: Header=BB34_4 Depth=1
	s_or_b32 exec_lo, exec_lo, s49
	s_and_b32 s49, s50, exec_lo
.LBB34_93:                              ;   in Loop: Header=BB34_4 Depth=1
	s_or_b32 exec_lo, exec_lo, s48
	s_and_b32 s48, s49, exec_lo
.LBB34_94:                              ;   in Loop: Header=BB34_4 Depth=1
	s_or_b32 exec_lo, exec_lo, s47
	s_and_b32 s47, s48, exec_lo
.LBB34_95:                              ;   in Loop: Header=BB34_4 Depth=1
	s_or_b32 exec_lo, exec_lo, s46
	s_and_b32 s46, s47, exec_lo
.LBB34_96:                              ;   in Loop: Header=BB34_4 Depth=1
	s_or_b32 exec_lo, exec_lo, s45
	s_and_b32 s45, s46, exec_lo
.LBB34_97:                              ;   in Loop: Header=BB34_4 Depth=1
	s_or_b32 exec_lo, exec_lo, s44
	s_and_b32 s44, s45, exec_lo
.LBB34_98:                              ;   in Loop: Header=BB34_4 Depth=1
	s_or_b32 exec_lo, exec_lo, s43
	s_and_b32 s43, s44, exec_lo
.LBB34_99:                              ;   in Loop: Header=BB34_4 Depth=1
	s_or_b32 exec_lo, exec_lo, s42
	s_and_b32 s42, s43, exec_lo
.LBB34_100:                             ;   in Loop: Header=BB34_4 Depth=1
	s_or_b32 exec_lo, exec_lo, s41
	s_and_b32 s41, s42, exec_lo
.LBB34_101:                             ;   in Loop: Header=BB34_4 Depth=1
	s_or_b32 exec_lo, exec_lo, s40
	s_and_b32 s40, s41, exec_lo
.LBB34_102:                             ;   in Loop: Header=BB34_4 Depth=1
	s_or_b32 exec_lo, exec_lo, s39
	s_and_b32 s39, s40, exec_lo
.LBB34_103:                             ;   in Loop: Header=BB34_4 Depth=1
	s_or_b32 exec_lo, exec_lo, s38
	s_and_b32 s38, s39, exec_lo
.LBB34_104:                             ;   in Loop: Header=BB34_4 Depth=1
	s_or_b32 exec_lo, exec_lo, s37
	s_and_b32 s37, s38, exec_lo
.LBB34_105:                             ;   in Loop: Header=BB34_4 Depth=1
	s_or_b32 exec_lo, exec_lo, s36
	s_and_b32 s36, s37, exec_lo
.LBB34_106:                             ;   in Loop: Header=BB34_4 Depth=1
	s_or_b32 exec_lo, exec_lo, s35
	s_and_b32 s35, s36, exec_lo
.LBB34_107:                             ;   in Loop: Header=BB34_4 Depth=1
	s_or_b32 exec_lo, exec_lo, s34
	s_and_b32 s34, s35, exec_lo
.LBB34_108:                             ;   in Loop: Header=BB34_4 Depth=1
	s_or_b32 exec_lo, exec_lo, s33
	s_and_b32 s33, s34, exec_lo
.LBB34_109:                             ;   in Loop: Header=BB34_4 Depth=1
	s_or_b32 exec_lo, exec_lo, s31
	s_and_b32 s31, s33, exec_lo
.LBB34_110:                             ;   in Loop: Header=BB34_4 Depth=1
	s_or_b32 exec_lo, exec_lo, s30
	s_and_b32 s30, s31, exec_lo
.LBB34_111:                             ;   in Loop: Header=BB34_4 Depth=1
	s_or_b32 exec_lo, exec_lo, s29
	s_and_b32 s29, s30, exec_lo
.LBB34_112:                             ;   in Loop: Header=BB34_4 Depth=1
	s_or_b32 exec_lo, exec_lo, s28
	s_and_b32 s28, s29, exec_lo
.LBB34_113:                             ;   in Loop: Header=BB34_4 Depth=1
	s_or_b32 exec_lo, exec_lo, s27
	s_and_b32 s27, s28, exec_lo
.LBB34_114:                             ;   in Loop: Header=BB34_4 Depth=1
	s_or_b32 exec_lo, exec_lo, s26
	s_and_b32 s26, s27, exec_lo
.LBB34_115:                             ;   in Loop: Header=BB34_4 Depth=1
	s_or_b32 exec_lo, exec_lo, s25
	s_and_b32 s25, s26, exec_lo
.LBB34_116:                             ;   in Loop: Header=BB34_4 Depth=1
	s_or_b32 exec_lo, exec_lo, s24
	s_and_b32 s24, s25, exec_lo
.LBB34_117:                             ;   in Loop: Header=BB34_4 Depth=1
	s_or_b32 exec_lo, exec_lo, s23
	s_and_b32 s23, s24, exec_lo
.LBB34_118:                             ;   in Loop: Header=BB34_4 Depth=1
	s_or_b32 exec_lo, exec_lo, s22
	s_and_b32 s22, s23, exec_lo
.LBB34_119:                             ;   in Loop: Header=BB34_4 Depth=1
	s_or_b32 exec_lo, exec_lo, s21
	s_and_b32 s21, s22, exec_lo
.LBB34_120:                             ;   in Loop: Header=BB34_4 Depth=1
	s_or_b32 exec_lo, exec_lo, s20
	s_and_b32 s20, s21, exec_lo
.LBB34_121:                             ;   in Loop: Header=BB34_4 Depth=1
	s_or_b32 exec_lo, exec_lo, s19
	s_and_b32 s19, s20, exec_lo
.LBB34_122:                             ;   in Loop: Header=BB34_4 Depth=1
	s_or_b32 exec_lo, exec_lo, s18
	s_and_b32 s18, s19, exec_lo
.LBB34_123:                             ;   in Loop: Header=BB34_4 Depth=1
	s_or_b32 exec_lo, exec_lo, s17
	s_and_b32 s17, s18, exec_lo
.LBB34_124:                             ;   in Loop: Header=BB34_4 Depth=1
	s_or_b32 exec_lo, exec_lo, s16
	s_and_b32 s16, s17, exec_lo
.LBB34_125:                             ;   in Loop: Header=BB34_4 Depth=1
	s_or_b32 exec_lo, exec_lo, s15
	s_and_b32 s15, s16, exec_lo
.LBB34_126:                             ;   in Loop: Header=BB34_4 Depth=1
	s_or_b32 exec_lo, exec_lo, s14
	s_and_b32 s14, s15, exec_lo
.LBB34_127:                             ;   in Loop: Header=BB34_4 Depth=1
	s_or_b32 exec_lo, exec_lo, s12
	s_and_b32 s12, s14, exec_lo
.LBB34_128:                             ;   in Loop: Header=BB34_4 Depth=1
	s_or_b32 exec_lo, exec_lo, s9
	s_and_b32 s9, s12, exec_lo
.LBB34_129:                             ;   in Loop: Header=BB34_4 Depth=1
	s_or_b32 exec_lo, exec_lo, s8
	v_cndmask_b32_e64 v1, 0, 1, s9
	s_mov_b32 s12, exec_lo
	v_cmp_ne_u32_e32 vcc_lo, 0, v1
	s_and_saveexec_b32 s8, s0
	s_cbranch_execz .LBB34_3
; %bb.130:                              ;   in Loop: Header=BB34_4 Depth=1
	s_cmp_eq_u32 vcc_lo, s12
	s_cselect_b32 s9, -1, 0
	v_cndmask_b32_e64 v1, 0, 1, s9
	ds_write_b32 v5, v1
	s_branch .LBB34_3
.LBB34_131:                             ;   in Loop: Header=BB34_4 Depth=1
	s_cbranch_execz .LBB34_4
.LBB34_132:
	s_mov_b32 s0, exec_lo
	v_cmpx_eq_u32_e32 0, v0
	s_cbranch_execz .LBB34_134
; %bb.133:
	s_mul_i32 s0, s1, s7
	v_mov_b32_e32 v0, 0
	s_add_i32 s0, s0, s6
	v_mov_b32_e32 v1, s2
	s_ashr_i32 s1, s0, 31
	s_lshl_b64 s[0:1], s[0:1], 2
	s_add_u32 s0, s10, s0
	s_addc_u32 s1, s11, s1
	global_store_dword v0, v1, s[0:1]
.LBB34_134:
	s_endpgm
	.section	.rodata,"a",@progbits
	.p2align	6, 0x0
	.amdhsa_kernel _ZL25flash_attn_mask_to_KV_maxILi32EEvPK7__half2Piiii
		.amdhsa_group_segment_fixed_size 128
		.amdhsa_private_segment_fixed_size 0
		.amdhsa_kernarg_size 288
		.amdhsa_user_sgpr_count 6
		.amdhsa_user_sgpr_private_segment_buffer 1
		.amdhsa_user_sgpr_dispatch_ptr 0
		.amdhsa_user_sgpr_queue_ptr 0
		.amdhsa_user_sgpr_kernarg_segment_ptr 1
		.amdhsa_user_sgpr_dispatch_id 0
		.amdhsa_user_sgpr_flat_scratch_init 0
		.amdhsa_user_sgpr_private_segment_size 0
		.amdhsa_wavefront_size32 1
		.amdhsa_uses_dynamic_stack 0
		.amdhsa_system_sgpr_private_segment_wavefront_offset 0
		.amdhsa_system_sgpr_workgroup_id_x 1
		.amdhsa_system_sgpr_workgroup_id_y 1
		.amdhsa_system_sgpr_workgroup_id_z 0
		.amdhsa_system_sgpr_workgroup_info 0
		.amdhsa_system_vgpr_workitem_id 0
		.amdhsa_next_free_vgpr 10
		.amdhsa_next_free_sgpr 76
		.amdhsa_reserve_vcc 1
		.amdhsa_reserve_flat_scratch 0
		.amdhsa_float_round_mode_32 0
		.amdhsa_float_round_mode_16_64 0
		.amdhsa_float_denorm_mode_32 3
		.amdhsa_float_denorm_mode_16_64 3
		.amdhsa_dx10_clamp 1
		.amdhsa_ieee_mode 1
		.amdhsa_fp16_overflow 0
		.amdhsa_workgroup_processor_mode 1
		.amdhsa_memory_ordered 1
		.amdhsa_forward_progress 1
		.amdhsa_shared_vgpr_count 0
		.amdhsa_exception_fp_ieee_invalid_op 0
		.amdhsa_exception_fp_denorm_src 0
		.amdhsa_exception_fp_ieee_div_zero 0
		.amdhsa_exception_fp_ieee_overflow 0
		.amdhsa_exception_fp_ieee_underflow 0
		.amdhsa_exception_fp_ieee_inexact 0
		.amdhsa_exception_int_div_zero 0
	.end_amdhsa_kernel
	.section	.text._ZL25flash_attn_mask_to_KV_maxILi32EEvPK7__half2Piiii,"axG",@progbits,_ZL25flash_attn_mask_to_KV_maxILi32EEvPK7__half2Piiii,comdat
.Lfunc_end34:
	.size	_ZL25flash_attn_mask_to_KV_maxILi32EEvPK7__half2Piiii, .Lfunc_end34-_ZL25flash_attn_mask_to_KV_maxILi32EEvPK7__half2Piiii
                                        ; -- End function
	.set _ZL25flash_attn_mask_to_KV_maxILi32EEvPK7__half2Piiii.num_vgpr, 10
	.set _ZL25flash_attn_mask_to_KV_maxILi32EEvPK7__half2Piiii.num_agpr, 0
	.set _ZL25flash_attn_mask_to_KV_maxILi32EEvPK7__half2Piiii.numbered_sgpr, 76
	.set _ZL25flash_attn_mask_to_KV_maxILi32EEvPK7__half2Piiii.num_named_barrier, 0
	.set _ZL25flash_attn_mask_to_KV_maxILi32EEvPK7__half2Piiii.private_seg_size, 0
	.set _ZL25flash_attn_mask_to_KV_maxILi32EEvPK7__half2Piiii.uses_vcc, 1
	.set _ZL25flash_attn_mask_to_KV_maxILi32EEvPK7__half2Piiii.uses_flat_scratch, 0
	.set _ZL25flash_attn_mask_to_KV_maxILi32EEvPK7__half2Piiii.has_dyn_sized_stack, 0
	.set _ZL25flash_attn_mask_to_KV_maxILi32EEvPK7__half2Piiii.has_recursion, 0
	.set _ZL25flash_attn_mask_to_KV_maxILi32EEvPK7__half2Piiii.has_indirect_call, 0
	.section	.AMDGPU.csdata,"",@progbits
; Kernel info:
; codeLenInByte = 3620
; TotalNumSgprs: 78
; NumVgprs: 10
; ScratchSize: 0
; MemoryBound: 0
; FloatMode: 240
; IeeeMode: 1
; LDSByteSize: 128 bytes/workgroup (compile time only)
; SGPRBlocks: 0
; VGPRBlocks: 1
; NumSGPRsForWavesPerEU: 78
; NumVGPRsForWavesPerEU: 10
; Occupancy: 16
; WaveLimiterHint : 0
; COMPUTE_PGM_RSRC2:SCRATCH_EN: 0
; COMPUTE_PGM_RSRC2:USER_SGPR: 6
; COMPUTE_PGM_RSRC2:TRAP_HANDLER: 0
; COMPUTE_PGM_RSRC2:TGID_X_EN: 1
; COMPUTE_PGM_RSRC2:TGID_Y_EN: 1
; COMPUTE_PGM_RSRC2:TGID_Z_EN: 0
; COMPUTE_PGM_RSRC2:TIDIG_COMP_CNT: 0
	.section	.text._ZL33flash_attn_stream_k_fixup_uniformILi128ELi32ELi2EEvPfPK15HIP_vector_typeIfLj2EEiiiiiiS1_IjLj3EES5_S5_,"axG",@progbits,_ZL33flash_attn_stream_k_fixup_uniformILi128ELi32ELi2EEvPfPK15HIP_vector_typeIfLj2EEiiiiiiS1_IjLj3EES5_S5_,comdat
	.globl	_ZL33flash_attn_stream_k_fixup_uniformILi128ELi32ELi2EEvPfPK15HIP_vector_typeIfLj2EEiiiiiiS1_IjLj3EES5_S5_ ; -- Begin function _ZL33flash_attn_stream_k_fixup_uniformILi128ELi32ELi2EEvPfPK15HIP_vector_typeIfLj2EEiiiiiiS1_IjLj3EES5_S5_
	.p2align	8
	.type	_ZL33flash_attn_stream_k_fixup_uniformILi128ELi32ELi2EEvPfPK15HIP_vector_typeIfLj2EEiiiiiiS1_IjLj3EES5_S5_,@function
_ZL33flash_attn_stream_k_fixup_uniformILi128ELi32ELi2EEvPfPK15HIP_vector_typeIfLj2EEiiiiiiS1_IjLj3EES5_S5_: ; @_ZL33flash_attn_stream_k_fixup_uniformILi128ELi32ELi2EEvPfPK15HIP_vector_typeIfLj2EEiiiiiiS1_IjLj3EES5_S5_
; %bb.0:
	s_clause 0x2
	s_load_dwordx8 s[12:19], s[4:5], 0x1c
	s_load_dwordx4 s[20:23], s[4:5], 0x3c
	s_load_dwordx2 s[10:11], s[4:5], 0x10
	s_waitcnt lgkmcnt(0)
	s_mul_hi_u32 s0, s15, s6
	s_add_i32 s0, s6, s0
	s_lshr_b32 s0, s0, s16
	s_mul_i32 s1, s0, s17
	s_sub_i32 s2, s6, s1
	s_mul_hi_u32 s1, s2, s18
	s_add_i32 s1, s2, s1
	s_lshr_b32 s1, s1, s19
	s_mul_i32 s3, s1, s20
	s_sub_i32 s2, s2, s3
	s_mul_hi_u32 s3, s2, s21
	s_add_i32 s3, s2, s3
	s_lshr_b32 s3, s3, s22
	s_mul_i32 s9, s3, s23
	s_lshl_b32 s15, s3, 1
	s_sub_i32 s9, s2, s9
	s_lshl_b32 s2, s9, 5
	s_add_i32 s2, s2, s7
	s_cmp_lt_i32 s2, s10
	s_cselect_b32 s2, -1, 0
	s_add_i32 s3, s15, s8
	s_cmp_lt_i32 s3, s13
	s_cselect_b32 s3, -1, 0
	s_and_b32 s2, s2, s3
	s_andn2_b32 vcc_lo, exec_lo, s2
	s_cbranch_vccnz .LBB35_6
; %bb.1:
	s_mul_i32 s0, s0, s10
	s_mul_i32 s10, s1, s13
	s_add_i32 s0, s0, s7
	s_mul_i32 s0, s0, s11
	s_add_i32 s13, s0, s8
	s_load_dwordx4 s[0:3], s[4:5], 0x0
	s_add_i32 s4, s13, s10
	s_mul_i32 s5, s11, s9
	s_add_i32 s4, s4, s15
	s_lshl_b32 s5, s5, 12
	s_lshl_b32 s4, s4, 7
	;; [unrolled: 1-line block ×3, first 2 shown]
	s_add_i32 s5, s5, s4
	s_mul_i32 s4, s14, s6
	v_or_b32_e32 v1, s5, v0
	s_add_i32 s11, s4, s14
	v_ashrrev_i32_e32 v2, 31, v1
	v_lshlrev_b64 v[1:2], 2, v[1:2]
	s_waitcnt lgkmcnt(0)
	v_add_co_u32 v1, vcc_lo, s0, v1
	v_add_co_ci_u32_e64 v2, null, s1, v2, vcc_lo
	s_add_i32 s0, s10, s8
	s_lshl_b32 s1, s11, 6
	s_add_i32 s0, s0, s1
	global_load_dword v5, v[1:2], off
	s_sub_i32 s0, s0, 64
	s_ashr_i32 s1, s0, 31
	s_lshl_b64 s[0:1], s[0:1], 3
	s_add_u32 s0, s2, s0
	s_addc_u32 s1, s3, s1
	s_add_i32 s5, s11, -2
	s_load_dword s13, s[0:1], 0x4
	s_cmp_lt_i32 s5, s4
	s_cbranch_scc1 .LBB35_4
; %bb.2:
	s_lshl_b32 s16, s12, 8
	s_load_dword s15, s[0:1], 0x0
	s_ashr_i32 s17, s16, 31
	s_waitcnt lgkmcnt(0)
	v_mov_b32_e32 v6, s13
	s_lshl_b64 s[0:1], s[16:17], 2
	s_add_u32 s5, s2, s0
	s_addc_u32 s9, s3, s1
	s_add_i32 s6, s6, 1
	s_lshl_b32 s0, s7, 8
	s_lshl_b32 s1, s8, 7
	s_mul_i32 s6, s14, s6
	s_add_i32 s0, s1, s0
	s_lshl_b32 s1, s6, 13
	s_add_i32 s0, s0, s1
	s_lshl_b32 s1, s6, 6
	v_or_b32_e32 v0, s0, v0
	s_lshl_b32 s0, s12, 6
	s_add_i32 s1, s8, s1
	s_add_i32 s6, s11, -1
	s_add_i32 s0, s1, s0
	v_add_nc_u32_e32 v3, 0xffffc000, v0
	v_mov_b32_e32 v0, s15
	s_add_i32 s0, s0, s10
	s_addk_i32 s0, 0xff80
.LBB35_3:                               ; =>This Inner Loop Header: Depth=1
	v_ashrrev_i32_e32 v4, 31, v3
	s_ashr_i32 s1, s0, 31
	s_lshl_b64 s[10:11], s[0:1], 3
	s_add_u32 s10, s2, s10
	v_lshlrev_b64 v[7:8], 2, v[3:4]
	s_addc_u32 s11, s3, s11
	v_add_nc_u32_e32 v3, 0xffffe000, v3
	s_add_i32 s6, s6, -1
	s_sub_i32 s0, s0, 64
	s_cmp_le_i32 s6, s4
	v_add_co_u32 v7, vcc_lo, s5, v7
	v_add_co_ci_u32_e64 v8, null, s9, v8, vcc_lo
	s_load_dwordx2 s[10:11], s[10:11], 0x0
	global_load_dword v4, v[7:8], off
	v_max_f32_e32 v7, v0, v0
	s_waitcnt lgkmcnt(0)
	v_max_f32_e64 v8, s10, s10
	v_max_f32_e32 v7, v7, v8
	v_sub_f32_e32 v8, s10, v7
	v_sub_f32_e32 v0, v0, v7
	v_mul_f32_e32 v9, 0x3fb8aa3b, v8
	v_mul_f32_e32 v12, 0x3fb8aa3b, v0
	v_cmp_ngt_f32_e32 vcc_lo, 0xc2ce8ed0, v8
	v_fma_f32 v10, 0x3fb8aa3b, v8, -v9
	v_rndne_f32_e32 v11, v9
	v_fma_f32 v13, 0x3fb8aa3b, v0, -v12
	v_rndne_f32_e32 v14, v12
	v_fmac_f32_e32 v10, 0x32a5705f, v8
	v_sub_f32_e32 v9, v9, v11
	v_fmac_f32_e32 v13, 0x32a5705f, v0
	v_cvt_i32_f32_e32 v11, v11
	v_add_f32_e32 v9, v9, v10
	v_sub_f32_e32 v10, v12, v14
	v_exp_f32_e32 v9, v9
	v_add_f32_e32 v10, v10, v13
	v_exp_f32_e32 v10, v10
	v_ldexp_f32 v9, v9, v11
	v_cvt_i32_f32_e32 v11, v14
	v_cndmask_b32_e32 v9, 0, v9, vcc_lo
	v_cmp_nlt_f32_e32 vcc_lo, 0x42b17218, v8
	v_ldexp_f32 v10, v10, v11
	v_mov_b32_e32 v11, v6
	v_cndmask_b32_e32 v9, 0x7f800000, v9, vcc_lo
	v_cmp_ngt_f32_e32 vcc_lo, 0xc2ce8ed0, v0
	v_cndmask_b32_e32 v10, 0, v10, vcc_lo
	v_cmp_le_f32_e32 vcc_lo, 0xc1a00000, v8
	v_cndmask_b32_e32 v8, 0, v9, vcc_lo
	v_cmp_nlt_f32_e32 vcc_lo, 0x42b17218, v0
	s_waitcnt vmcnt(1)
	v_mov_b32_e32 v9, v5
	v_cndmask_b32_e32 v5, 0x7f800000, v10, vcc_lo
	v_mul_f32_e32 v10, s11, v8
	v_cmp_le_f32_e32 vcc_lo, 0xc1a00000, v0
	v_mov_b32_e32 v0, v7
	v_mov_b32_e32 v6, v10
	v_cndmask_b32_e32 v12, 0, v5, vcc_lo
	v_fmac_f32_e32 v6, v11, v12
	s_waitcnt vmcnt(0)
	v_mul_f32_e32 v5, v4, v8
	v_fmac_f32_e32 v5, v9, v12
	s_cbranch_scc0 .LBB35_3
	s_branch .LBB35_5
.LBB35_4:
	s_waitcnt lgkmcnt(0)
	v_mov_b32_e32 v6, s13
.LBB35_5:
	s_waitcnt vmcnt(0)
	v_div_scale_f32 v0, null, v6, v6, v5
	v_rcp_f32_e32 v3, v0
	v_fma_f32 v4, -v0, v3, 1.0
	v_fmac_f32_e32 v3, v4, v3
	v_div_scale_f32 v4, vcc_lo, v5, v6, v5
	v_mul_f32_e32 v7, v4, v3
	v_fma_f32 v8, -v0, v7, v4
	v_fmac_f32_e32 v7, v8, v3
	v_fma_f32 v0, -v0, v7, v4
	v_div_fmas_f32 v0, v0, v3, v7
	v_div_fixup_f32 v0, v0, v6, v5
	global_store_dword v[1:2], v0, off
.LBB35_6:
	s_endpgm
	.section	.rodata,"a",@progbits
	.p2align	6, 0x0
	.amdhsa_kernel _ZL33flash_attn_stream_k_fixup_uniformILi128ELi32ELi2EEvPfPK15HIP_vector_typeIfLj2EEiiiiiiS1_IjLj3EES5_S5_
		.amdhsa_group_segment_fixed_size 0
		.amdhsa_private_segment_fixed_size 0
		.amdhsa_kernarg_size 76
		.amdhsa_user_sgpr_count 6
		.amdhsa_user_sgpr_private_segment_buffer 1
		.amdhsa_user_sgpr_dispatch_ptr 0
		.amdhsa_user_sgpr_queue_ptr 0
		.amdhsa_user_sgpr_kernarg_segment_ptr 1
		.amdhsa_user_sgpr_dispatch_id 0
		.amdhsa_user_sgpr_flat_scratch_init 0
		.amdhsa_user_sgpr_private_segment_size 0
		.amdhsa_wavefront_size32 1
		.amdhsa_uses_dynamic_stack 0
		.amdhsa_system_sgpr_private_segment_wavefront_offset 0
		.amdhsa_system_sgpr_workgroup_id_x 1
		.amdhsa_system_sgpr_workgroup_id_y 1
		.amdhsa_system_sgpr_workgroup_id_z 1
		.amdhsa_system_sgpr_workgroup_info 0
		.amdhsa_system_vgpr_workitem_id 0
		.amdhsa_next_free_vgpr 15
		.amdhsa_next_free_sgpr 24
		.amdhsa_reserve_vcc 1
		.amdhsa_reserve_flat_scratch 0
		.amdhsa_float_round_mode_32 0
		.amdhsa_float_round_mode_16_64 0
		.amdhsa_float_denorm_mode_32 3
		.amdhsa_float_denorm_mode_16_64 3
		.amdhsa_dx10_clamp 1
		.amdhsa_ieee_mode 1
		.amdhsa_fp16_overflow 0
		.amdhsa_workgroup_processor_mode 1
		.amdhsa_memory_ordered 1
		.amdhsa_forward_progress 1
		.amdhsa_shared_vgpr_count 0
		.amdhsa_exception_fp_ieee_invalid_op 0
		.amdhsa_exception_fp_denorm_src 0
		.amdhsa_exception_fp_ieee_div_zero 0
		.amdhsa_exception_fp_ieee_overflow 0
		.amdhsa_exception_fp_ieee_underflow 0
		.amdhsa_exception_fp_ieee_inexact 0
		.amdhsa_exception_int_div_zero 0
	.end_amdhsa_kernel
	.section	.text._ZL33flash_attn_stream_k_fixup_uniformILi128ELi32ELi2EEvPfPK15HIP_vector_typeIfLj2EEiiiiiiS1_IjLj3EES5_S5_,"axG",@progbits,_ZL33flash_attn_stream_k_fixup_uniformILi128ELi32ELi2EEvPfPK15HIP_vector_typeIfLj2EEiiiiiiS1_IjLj3EES5_S5_,comdat
.Lfunc_end35:
	.size	_ZL33flash_attn_stream_k_fixup_uniformILi128ELi32ELi2EEvPfPK15HIP_vector_typeIfLj2EEiiiiiiS1_IjLj3EES5_S5_, .Lfunc_end35-_ZL33flash_attn_stream_k_fixup_uniformILi128ELi32ELi2EEvPfPK15HIP_vector_typeIfLj2EEiiiiiiS1_IjLj3EES5_S5_
                                        ; -- End function
	.set _ZL33flash_attn_stream_k_fixup_uniformILi128ELi32ELi2EEvPfPK15HIP_vector_typeIfLj2EEiiiiiiS1_IjLj3EES5_S5_.num_vgpr, 15
	.set _ZL33flash_attn_stream_k_fixup_uniformILi128ELi32ELi2EEvPfPK15HIP_vector_typeIfLj2EEiiiiiiS1_IjLj3EES5_S5_.num_agpr, 0
	.set _ZL33flash_attn_stream_k_fixup_uniformILi128ELi32ELi2EEvPfPK15HIP_vector_typeIfLj2EEiiiiiiS1_IjLj3EES5_S5_.numbered_sgpr, 24
	.set _ZL33flash_attn_stream_k_fixup_uniformILi128ELi32ELi2EEvPfPK15HIP_vector_typeIfLj2EEiiiiiiS1_IjLj3EES5_S5_.num_named_barrier, 0
	.set _ZL33flash_attn_stream_k_fixup_uniformILi128ELi32ELi2EEvPfPK15HIP_vector_typeIfLj2EEiiiiiiS1_IjLj3EES5_S5_.private_seg_size, 0
	.set _ZL33flash_attn_stream_k_fixup_uniformILi128ELi32ELi2EEvPfPK15HIP_vector_typeIfLj2EEiiiiiiS1_IjLj3EES5_S5_.uses_vcc, 1
	.set _ZL33flash_attn_stream_k_fixup_uniformILi128ELi32ELi2EEvPfPK15HIP_vector_typeIfLj2EEiiiiiiS1_IjLj3EES5_S5_.uses_flat_scratch, 0
	.set _ZL33flash_attn_stream_k_fixup_uniformILi128ELi32ELi2EEvPfPK15HIP_vector_typeIfLj2EEiiiiiiS1_IjLj3EES5_S5_.has_dyn_sized_stack, 0
	.set _ZL33flash_attn_stream_k_fixup_uniformILi128ELi32ELi2EEvPfPK15HIP_vector_typeIfLj2EEiiiiiiS1_IjLj3EES5_S5_.has_recursion, 0
	.set _ZL33flash_attn_stream_k_fixup_uniformILi128ELi32ELi2EEvPfPK15HIP_vector_typeIfLj2EEiiiiiiS1_IjLj3EES5_S5_.has_indirect_call, 0
	.section	.AMDGPU.csdata,"",@progbits
; Kernel info:
; codeLenInByte = 848
; TotalNumSgprs: 26
; NumVgprs: 15
; ScratchSize: 0
; MemoryBound: 0
; FloatMode: 240
; IeeeMode: 1
; LDSByteSize: 0 bytes/workgroup (compile time only)
; SGPRBlocks: 0
; VGPRBlocks: 1
; NumSGPRsForWavesPerEU: 26
; NumVGPRsForWavesPerEU: 15
; Occupancy: 16
; WaveLimiterHint : 0
; COMPUTE_PGM_RSRC2:SCRATCH_EN: 0
; COMPUTE_PGM_RSRC2:USER_SGPR: 6
; COMPUTE_PGM_RSRC2:TRAP_HANDLER: 0
; COMPUTE_PGM_RSRC2:TGID_X_EN: 1
; COMPUTE_PGM_RSRC2:TGID_Y_EN: 1
; COMPUTE_PGM_RSRC2:TGID_Z_EN: 1
; COMPUTE_PGM_RSRC2:TIDIG_COMP_CNT: 0
	.section	.text._ZL33flash_attn_stream_k_fixup_generalILi128ELi32ELi2EEvPfPK15HIP_vector_typeIfLj2EEiiiiS1_IjLj3EES5_S5_S5_,"axG",@progbits,_ZL33flash_attn_stream_k_fixup_generalILi128ELi32ELi2EEvPfPK15HIP_vector_typeIfLj2EEiiiiS1_IjLj3EES5_S5_S5_,comdat
	.globl	_ZL33flash_attn_stream_k_fixup_generalILi128ELi32ELi2EEvPfPK15HIP_vector_typeIfLj2EEiiiiS1_IjLj3EES5_S5_S5_ ; -- Begin function _ZL33flash_attn_stream_k_fixup_generalILi128ELi32ELi2EEvPfPK15HIP_vector_typeIfLj2EEiiiiS1_IjLj3EES5_S5_S5_
	.p2align	8
	.type	_ZL33flash_attn_stream_k_fixup_generalILi128ELi32ELi2EEvPfPK15HIP_vector_typeIfLj2EEiiiiS1_IjLj3EES5_S5_S5_,@function
_ZL33flash_attn_stream_k_fixup_generalILi128ELi32ELi2EEvPfPK15HIP_vector_typeIfLj2EEiiiiS1_IjLj3EES5_S5_S5_: ; @_ZL33flash_attn_stream_k_fixup_generalILi128ELi32ELi2EEvPfPK15HIP_vector_typeIfLj2EEiiiiS1_IjLj3EES5_S5_S5_
; %bb.0:
	s_clause 0x1
	s_load_dwordx4 s[0:3], s[4:5], 0x10
	s_load_dword s9, s[4:5], 0x50
	s_mov_b32 s16, 0
	s_waitcnt lgkmcnt(0)
	s_mul_hi_i32 s17, s3, s6
	s_mul_i32 s18, s3, s6
	s_cmp_lg_u64 s[16:17], 0
	s_cbranch_scc0 .LBB36_21
; %bb.1:
	s_add_u32 s10, s9, 0
	s_addc_u32 s11, 0, 0
	s_xor_b64 s[10:11], s[10:11], 0
	v_cvt_f32_u32_e32 v1, s10
	v_cvt_f32_u32_e32 v2, s11
	s_sub_u32 s14, 0, s10
	s_subb_u32 s15, 0, s11
	v_fmamk_f32 v1, v2, 0x4f800000, v1
	v_rcp_f32_e32 v1, v1
	v_mul_f32_e32 v1, 0x5f7ffffc, v1
	v_mul_f32_e32 v2, 0x2f800000, v1
	v_trunc_f32_e32 v2, v2
	v_fmamk_f32 v1, v2, 0xcf800000, v1
	v_cvt_u32_f32_e32 v2, v2
	v_cvt_u32_f32_e32 v1, v1
	v_readfirstlane_b32 s12, v2
	v_readfirstlane_b32 s13, v1
	s_mul_i32 s19, s14, s12
	s_mul_hi_u32 s21, s14, s13
	s_mul_i32 s20, s15, s13
	s_add_i32 s19, s21, s19
	s_mul_i32 s22, s14, s13
	s_add_i32 s19, s19, s20
	s_mul_hi_u32 s21, s13, s22
	s_mul_i32 s24, s13, s19
	s_mul_hi_u32 s23, s12, s22
	s_mul_i32 s20, s12, s22
	s_mul_hi_u32 s22, s13, s19
	s_add_u32 s21, s21, s24
	s_addc_u32 s22, 0, s22
	s_mul_hi_u32 s25, s12, s19
	s_add_u32 s20, s21, s20
	s_mul_i32 s19, s12, s19
	s_addc_u32 s20, s22, s23
	s_addc_u32 s21, s25, 0
	s_add_u32 s19, s20, s19
	s_addc_u32 s20, 0, s21
	s_add_u32 s13, s13, s19
	s_cselect_b32 s19, -1, 0
	s_mul_hi_u32 s21, s14, s13
	s_cmp_lg_u32 s19, 0
	s_mul_i32 s19, s14, s13
	s_addc_u32 s12, s12, s20
	s_mul_i32 s15, s15, s13
	s_mul_i32 s14, s14, s12
	s_mul_hi_u32 s20, s13, s19
	s_add_i32 s14, s21, s14
	s_mul_hi_u32 s21, s12, s19
	s_add_i32 s14, s14, s15
	s_mul_i32 s15, s12, s19
	s_mul_i32 s23, s13, s14
	s_mul_hi_u32 s22, s13, s14
	s_add_u32 s20, s20, s23
	s_addc_u32 s22, 0, s22
	s_mul_hi_u32 s19, s12, s14
	s_add_u32 s15, s20, s15
	s_mul_i32 s14, s12, s14
	s_addc_u32 s15, s22, s21
	s_addc_u32 s19, s19, 0
	s_add_u32 s14, s15, s14
	s_addc_u32 s15, 0, s19
	s_add_u32 s19, s13, s14
	s_cselect_b32 s13, -1, 0
	s_cmp_lg_u32 s13, 0
	s_addc_u32 s20, s12, s15
	s_ashr_i32 s12, s17, 31
	s_add_u32 s14, s18, s12
	s_mov_b32 s13, s12
	s_addc_u32 s15, s17, s12
	s_xor_b64 s[14:15], s[14:15], s[12:13]
	s_mul_i32 s21, s14, s20
	s_mul_hi_u32 s22, s14, s19
	s_mul_hi_u32 s17, s14, s20
	s_mul_hi_u32 s24, s15, s19
	s_mul_i32 s19, s15, s19
	s_add_u32 s21, s22, s21
	s_addc_u32 s17, 0, s17
	s_mul_hi_u32 s23, s15, s20
	s_add_u32 s19, s21, s19
	s_mul_i32 s20, s15, s20
	s_addc_u32 s17, s17, s24
	s_addc_u32 s19, s23, 0
	s_add_u32 s17, s17, s20
	s_addc_u32 s19, 0, s19
	s_mul_hi_u32 s20, s10, s17
	s_mul_i32 s21, s10, s19
	s_mul_i32 s22, s11, s17
	s_add_i32 s20, s20, s21
	s_mul_i32 s21, s10, s17
	s_add_i32 s20, s20, s22
	s_sub_i32 s22, s15, s20
	s_sub_u32 s14, s14, s21
	s_cselect_b32 s21, -1, 0
	s_cmp_lg_u32 s21, 0
	s_subb_u32 s22, s22, s11
	s_sub_u32 s23, s14, s10
	s_cselect_b32 s24, -1, 0
	s_cmp_lg_u32 s24, 0
	s_subb_u32 s22, s22, 0
	s_cmp_ge_u32 s22, s11
	s_cselect_b32 s24, -1, 0
	s_cmp_ge_u32 s23, s10
	s_cselect_b32 s23, -1, 0
	s_cmp_eq_u32 s22, s11
	s_cselect_b32 s22, s23, s24
	s_add_u32 s23, s17, 1
	s_addc_u32 s24, s19, 0
	s_add_u32 s25, s17, 2
	s_addc_u32 s26, s19, 0
	s_cmp_lg_u32 s22, 0
	s_cselect_b32 s22, s25, s23
	s_cselect_b32 s23, s26, s24
	s_cmp_lg_u32 s21, 0
	s_subb_u32 s15, s15, s20
	s_cmp_ge_u32 s15, s11
	s_cselect_b32 s20, -1, 0
	s_cmp_ge_u32 s14, s10
	s_cselect_b32 s10, -1, 0
	s_cmp_eq_u32 s15, s11
	s_cselect_b32 s10, s10, s20
	s_cmp_lg_u32 s10, 0
	s_cselect_b32 s11, s23, s19
	s_cselect_b32 s10, s22, s17
	s_xor_b64 s[12:13], s[12:13], 0
	s_xor_b64 s[10:11], s[10:11], s[12:13]
	s_sub_u32 s10, s10, s12
	s_load_dwordx4 s[12:15], s[4:5], 0x44
	s_andn2_b32 vcc_lo, exec_lo, s16
	s_cbranch_vccnz .LBB36_3
.LBB36_2:
	v_cvt_f32_u32_e32 v1, s9
	s_sub_i32 s11, 0, s9
	v_rcp_iflag_f32_e32 v1, v1
	v_mul_f32_e32 v1, 0x4f7ffffe, v1
	v_cvt_u32_f32_e32 v1, v1
	v_readfirstlane_b32 s10, v1
	s_mul_i32 s11, s11, s10
	s_mul_hi_u32 s11, s10, s11
	s_add_i32 s10, s10, s11
	s_mul_hi_u32 s10, s18, s10
	s_mul_i32 s11, s10, s9
	s_waitcnt lgkmcnt(0)
	s_add_i32 s15, s10, 1
	s_sub_i32 s11, s18, s11
	s_sub_i32 s16, s11, s9
	s_cmp_ge_u32 s11, s9
	s_cselect_b32 s10, s15, s10
	s_cselect_b32 s11, s16, s11
	s_add_i32 s15, s10, 1
	s_cmp_ge_u32 s11, s9
	s_cselect_b32 s10, s15, s10
.LBB36_3:
	s_add_i32 s11, s6, 1
	s_mov_b32 s16, 0
	s_mul_hi_i32 s17, s3, s11
	s_mul_i32 s11, s3, s11
	s_cmp_lg_u64 s[16:17], 0
	s_cbranch_scc0 .LBB36_22
; %bb.4:
	s_add_u32 s18, s9, 0
	s_addc_u32 s19, 0, 0
	s_xor_b64 s[18:19], s[18:19], 0
	v_cvt_f32_u32_e32 v1, s18
	v_cvt_f32_u32_e32 v2, s19
	s_sub_u32 s21, 0, s18
	s_subb_u32 s22, 0, s19
	v_fmamk_f32 v1, v2, 0x4f800000, v1
	v_rcp_f32_e32 v1, v1
	v_mul_f32_e32 v1, 0x5f7ffffc, v1
	v_mul_f32_e32 v2, 0x2f800000, v1
	v_trunc_f32_e32 v2, v2
	v_fmamk_f32 v1, v2, 0xcf800000, v1
	v_cvt_u32_f32_e32 v2, v2
	v_cvt_u32_f32_e32 v1, v1
	s_waitcnt lgkmcnt(0)
	v_readfirstlane_b32 s15, v2
	v_readfirstlane_b32 s20, v1
	s_mul_i32 s23, s21, s15
	s_mul_hi_u32 s25, s21, s20
	s_mul_i32 s24, s22, s20
	s_add_i32 s23, s25, s23
	s_mul_i32 s26, s21, s20
	s_add_i32 s23, s23, s24
	s_mul_hi_u32 s25, s20, s26
	s_mul_i32 s28, s20, s23
	s_mul_hi_u32 s27, s15, s26
	s_mul_i32 s24, s15, s26
	s_mul_hi_u32 s26, s20, s23
	s_add_u32 s25, s25, s28
	s_addc_u32 s26, 0, s26
	s_mul_hi_u32 s29, s15, s23
	s_add_u32 s24, s25, s24
	s_mul_i32 s23, s15, s23
	s_addc_u32 s24, s26, s27
	s_addc_u32 s25, s29, 0
	s_add_u32 s23, s24, s23
	s_addc_u32 s24, 0, s25
	s_add_u32 s20, s20, s23
	s_cselect_b32 s23, -1, 0
	s_mul_hi_u32 s25, s21, s20
	s_cmp_lg_u32 s23, 0
	s_mul_i32 s23, s21, s20
	s_addc_u32 s15, s15, s24
	s_mul_i32 s22, s22, s20
	s_mul_i32 s21, s21, s15
	s_mul_hi_u32 s24, s20, s23
	s_add_i32 s21, s25, s21
	s_mul_hi_u32 s25, s15, s23
	s_add_i32 s21, s21, s22
	s_mul_i32 s22, s15, s23
	s_mul_i32 s27, s20, s21
	s_mul_hi_u32 s26, s20, s21
	s_add_u32 s24, s24, s27
	s_addc_u32 s26, 0, s26
	s_mul_hi_u32 s23, s15, s21
	s_add_u32 s22, s24, s22
	s_mul_i32 s21, s15, s21
	s_addc_u32 s22, s26, s25
	s_addc_u32 s23, s23, 0
	s_add_u32 s21, s22, s21
	s_addc_u32 s22, 0, s23
	s_add_u32 s24, s20, s21
	s_cselect_b32 s20, -1, 0
	s_cmp_lg_u32 s20, 0
	s_addc_u32 s15, s15, s22
	s_ashr_i32 s20, s17, 31
	s_add_u32 s22, s11, s20
	s_mov_b32 s21, s20
	s_addc_u32 s23, s17, s20
	s_xor_b64 s[22:23], s[22:23], s[20:21]
	s_mul_i32 s25, s22, s15
	s_mul_hi_u32 s26, s22, s24
	s_mul_hi_u32 s17, s22, s15
	s_mul_hi_u32 s28, s23, s24
	s_mul_i32 s24, s23, s24
	s_add_u32 s25, s26, s25
	s_addc_u32 s17, 0, s17
	s_mul_hi_u32 s27, s23, s15
	s_add_u32 s24, s25, s24
	s_mul_i32 s15, s23, s15
	s_addc_u32 s17, s17, s28
	s_addc_u32 s24, s27, 0
	s_add_u32 s15, s17, s15
	s_addc_u32 s17, 0, s24
	s_mul_hi_u32 s24, s18, s15
	s_mul_i32 s25, s18, s17
	s_mul_i32 s26, s19, s15
	s_add_i32 s24, s24, s25
	s_mul_i32 s25, s18, s15
	s_add_i32 s24, s24, s26
	s_sub_i32 s26, s23, s24
	s_sub_u32 s22, s22, s25
	s_cselect_b32 s25, -1, 0
	s_cmp_lg_u32 s25, 0
	s_subb_u32 s26, s26, s19
	s_sub_u32 s27, s22, s18
	s_cselect_b32 s28, -1, 0
	s_cmp_lg_u32 s28, 0
	s_subb_u32 s26, s26, 0
	s_cmp_ge_u32 s26, s19
	s_cselect_b32 s28, -1, 0
	s_cmp_ge_u32 s27, s18
	s_cselect_b32 s27, -1, 0
	s_cmp_eq_u32 s26, s19
	s_cselect_b32 s26, s27, s28
	s_add_u32 s27, s15, 1
	s_addc_u32 s28, s17, 0
	s_add_u32 s29, s15, 2
	s_addc_u32 s30, s17, 0
	s_cmp_lg_u32 s26, 0
	s_cselect_b32 s26, s29, s27
	s_cselect_b32 s27, s30, s28
	s_cmp_lg_u32 s25, 0
	s_subb_u32 s23, s23, s24
	s_cmp_ge_u32 s23, s19
	s_cselect_b32 s24, -1, 0
	s_cmp_ge_u32 s22, s18
	s_cselect_b32 s18, -1, 0
	s_cmp_eq_u32 s23, s19
	s_cselect_b32 s18, s18, s24
	s_cmp_lg_u32 s18, 0
	s_cselect_b32 s19, s27, s17
	s_cselect_b32 s18, s26, s15
	s_xor_b64 s[20:21], s[20:21], 0
	s_xor_b64 s[18:19], s[18:19], s[20:21]
	s_sub_u32 s18, s18, s20
	s_andn2_b32 vcc_lo, exec_lo, s16
	s_cbranch_vccnz .LBB36_6
.LBB36_5:
	v_cvt_f32_u32_e32 v1, s9
	s_sub_i32 s16, 0, s9
	v_rcp_iflag_f32_e32 v1, v1
	v_mul_f32_e32 v1, 0x4f7ffffe, v1
	v_cvt_u32_f32_e32 v1, v1
	s_waitcnt lgkmcnt(0)
	v_readfirstlane_b32 s15, v1
	s_mul_i32 s16, s16, s15
	s_mul_hi_u32 s16, s15, s16
	s_add_i32 s15, s15, s16
	s_mul_hi_u32 s15, s11, s15
	s_mul_i32 s16, s15, s9
	s_sub_i32 s11, s11, s16
	s_add_i32 s16, s15, 1
	s_sub_i32 s17, s11, s9
	s_cmp_ge_u32 s11, s9
	s_cselect_b32 s15, s16, s15
	s_cselect_b32 s11, s17, s11
	s_add_i32 s16, s15, 1
	s_cmp_ge_u32 s11, s9
	s_cselect_b32 s18, s16, s15
.LBB36_6:
	s_cmp_eq_u32 s10, s18
	s_waitcnt lgkmcnt(0)
	s_mul_hi_u32 s11, s10, s12
	s_cselect_b32 s15, -1, 0
	s_add_i32 s11, s11, s10
	s_lshr_b32 s11, s11, s13
	s_mul_i32 s16, s11, s14
	s_cmp_eq_u32 s16, s10
	s_mul_hi_u32 s16, s18, s12
	s_cselect_b32 s17, -1, 0
	s_add_i32 s16, s16, s18
	s_lshr_b32 s16, s16, s13
	s_cmp_eq_u32 s11, s16
	s_mul_i32 s16, s16, s14
	s_cselect_b32 s19, -1, 0
	s_cmp_lg_u32 s16, s18
	s_cselect_b32 s16, -1, 0
	s_or_b32 s15, s15, s17
	s_and_b32 s16, s19, s16
	s_or_b32 s15, s15, s16
	s_and_b32 vcc_lo, exec_lo, s15
	s_cbranch_vccnz .LBB36_24
; %bb.7:
	s_clause 0x1
	s_load_dwordx8 s[20:27], s[4:5], 0x20
	s_load_dword s16, s[4:5], 0x40
	s_waitcnt lgkmcnt(0)
	s_mul_hi_u32 s15, s10, s20
	s_add_i32 s15, s15, s10
	s_lshr_b32 s15, s15, s21
	s_mul_i32 s17, s15, s22
	s_sub_i32 s17, s10, s17
	s_mul_hi_u32 s18, s17, s23
	s_add_i32 s18, s17, s18
	s_lshr_b32 s22, s18, s24
	s_mul_i32 s18, s22, s25
	s_sub_i32 s17, s17, s18
	s_mul_hi_u32 s18, s17, s26
	s_add_i32 s18, s17, s18
	s_lshr_b32 s18, s18, s27
	s_mul_i32 s16, s18, s16
	s_lshl_b32 s24, s18, 1
	s_sub_i32 s16, s17, s16
	s_mul_hi_u32 s17, s16, s12
	s_add_i32 s16, s16, s17
	s_lshr_b32 s23, s16, s13
	s_lshl_b32 s16, s23, 5
	s_add_i32 s16, s16, s7
	s_cmp_lt_i32 s16, s0
	s_cselect_b32 s16, -1, 0
	s_add_i32 s17, s24, s8
	s_cmp_lt_i32 s17, s2
	s_cselect_b32 s17, -1, 0
	s_and_b32 s16, s16, s17
	s_andn2_b32 vcc_lo, exec_lo, s16
	s_cbranch_vccnz .LBB36_24
; %bb.8:
	s_load_dwordx4 s[16:19], s[4:5], 0x0
	s_mov_b32 s4, 0
	s_lshl_b32 s20, s9, 8
	s_mov_b32 s21, s4
	s_lshl_b32 s5, s7, 1
	s_lshl_b64 s[20:21], s[20:21], 2
	s_mul_i32 s0, s15, s0
	s_add_i32 s15, s5, s8
	s_mul_i32 s22, s22, s2
	v_cvt_f32_u32_e32 v4, s9
	v_rcp_iflag_f32_e32 v4, v4
	s_waitcnt lgkmcnt(0)
	s_add_u32 s20, s18, s20
	s_addc_u32 s21, s19, s21
	s_add_i32 s0, s0, s7
	s_mul_i32 s0, s0, s1
	s_mul_i32 s1, s1, s23
	s_add_i32 s0, s0, s8
	s_lshl_b32 s1, s1, 12
	s_add_i32 s0, s0, s22
	v_mul_f32_e32 v4, 0x4f7ffffe, v4
	s_add_i32 s0, s0, s24
	s_lshl_b32 s0, s0, 7
	s_add_i32 s1, s1, s0
	s_lshl_b32 s0, s6, 6
	v_or_b32_e32 v1, s1, v0
	s_add_i32 s0, s15, s0
	v_lshl_or_b32 v0, s15, 7, v0
	s_ashr_i32 s1, s0, 31
	v_cvt_u32_f32_e32 v4, v4
	v_ashrrev_i32_e32 v2, 31, v1
	s_lshl_b64 s[0:1], s[0:1], 3
	s_add_u32 s0, s18, s0
	s_addc_u32 s1, s19, s1
	v_lshlrev_b64 v[1:2], 2, v[1:2]
	s_load_dwordx2 s[0:1], s[0:1], 0x0
	s_add_i32 s8, s6, -1
	s_sub_i32 s2, 0, s9
	v_add_co_u32 v1, vcc_lo, s16, v1
	v_add_co_ci_u32_e64 v2, null, s17, v2, vcc_lo
	global_load_dword v3, v[1:2], off
	s_waitcnt lgkmcnt(0)
	v_mov_b32_e32 v5, s1
	v_mov_b32_e32 v6, s0
.LBB36_9:                               ; =>This Inner Loop Header: Depth=1
	s_mul_hi_i32 s5, s8, s3
	s_mul_i32 s6, s8, s3
	s_cmp_lg_u64 s[4:5], 0
	s_mov_b32 s7, -1
                                        ; implicit-def: $sgpr0_sgpr1
	s_cbranch_scc0 .LBB36_11
; %bb.10:                               ;   in Loop: Header=BB36_9 Depth=1
	s_add_u32 s0, s9, 0
	s_addc_u32 s1, 0, 0
	s_xor_b64 s[0:1], s[0:1], 0
	v_cvt_f32_u32_e32 v7, s0
	v_cvt_f32_u32_e32 v8, s1
	s_sub_u32 s17, 0, s0
	s_subb_u32 s22, 0, s1
	v_fmac_f32_e32 v7, 0x4f800000, v8
	v_rcp_f32_e32 v7, v7
	v_mul_f32_e32 v7, 0x5f7ffffc, v7
	v_mul_f32_e32 v8, 0x2f800000, v7
	v_trunc_f32_e32 v8, v8
	v_fmac_f32_e32 v7, 0xcf800000, v8
	v_cvt_u32_f32_e32 v8, v8
	v_cvt_u32_f32_e32 v7, v7
	v_readfirstlane_b32 s7, v8
	v_readfirstlane_b32 s16, v7
	s_mul_i32 s23, s17, s7
	s_mul_hi_u32 s25, s17, s16
	s_mul_i32 s24, s22, s16
	s_add_i32 s23, s25, s23
	s_mul_i32 s26, s17, s16
	s_add_i32 s23, s23, s24
	s_mul_hi_u32 s25, s16, s26
	s_mul_i32 s28, s16, s23
	s_mul_hi_u32 s27, s7, s26
	s_mul_i32 s24, s7, s26
	s_mul_hi_u32 s26, s16, s23
	s_add_u32 s25, s25, s28
	s_addc_u32 s26, 0, s26
	s_mul_hi_u32 s29, s7, s23
	s_add_u32 s24, s25, s24
	s_mul_i32 s23, s7, s23
	s_addc_u32 s24, s26, s27
	s_addc_u32 s25, s29, 0
	s_add_u32 s23, s24, s23
	s_addc_u32 s24, 0, s25
	s_add_u32 s16, s16, s23
	s_cselect_b32 s23, -1, 0
	s_mul_hi_u32 s25, s17, s16
	s_cmp_lg_u32 s23, 0
	s_mul_i32 s23, s17, s16
	s_addc_u32 s7, s7, s24
	s_mul_i32 s22, s22, s16
	s_mul_i32 s17, s17, s7
	s_mul_hi_u32 s24, s16, s23
	s_add_i32 s17, s25, s17
	s_mul_hi_u32 s25, s7, s23
	s_add_i32 s17, s17, s22
	s_mul_i32 s22, s7, s23
	s_mul_i32 s27, s16, s17
	s_mul_hi_u32 s26, s16, s17
	s_add_u32 s24, s24, s27
	s_addc_u32 s26, 0, s26
	s_mul_hi_u32 s23, s7, s17
	s_add_u32 s22, s24, s22
	s_mul_i32 s17, s7, s17
	s_addc_u32 s22, s26, s25
	s_addc_u32 s23, s23, 0
	s_add_u32 s17, s22, s17
	s_addc_u32 s22, 0, s23
	s_add_u32 s24, s16, s17
	s_cselect_b32 s16, -1, 0
	s_cmp_lg_u32 s16, 0
	s_addc_u32 s7, s7, s22
	s_ashr_i32 s16, s5, 31
	s_add_u32 s22, s6, s16
	s_mov_b32 s17, s16
	s_addc_u32 s23, s5, s16
	s_xor_b64 s[22:23], s[22:23], s[16:17]
	s_mul_i32 s25, s22, s7
	s_mul_hi_u32 s26, s22, s24
	s_mul_hi_u32 s5, s22, s7
	;; [unrolled: 1-line block ×3, first 2 shown]
	s_mul_i32 s24, s23, s24
	s_add_u32 s25, s26, s25
	s_addc_u32 s5, 0, s5
	s_mul_hi_u32 s27, s23, s7
	s_add_u32 s24, s25, s24
	s_mul_i32 s7, s23, s7
	s_addc_u32 s5, s5, s28
	s_addc_u32 s24, s27, 0
	s_add_u32 s5, s5, s7
	s_addc_u32 s7, 0, s24
	s_mul_hi_u32 s24, s0, s5
	s_mul_i32 s25, s0, s7
	s_mul_i32 s26, s1, s5
	s_add_i32 s24, s24, s25
	s_mul_i32 s25, s0, s5
	s_add_i32 s24, s24, s26
	s_sub_i32 s26, s23, s24
	s_sub_u32 s22, s22, s25
	s_cselect_b32 s25, -1, 0
	s_cmp_lg_u32 s25, 0
	s_subb_u32 s26, s26, s1
	s_sub_u32 s27, s22, s0
	s_cselect_b32 s28, -1, 0
	s_cmp_lg_u32 s28, 0
	s_subb_u32 s26, s26, 0
	s_cmp_ge_u32 s26, s1
	s_cselect_b32 s28, -1, 0
	s_cmp_ge_u32 s27, s0
	s_cselect_b32 s27, -1, 0
	s_cmp_eq_u32 s26, s1
	s_cselect_b32 s26, s27, s28
	s_add_u32 s27, s5, 1
	s_addc_u32 s28, s7, 0
	s_add_u32 s29, s5, 2
	s_addc_u32 s30, s7, 0
	s_cmp_lg_u32 s26, 0
	s_cselect_b32 s26, s29, s27
	s_cselect_b32 s27, s30, s28
	s_cmp_lg_u32 s25, 0
	s_subb_u32 s23, s23, s24
	s_cmp_ge_u32 s23, s1
	s_cselect_b32 s24, -1, 0
	s_cmp_ge_u32 s22, s0
	s_cselect_b32 s0, -1, 0
	s_cmp_eq_u32 s23, s1
	s_cselect_b32 s0, s0, s24
	s_cmp_lg_u32 s0, 0
	s_cselect_b32 s1, s27, s7
	s_cselect_b32 s0, s26, s5
	s_xor_b64 s[16:17], s[16:17], 0
	s_mov_b32 s7, 0
	s_xor_b64 s[0:1], s[0:1], s[16:17]
	s_sub_u32 s0, s0, s16
.LBB36_11:                              ;   in Loop: Header=BB36_9 Depth=1
	s_andn2_b32 vcc_lo, exec_lo, s7
	s_cbranch_vccnz .LBB36_13
; %bb.12:                               ;   in Loop: Header=BB36_9 Depth=1
	v_readfirstlane_b32 s0, v4
	s_mul_i32 s1, s2, s0
	s_mul_hi_u32 s1, s0, s1
	s_add_i32 s0, s0, s1
	s_mul_hi_u32 s0, s6, s0
	s_mul_i32 s1, s0, s9
	s_add_i32 s5, s0, 1
	s_sub_i32 s1, s6, s1
	s_sub_i32 s6, s1, s9
	s_cmp_ge_u32 s1, s9
	s_cselect_b32 s0, s5, s0
	s_cselect_b32 s1, s6, s1
	s_add_i32 s5, s0, 1
	s_cmp_ge_u32 s1, s9
	s_cselect_b32 s0, s5, s0
.LBB36_13:                              ;   in Loop: Header=BB36_9 Depth=1
	s_cmp_lg_u32 s10, s0
	s_mov_b32 s6, -1
                                        ; implicit-def: $sgpr5
                                        ; implicit-def: $vgpr8
                                        ; implicit-def: $vgpr7
                                        ; implicit-def: $vgpr9
                                        ; implicit-def: $sgpr1
                                        ; implicit-def: $sgpr16
	s_cbranch_scc0 .LBB36_18
; %bb.14:                               ;   in Loop: Header=BB36_9 Depth=1
	s_add_i32 s1, s8, s9
	s_mov_b32 s7, s4
	s_lshl_b32 s1, s1, 6
	s_mov_b32 s16, s10
	s_add_i32 s6, s1, s15
	s_mul_hi_u32 s1, s0, s12
	s_lshl_b64 s[6:7], s[6:7], 3
	s_add_u32 s6, s18, s6
	s_addc_u32 s7, s19, s7
	s_add_i32 s1, s1, s0
	s_lshr_b32 s1, s1, s13
	s_mul_i32 s5, s1, s14
	s_cmp_eq_u32 s5, s0
	s_cselect_b32 s5, -1, 0
	s_cmp_lt_u32 s1, s11
	s_cselect_b32 s1, -1, 0
	s_or_b32 s1, s1, s5
	s_mov_b32 s5, -1
	s_and_b32 vcc_lo, exec_lo, s1
	s_mov_b32 s1, s8
	s_cbranch_vccnz .LBB36_16
; %bb.15:                               ;   in Loop: Header=BB36_9 Depth=1
	s_add_i32 s1, s8, -1
	s_mov_b32 s5, 0
	s_mov_b32 s16, s0
.LBB36_16:                              ;   in Loop: Header=BB36_9 Depth=1
	v_lshl_add_u32 v7, s8, 13, v0
	s_load_dwordx2 s[6:7], s[6:7], 0x0
	v_ashrrev_i32_e32 v8, 31, v7
	v_lshlrev_b64 v[7:8], 2, v[7:8]
	v_add_co_u32 v7, vcc_lo, s20, v7
	v_add_co_ci_u32_e64 v8, null, s21, v8, vcc_lo
	s_waitcnt lgkmcnt(0)
	v_max_f32_e64 v9, s6, s6
	global_load_dword v8, v[7:8], off
	v_max_f32_e32 v7, v6, v6
	v_max_f32_e32 v7, v7, v9
	v_sub_f32_e32 v9, s6, v7
	v_sub_f32_e32 v10, v6, v7
	v_mul_f32_e32 v11, 0x3fb8aa3b, v9
	v_mul_f32_e32 v12, 0x3fb8aa3b, v10
	v_cmp_ngt_f32_e32 vcc_lo, 0xc2ce8ed0, v9
	v_fma_f32 v13, 0x3fb8aa3b, v9, -v11
	v_rndne_f32_e32 v14, v11
	v_fma_f32 v15, 0x3fb8aa3b, v10, -v12
	v_rndne_f32_e32 v16, v12
	v_fmac_f32_e32 v13, 0x32a5705f, v9
	v_sub_f32_e32 v11, v11, v14
	v_fmac_f32_e32 v15, 0x32a5705f, v10
	v_sub_f32_e32 v12, v12, v16
	v_add_f32_e32 v11, v11, v13
	v_cvt_i32_f32_e32 v13, v14
	v_add_f32_e32 v12, v12, v15
	v_cvt_i32_f32_e32 v14, v16
	v_exp_f32_e32 v11, v11
	v_exp_f32_e32 v12, v12
	v_ldexp_f32 v11, v11, v13
	v_ldexp_f32 v12, v12, v14
	v_cndmask_b32_e32 v11, 0, v11, vcc_lo
	v_cmp_ngt_f32_e32 vcc_lo, 0xc2ce8ed0, v10
	v_cndmask_b32_e32 v12, 0, v12, vcc_lo
	v_cmp_nlt_f32_e32 vcc_lo, 0x42b17218, v9
	v_cndmask_b32_e32 v11, 0x7f800000, v11, vcc_lo
	v_cmp_nlt_f32_e32 vcc_lo, 0x42b17218, v10
	v_cndmask_b32_e32 v12, 0x7f800000, v12, vcc_lo
	v_cmp_le_f32_e32 vcc_lo, 0xc1a00000, v9
	v_cndmask_b32_e32 v9, 0, v11, vcc_lo
	v_cmp_le_f32_e32 vcc_lo, 0xc1a00000, v10
	v_cndmask_b32_e32 v10, 0, v12, vcc_lo
	s_waitcnt vmcnt(0)
	v_mul_f32_e32 v8, v8, v9
	v_mul_f32_e32 v9, s7, v9
	v_fmac_f32_e32 v8, v3, v10
	v_fmac_f32_e32 v9, v5, v10
	s_cbranch_execz .LBB36_19
.LBB36_17:                              ;   in Loop: Header=BB36_9 Depth=1
	s_andn2_b32 vcc_lo, exec_lo, s5
	s_cbranch_vccnz .LBB36_20
	s_branch .LBB36_23
.LBB36_18:                              ;   in Loop: Header=BB36_9 Depth=1
	s_andn2_b32 vcc_lo, exec_lo, s6
	s_cbranch_vccnz .LBB36_17
.LBB36_19:                              ;   in Loop: Header=BB36_9 Depth=1
	v_mov_b32_e32 v9, v5
	v_mov_b32_e32 v7, v6
	s_waitcnt vmcnt(0)
	v_mov_b32_e32 v8, v3
	s_add_i32 s1, s8, -1
	s_mov_b32 s16, s10
	s_cbranch_execz .LBB36_23
.LBB36_20:                              ;   in Loop: Header=BB36_9 Depth=1
	v_mov_b32_e32 v5, v9
	v_mov_b32_e32 v6, v7
	s_waitcnt vmcnt(0)
	v_mov_b32_e32 v3, v8
	s_mov_b32 s10, s16
	s_mov_b32 s8, s1
	s_branch .LBB36_9
.LBB36_21:
                                        ; implicit-def: $sgpr10_sgpr11
	s_load_dwordx4 s[12:15], s[4:5], 0x44
	s_branch .LBB36_2
.LBB36_22:
                                        ; implicit-def: $sgpr18_sgpr19
	s_branch .LBB36_5
.LBB36_23:
	v_div_scale_f32 v0, null, v9, v9, v8
	s_waitcnt vmcnt(0)
	v_rcp_f32_e32 v3, v0
	v_fma_f32 v4, -v0, v3, 1.0
	v_fmac_f32_e32 v3, v4, v3
	v_div_scale_f32 v4, vcc_lo, v8, v9, v8
	v_mul_f32_e32 v5, v4, v3
	v_fma_f32 v6, -v0, v5, v4
	v_fmac_f32_e32 v5, v6, v3
	v_fma_f32 v0, -v0, v5, v4
	v_div_fmas_f32 v0, v0, v3, v5
	v_div_fixup_f32 v0, v0, v9, v8
	global_store_dword v[1:2], v0, off
.LBB36_24:
	s_endpgm
	.section	.rodata,"a",@progbits
	.p2align	6, 0x0
	.amdhsa_kernel _ZL33flash_attn_stream_k_fixup_generalILi128ELi32ELi2EEvPfPK15HIP_vector_typeIfLj2EEiiiiS1_IjLj3EES5_S5_S5_
		.amdhsa_group_segment_fixed_size 0
		.amdhsa_private_segment_fixed_size 0
		.amdhsa_kernarg_size 336
		.amdhsa_user_sgpr_count 6
		.amdhsa_user_sgpr_private_segment_buffer 1
		.amdhsa_user_sgpr_dispatch_ptr 0
		.amdhsa_user_sgpr_queue_ptr 0
		.amdhsa_user_sgpr_kernarg_segment_ptr 1
		.amdhsa_user_sgpr_dispatch_id 0
		.amdhsa_user_sgpr_flat_scratch_init 0
		.amdhsa_user_sgpr_private_segment_size 0
		.amdhsa_wavefront_size32 1
		.amdhsa_uses_dynamic_stack 0
		.amdhsa_system_sgpr_private_segment_wavefront_offset 0
		.amdhsa_system_sgpr_workgroup_id_x 1
		.amdhsa_system_sgpr_workgroup_id_y 1
		.amdhsa_system_sgpr_workgroup_id_z 1
		.amdhsa_system_sgpr_workgroup_info 0
		.amdhsa_system_vgpr_workitem_id 0
		.amdhsa_next_free_vgpr 17
		.amdhsa_next_free_sgpr 31
		.amdhsa_reserve_vcc 1
		.amdhsa_reserve_flat_scratch 0
		.amdhsa_float_round_mode_32 0
		.amdhsa_float_round_mode_16_64 0
		.amdhsa_float_denorm_mode_32 3
		.amdhsa_float_denorm_mode_16_64 3
		.amdhsa_dx10_clamp 1
		.amdhsa_ieee_mode 1
		.amdhsa_fp16_overflow 0
		.amdhsa_workgroup_processor_mode 1
		.amdhsa_memory_ordered 1
		.amdhsa_forward_progress 1
		.amdhsa_shared_vgpr_count 0
		.amdhsa_exception_fp_ieee_invalid_op 0
		.amdhsa_exception_fp_denorm_src 0
		.amdhsa_exception_fp_ieee_div_zero 0
		.amdhsa_exception_fp_ieee_overflow 0
		.amdhsa_exception_fp_ieee_underflow 0
		.amdhsa_exception_fp_ieee_inexact 0
		.amdhsa_exception_int_div_zero 0
	.end_amdhsa_kernel
	.section	.text._ZL33flash_attn_stream_k_fixup_generalILi128ELi32ELi2EEvPfPK15HIP_vector_typeIfLj2EEiiiiS1_IjLj3EES5_S5_S5_,"axG",@progbits,_ZL33flash_attn_stream_k_fixup_generalILi128ELi32ELi2EEvPfPK15HIP_vector_typeIfLj2EEiiiiS1_IjLj3EES5_S5_S5_,comdat
.Lfunc_end36:
	.size	_ZL33flash_attn_stream_k_fixup_generalILi128ELi32ELi2EEvPfPK15HIP_vector_typeIfLj2EEiiiiS1_IjLj3EES5_S5_S5_, .Lfunc_end36-_ZL33flash_attn_stream_k_fixup_generalILi128ELi32ELi2EEvPfPK15HIP_vector_typeIfLj2EEiiiiS1_IjLj3EES5_S5_S5_
                                        ; -- End function
	.set _ZL33flash_attn_stream_k_fixup_generalILi128ELi32ELi2EEvPfPK15HIP_vector_typeIfLj2EEiiiiS1_IjLj3EES5_S5_S5_.num_vgpr, 17
	.set _ZL33flash_attn_stream_k_fixup_generalILi128ELi32ELi2EEvPfPK15HIP_vector_typeIfLj2EEiiiiS1_IjLj3EES5_S5_S5_.num_agpr, 0
	.set _ZL33flash_attn_stream_k_fixup_generalILi128ELi32ELi2EEvPfPK15HIP_vector_typeIfLj2EEiiiiS1_IjLj3EES5_S5_S5_.numbered_sgpr, 31
	.set _ZL33flash_attn_stream_k_fixup_generalILi128ELi32ELi2EEvPfPK15HIP_vector_typeIfLj2EEiiiiS1_IjLj3EES5_S5_S5_.num_named_barrier, 0
	.set _ZL33flash_attn_stream_k_fixup_generalILi128ELi32ELi2EEvPfPK15HIP_vector_typeIfLj2EEiiiiS1_IjLj3EES5_S5_S5_.private_seg_size, 0
	.set _ZL33flash_attn_stream_k_fixup_generalILi128ELi32ELi2EEvPfPK15HIP_vector_typeIfLj2EEiiiiS1_IjLj3EES5_S5_S5_.uses_vcc, 1
	.set _ZL33flash_attn_stream_k_fixup_generalILi128ELi32ELi2EEvPfPK15HIP_vector_typeIfLj2EEiiiiS1_IjLj3EES5_S5_S5_.uses_flat_scratch, 0
	.set _ZL33flash_attn_stream_k_fixup_generalILi128ELi32ELi2EEvPfPK15HIP_vector_typeIfLj2EEiiiiS1_IjLj3EES5_S5_S5_.has_dyn_sized_stack, 0
	.set _ZL33flash_attn_stream_k_fixup_generalILi128ELi32ELi2EEvPfPK15HIP_vector_typeIfLj2EEiiiiS1_IjLj3EES5_S5_S5_.has_recursion, 0
	.set _ZL33flash_attn_stream_k_fixup_generalILi128ELi32ELi2EEvPfPK15HIP_vector_typeIfLj2EEiiiiS1_IjLj3EES5_S5_S5_.has_indirect_call, 0
	.section	.AMDGPU.csdata,"",@progbits
; Kernel info:
; codeLenInByte = 2944
; TotalNumSgprs: 33
; NumVgprs: 17
; ScratchSize: 0
; MemoryBound: 0
; FloatMode: 240
; IeeeMode: 1
; LDSByteSize: 0 bytes/workgroup (compile time only)
; SGPRBlocks: 0
; VGPRBlocks: 2
; NumSGPRsForWavesPerEU: 33
; NumVGPRsForWavesPerEU: 17
; Occupancy: 16
; WaveLimiterHint : 0
; COMPUTE_PGM_RSRC2:SCRATCH_EN: 0
; COMPUTE_PGM_RSRC2:USER_SGPR: 6
; COMPUTE_PGM_RSRC2:TRAP_HANDLER: 0
; COMPUTE_PGM_RSRC2:TGID_X_EN: 1
; COMPUTE_PGM_RSRC2:TGID_Y_EN: 1
; COMPUTE_PGM_RSRC2:TGID_Z_EN: 1
; COMPUTE_PGM_RSRC2:TIDIG_COMP_CNT: 0
	.section	.text._ZL15flash_attn_tileILi128ELi128ELi16ELi2ELb0EEvPKcS1_S1_S1_S1_PKiPfP15HIP_vector_typeIfLj2EEffffjfiS5_IjLj3EEiiiiiiiiiiiliiliiiiil,"axG",@progbits,_ZL15flash_attn_tileILi128ELi128ELi16ELi2ELb0EEvPKcS1_S1_S1_S1_PKiPfP15HIP_vector_typeIfLj2EEffffjfiS5_IjLj3EEiiiiiiiiiiiliiliiiiil,comdat
	.globl	_ZL15flash_attn_tileILi128ELi128ELi16ELi2ELb0EEvPKcS1_S1_S1_S1_PKiPfP15HIP_vector_typeIfLj2EEffffjfiS5_IjLj3EEiiiiiiiiiiiliiliiiiil ; -- Begin function _ZL15flash_attn_tileILi128ELi128ELi16ELi2ELb0EEvPKcS1_S1_S1_S1_PKiPfP15HIP_vector_typeIfLj2EEffffjfiS5_IjLj3EEiiiiiiiiiiiliiliiiiil
	.p2align	8
	.type	_ZL15flash_attn_tileILi128ELi128ELi16ELi2ELb0EEvPKcS1_S1_S1_S1_PKiPfP15HIP_vector_typeIfLj2EEffffjfiS5_IjLj3EEiiiiiiiiiiiliiliiiiil,@function
_ZL15flash_attn_tileILi128ELi128ELi16ELi2ELb0EEvPKcS1_S1_S1_S1_PKiPfP15HIP_vector_typeIfLj2EEffffjfiS5_IjLj3EEiiiiiiiiiiiliiliiiiil: ; @_ZL15flash_attn_tileILi128ELi128ELi16ELi2ELb0EEvPKcS1_S1_S1_S1_PKiPfP15HIP_vector_typeIfLj2EEffffjfiS5_IjLj3EEiiiiiiiiiiiliiliiiiil
; %bb.0:
	s_clause 0x1
	s_load_dwordx4 s[36:39], s[4:5], 0x5c
	s_load_dwordx2 s[42:43], s[4:5], 0x80
	s_mov_b32 s34, s7
	s_mov_b64 s[44:45], 0
	s_waitcnt lgkmcnt(0)
	s_lshr_b32 s0, s39, 31
	s_add_i32 s0, s39, s0
	s_ashr_i32 s0, s0, 1
	v_cvt_f32_u32_e32 v2, s0
	s_sub_i32 s2, 0, s0
	v_rcp_iflag_f32_e32 v2, v2
	v_mul_f32_e32 v2, 0x4f7ffffe, v2
	v_cvt_u32_f32_e32 v2, v2
	v_readfirstlane_b32 s1, v2
	s_mul_i32 s2, s2, s1
	s_mul_hi_u32 s2, s1, s2
	s_add_i32 s1, s1, s2
	s_mul_hi_u32 s1, s8, s1
	s_mul_i32 s2, s1, s0
	s_add_i32 s3, s1, 1
	s_sub_i32 s2, s8, s2
	s_sub_i32 s7, s2, s0
	s_cmp_ge_u32 s2, s0
	s_cselect_b32 s1, s3, s1
	s_cselect_b32 s2, s7, s2
	s_add_i32 s3, s1, 1
	s_cmp_ge_u32 s2, s0
	s_cselect_b32 s33, s3, s1
	s_abs_i32 s0, s43
	s_lshl_b32 s3, s8, 1
	v_cvt_f32_u32_e32 v2, s0
	s_sub_i32 s2, 0, s0
	s_abs_i32 s8, s39
	s_mul_i32 s7, s33, s39
	v_rcp_iflag_f32_e32 v2, v2
	s_sub_i32 s40, s3, s7
	v_mul_f32_e32 v2, 0x4f7ffffe, v2
	v_cvt_u32_f32_e32 v2, v2
	v_readfirstlane_b32 s1, v2
	s_mul_i32 s2, s2, s1
	s_mul_hi_u32 s2, s1, s2
	s_add_i32 s1, s1, s2
	s_xor_b32 s2, s39, s43
	s_mul_hi_u32 s1, s8, s1
	s_ashr_i32 s2, s2, 31
	s_mul_i32 s3, s1, s0
	s_add_i32 s7, s1, 1
	s_sub_i32 s3, s8, s3
	s_sub_i32 s8, s3, s0
	s_cmp_ge_u32 s3, s0
	s_cselect_b32 s1, s7, s1
	s_cselect_b32 s3, s8, s3
	s_add_i32 s7, s1, 1
	s_cmp_ge_u32 s3, s0
	s_clause 0x1
	s_load_dwordx16 s[16:31], s[4:5], 0x0
	s_load_dwordx2 s[8:9], s[4:5], 0xb8
	s_cselect_b32 s0, s7, s1
	s_xor_b32 s0, s0, s2
	s_sub_i32 s10, s0, s2
	s_abs_i32 s7, s10
	v_cvt_f32_u32_e32 v2, s7
	v_rcp_iflag_f32_e32 v2, v2
	s_waitcnt lgkmcnt(0)
	s_cmp_eq_u64 s[22:23], 0
	v_mul_f32_e32 v2, 0x4f7ffffe, v2
	v_cvt_u32_f32_e32 v2, v2
	v_readfirstlane_b32 s11, v2
	s_cbranch_scc1 .LBB37_2
; %bb.1:
	s_abs_i32 s2, s8
	s_abs_i32 s3, s33
	v_cvt_f32_u32_e32 v2, s2
	s_sub_i32 s1, 0, s2
	v_rcp_iflag_f32_e32 v2, v2
	v_mul_f32_e32 v2, 0x4f7ffffe, v2
	v_cvt_u32_f32_e32 v2, v2
	v_readfirstlane_b32 s0, v2
	s_mul_i32 s1, s1, s0
	s_mul_hi_u32 s1, s0, s1
	s_add_i32 s0, s0, s1
	s_mul_hi_u32 s8, s3, s0
	s_load_dwordx2 s[0:1], s[4:5], 0xc8
	s_mul_i32 s8, s8, s2
	s_sub_i32 s3, s3, s8
	s_ashr_i32 s8, s33, 31
	s_sub_i32 s12, s3, s2
	s_cmp_ge_u32 s3, s2
	s_cselect_b32 s3, s12, s3
	s_sub_i32 s12, s3, s2
	s_cmp_ge_u32 s3, s2
	s_cselect_b32 s2, s12, s3
	s_xor_b32 s2, s2, s8
	s_sub_i32 s2, s2, s8
	s_ashr_i32 s3, s2, 31
	s_waitcnt lgkmcnt(0)
	s_mul_hi_u32 s8, s0, s2
	s_mul_i32 s3, s0, s3
	s_mul_i32 s1, s1, s2
	s_add_i32 s3, s8, s3
	s_mul_i32 s0, s0, s2
	s_add_i32 s3, s3, s1
	s_add_u32 s44, s22, s0
	s_addc_u32 s45, s23, s3
.LBB37_2:
	v_lshlrev_b32_e32 v2, 2, v1
	v_lshlrev_b32_e32 v84, 1, v1
	s_lshl_b32 s35, s6, 4
	s_load_dwordx4 s[0:3], s[4:5], 0x70
	v_lshlrev_b32_e32 v16, 4, v0
	v_or_b32_e32 v20, 2, v2
	v_or_b32_e32 v21, 3, v2
	v_add_nc_u32_e32 v85, s35, v84
	v_lshlrev_b32_e32 v87, 3, v0
	v_lshlrev_b32_e32 v1, 10, v1
	v_lshrrev_b32_e32 v82, 1, v20
	v_lshrrev_b32_e32 v80, 1, v21
	v_mul_hi_u32 v3, v85, s36
	v_or_b32_e32 v22, 0x6800, v87
	v_add_nc_u32_e32 v83, s35, v82
	v_add_nc_u32_e32 v81, s35, v80
	;; [unrolled: 1-line block ×3, first 2 shown]
	v_lshl_add_u32 v20, v20, 8, v22
	v_mul_hi_u32 v4, v83, s36
	v_mul_hi_u32 v5, v81, s36
	v_add_nc_u32_e32 v3, v85, v3
	s_waitcnt lgkmcnt(0)
	s_mul_i32 s3, s33, s2
	s_mul_i32 s8, s40, s1
	s_ashr_i32 s12, s3, 31
	s_add_u32 s3, s16, s3
	v_lshrrev_b32_e32 v3, s37, v3
	v_add_nc_u32_e32 v4, v83, v4
	v_add_nc_u32_e32 v5, v81, v5
	s_addc_u32 s12, s17, s12
	s_ashr_i32 s13, s8, 31
	v_mul_lo_u32 v3, v3, s38
	v_lshrrev_b32_e32 v4, s37, v4
	v_lshrrev_b32_e32 v5, s37, v5
	s_add_u32 s8, s3, s8
	s_mov_b32 s2, s0
	s_addc_u32 s14, s12, s13
	v_mul_lo_u32 v6, v4, s38
	v_mul_lo_u32 v7, v5, s38
	v_sub_nc_u32_e32 v3, v85, v3
	s_ashr_i32 s3, s0, 31
	v_lshl_add_u32 v21, v21, 8, v22
	s_lshr_b64 s[12:13], s[2:3], 2
	s_lshr_b32 s0, s3, 2
	v_mad_u64_u32 v[4:5], null, s12, v3, 0
	v_sub_nc_u32_e32 v12, v83, v6
	v_sub_nc_u32_e32 v13, v81, v7
	v_mad_u64_u32 v[6:7], null, s12, v12, 0
	v_mad_u64_u32 v[8:9], null, s12, v13, 0
	;; [unrolled: 1-line block ×3, first 2 shown]
	v_mov_b32_e32 v5, v10
	v_mad_u64_u32 v[10:11], null, s0, v12, v[7:8]
	v_lshlrev_b64 v[4:5], 2, v[4:5]
	v_mad_u64_u32 v[11:12], null, s0, v13, v[9:10]
	s_ashr_i32 s0, s1, 31
	s_and_b32 s1, s1, -4
	v_mov_b32_e32 v7, v10
	s_add_u32 s1, s8, s1
	v_add_co_u32 v10, vcc_lo, s8, v4
	s_addc_u32 s0, s14, s0
	v_mov_b32_e32 v9, v11
	v_add_co_ci_u32_e64 v11, null, s14, v5, vcc_lo
	v_add_co_u32 v14, vcc_lo, s1, v4
	v_add_co_ci_u32_e64 v15, null, s0, v5, vcc_lo
	v_add_co_u32 v4, vcc_lo, v10, v16
	v_lshlrev_b64 v[12:13], 2, v[6:7]
	v_add_co_ci_u32_e64 v5, null, 0, v11, vcc_lo
	v_add_co_u32 v10, vcc_lo, v14, v16
	v_add_co_ci_u32_e64 v11, null, 0, v15, vcc_lo
	v_lshlrev_b64 v[14:15], 2, v[8:9]
	v_add_co_u32 v12, vcc_lo, s8, v12
	s_clause 0x1
	global_load_dwordx4 v[4:7], v[4:5], off
	global_load_dwordx4 v[8:11], v[10:11], off
	v_add_co_ci_u32_e64 v13, null, s14, v13, vcc_lo
	v_add_co_u32 v14, vcc_lo, s1, v14
	v_add_co_ci_u32_e64 v15, null, s0, v15, vcc_lo
	v_add_co_u32 v12, vcc_lo, v12, v16
	;; [unrolled: 2-line block ×3, first 2 shown]
	v_add_co_ci_u32_e64 v17, null, 0, v15, vcc_lo
	s_clause 0x1
	global_load_dwordx4 v[12:15], v[12:13], off
	global_load_dwordx4 v[16:19], v[16:17], off
	s_load_dword s0, s[4:5], 0x40
	s_cmp_eq_u64 s[26:27], 0
	s_waitcnt vmcnt(3) lgkmcnt(0)
	v_fma_mixlo_f16 v4, s0, v4, 0
	v_fma_mixlo_f16 v5, s0, v5, 0
	;; [unrolled: 1-line block ×4, first 2 shown]
	s_waitcnt vmcnt(2)
	v_fma_mixlo_f16 v8, s0, v8, 0
	v_fma_mixlo_f16 v9, s0, v9, 0
	;; [unrolled: 1-line block ×4, first 2 shown]
	v_lshlrev_b32_e32 v5, 16, v5
	v_and_b32_e32 v4, 0xffff, v4
	v_lshlrev_b32_e32 v7, 16, v7
	v_and_b32_e32 v6, 0xffff, v6
	;; [unrolled: 2-line block ×4, first 2 shown]
	v_or_b32_e32 v4, v5, v4
	v_or3_b32 v5, v7, v6, 0
	v_or_b32_e32 v6, v9, v8
	s_waitcnt vmcnt(1)
	v_fma_mixlo_f16 v8, s0, v12, 0
	v_fma_mixlo_f16 v9, s0, v13, 0
	s_waitcnt vmcnt(0)
	v_fma_mixlo_f16 v12, s0, v16, 0
	v_fma_mixlo_f16 v13, s0, v17, 0
	v_or3_b32 v7, v11, v10, 0
	v_fma_mixlo_f16 v10, s0, v14, 0
	v_fma_mixlo_f16 v11, s0, v15, 0
	v_lshlrev_b32_e32 v9, 16, v9
	v_and_b32_e32 v8, 0xffff, v8
	v_fma_mixlo_f16 v14, s0, v18, 0
	v_fma_mixlo_f16 v15, s0, v19, 0
	v_lshlrev_b32_e32 v13, 16, v13
	v_and_b32_e32 v12, 0xffff, v12
	v_lshlrev_b32_e32 v11, 16, v11
	v_and_b32_e32 v10, 0xffff, v10
	v_or_b32_e32 v8, v9, v8
	v_lshlrev_b32_e32 v15, 16, v15
	v_and_b32_e32 v14, 0xffff, v14
	v_or_b32_e32 v12, v13, v12
	v_or3_b32 v4, 0, 0, v4
	v_or3_b32 v6, 0, 0, v6
	;; [unrolled: 1-line block ×6, first 2 shown]
	ds_write2_b64 v23, v[4:5], v[6:7] offset1:32
	ds_write_b64 v20, v[8:9]
	ds_write_b64 v21, v[10:11]
	s_waitcnt lgkmcnt(0)
	s_barrier
	buffer_gl0_inv
	s_cbranch_scc1 .LBB37_4
; %bb.3:
	s_load_dword s0, s[4:5], 0xd0
	s_mov_b32 s1, 0
	s_waitcnt lgkmcnt(0)
	s_mul_i32 s0, s0, s33
	s_add_i32 s0, s0, s6
	s_lshl_b64 s[0:1], s[0:1], 2
	s_add_u32 s0, s26, s0
	s_addc_u32 s1, s27, s1
	s_load_dword s42, s[0:1], 0x0
.LBB37_4:
	v_mbcnt_lo_u32_b32 v88, -1, 0
	s_lshl_b32 s26, s34, 7
	s_waitcnt lgkmcnt(0)
	s_cmp_lt_i32 s26, s42
	s_cbranch_scc1 .LBB37_7
; %bb.5:
	v_mbcnt_lo_u32_b32 v5, -1, 0
	v_mov_b32_e32 v89, 32
	v_xor_b32_e32 v94, 16, v5
	v_xor_b32_e32 v93, 8, v5
	;; [unrolled: 1-line block ×5, first 2 shown]
	v_lshlrev_b32_e32 v86, 2, v0
	s_cbranch_execz .LBB37_8
; %bb.6:
	v_mov_b32_e32 v23, 0
	v_mov_b32_e32 v119, 0
	;; [unrolled: 1-line block ×16, first 2 shown]
	s_branch .LBB37_11
.LBB37_7:
                                        ; implicit-def: $vgpr5
                                        ; implicit-def: $vgpr89
                                        ; implicit-def: $vgpr94
                                        ; implicit-def: $vgpr93
                                        ; implicit-def: $vgpr92
                                        ; implicit-def: $vgpr91
                                        ; implicit-def: $vgpr90
	v_lshlrev_b32_e32 v86, 2, v0
.LBB37_8:
	s_clause 0x1
	s_load_dwordx4 s[0:3], s[4:5], 0x98
	s_load_dwordx2 s[12:13], s[4:5], 0x8c
	s_sub_i32 s6, 0, s7
	s_abs_i32 s8, s40
	s_mul_i32 s6, s6, s11
	s_ashr_i32 s16, s40, 31
	s_mul_hi_u32 s6, s11, s6
	s_ashr_i32 s10, s10, 31
	s_add_i32 s11, s11, s6
	s_ashr_i32 s6, s9, 1
	s_mul_hi_u32 s9, s8, s11
	s_ashr_i32 s11, s33, 31
	s_load_dwordx2 s[14:15], s[4:5], 0xa8
	s_mul_i32 s17, s9, s7
	v_lshrrev_b32_e32 v4, 3, v0
	v_and_b32_e32 v18, 28, v86
	v_add3_u32 v13, s35, v84, 1
	v_and_b32_e32 v19, 60, v86
	v_mul_lo_u32 v101, v3, s6
	v_add_nc_u32_e32 v2, v4, v2
	s_waitcnt lgkmcnt(0)
	s_ashr_i32 s27, s2, 2
	s_ashr_i32 s41, s12, 2
	s_mul_hi_u32 s2, s0, s33
	s_mul_i32 s12, s0, s11
	s_mul_i32 s1, s1, s33
	s_add_i32 s2, s2, s12
	s_mul_i32 s0, s0, s33
	s_add_i32 s2, s2, s1
	s_add_u32 s0, s18, s0
	s_addc_u32 s1, s19, s2
	s_sub_i32 s8, s8, s17
	s_xor_b32 s2, s16, s10
	s_add_i32 s10, s9, 1
	s_sub_i32 s12, s8, s7
	s_cmp_ge_u32 s8, s7
	v_lshlrev_b32_e32 v5, 2, v18
	s_cselect_b32 s9, s10, s9
	s_cselect_b32 s8, s12, s8
	s_add_i32 s10, s9, 1
	s_cmp_ge_u32 s8, s7
	s_mul_hi_u32 s8, s14, s33
	s_cselect_b32 s7, s10, s9
	s_mul_i32 s9, s14, s11
	s_xor_b32 s7, s7, s2
	v_mul_lo_u32 v4, s41, v2
	s_sub_i32 s2, s7, s2
	s_mul_i32 s7, s15, s33
	s_mul_i32 s10, s2, s13
	;; [unrolled: 1-line block ×3, first 2 shown]
	s_ashr_i32 s12, s10, 31
	s_add_u32 s43, s0, s10
	s_addc_u32 s46, s1, s12
	s_add_i32 s0, s8, s9
	s_mul_i32 s2, s2, s3
	s_add_i32 s0, s0, s7
	v_mad_u32_u24 v95, 0x90, v2, v5
	v_lshrrev_b32_e32 v2, 4, v0
	s_add_u32 s1, s20, s11
	s_addc_u32 s0, s21, s0
	s_ashr_i32 s3, s2, 31
	v_mul_hi_u32 v7, s36, v13
	s_add_u32 s21, s1, s2
	s_addc_u32 s36, s0, s3
	s_lshl_b32 s0, s41, 5
	v_add_nc_u32_e32 v14, v2, v84
	v_add_nc_u32_e32 v6, s0, v4
	v_lshlrev_b32_e32 v16, 2, v19
	v_ashrrev_i32_e32 v5, 31, v4
	v_add_nc_u32_e32 v9, v13, v7
	v_mul_lo_u32 v2, s27, v14
	v_add_nc_u32_e32 v8, s0, v6
	v_lshl_or_b32 v102, v14, 8, v16
	v_ashrrev_i32_e32 v7, 31, v6
	v_lshrrev_b32_e32 v11, s37, v9
	v_add_nc_u32_e32 v104, 0x4800, v1
	v_add_nc_u32_e32 v10, s0, v8
	s_lshl_b32 s0, s27, 4
	v_ashrrev_i32_e32 v9, 31, v8
	v_add_nc_u32_e32 v12, s0, v2
	v_mul_lo_u32 v15, v11, s38
	v_ashrrev_i32_e32 v11, 31, v10
	v_ashrrev_i32_e32 v3, 31, v2
	v_lshlrev_b64 v[64:65], 2, v[4:5]
	v_add_nc_u32_e32 v14, s0, v12
	v_lshlrev_b64 v[66:67], 2, v[6:7]
	v_lshlrev_b64 v[68:69], 2, v[8:9]
	;; [unrolled: 1-line block ×3, first 2 shown]
	v_sub_nc_u32_e32 v13, v13, v15
	v_add_nc_u32_e32 v16, s0, v14
	v_ashrrev_i32_e32 v15, 31, v14
	v_lshlrev_b64 v[72:73], 2, v[2:3]
	v_mov_b32_e32 v24, 0
	v_mul_lo_u32 v103, v13, s6
	v_ashrrev_i32_e32 v13, 31, v12
	v_ashrrev_i32_e32 v17, 31, v16
	v_lshlrev_b64 v[76:77], 2, v[14:15]
	v_add_nc_u32_e32 v96, 0x1200, v95
	v_add_nc_u32_e32 v97, 0x2400, v95
	v_lshlrev_b64 v[74:75], 2, v[12:13]
	v_lshlrev_b64 v[78:79], 2, v[16:17]
	v_add_nc_u32_e32 v98, 0x3600, v95
	v_add_nc_u32_e32 v99, 0x6800, v1
	v_mul_u32_u24_e32 v100, 0x90, v0
	v_add_nc_u32_e32 v105, 0x1000, v102
	v_add_nc_u32_e32 v106, 0x2000, v102
	;; [unrolled: 1-line block ×3, first 2 shown]
	v_mov_b32_e32 v1, 0xfeffffff
	v_lshlrev_b32_e32 v108, 2, v18
	v_mov_b32_e32 v89, 32
	v_xor_b32_e32 v94, 16, v88
	v_xor_b32_e32 v93, 8, v88
	;; [unrolled: 1-line block ×5, first 2 shown]
	v_add_nc_u32_e32 v109, v104, v87
	v_lshlrev_b32_e32 v110, 2, v19
	v_mov_b32_e32 v111, 0x10001
	v_add_nc_u32_e32 v112, 0x800, v87
	v_add_nc_u32_e32 v113, 0x1000, v87
	;; [unrolled: 1-line block ×7, first 2 shown]
	v_mov_b32_e32 v25, 0
	v_mov_b32_e32 v26, 0
	;; [unrolled: 1-line block ×14, first 2 shown]
	s_add_u32 s22, s4, 0xd0
	s_addc_u32 s23, s5, 0
.LBB37_9:                               ; =>This Inner Loop Header: Depth=1
	v_cmp_gt_i32_e32 vcc_lo, 32, v94
	v_mov_b32_e32 v31, v2
	v_mov_b32_e32 v30, v3
	;; [unrolled: 1-line block ×3, first 2 shown]
	s_mul_hi_i32 s1, s26, s41
	v_cndmask_b32_e32 v2, v88, v94, vcc_lo
	v_cmp_gt_i32_e32 vcc_lo, 32, v93
	s_mul_i32 s0, s26, s41
	v_mov_b32_e32 v32, v1
	v_add_nc_u32_e32 v1, s26, v0
	s_lshl_b64 s[0:1], s[0:1], 2
	v_cndmask_b32_e32 v3, v88, v93, vcc_lo
	v_cmp_gt_i32_e32 vcc_lo, 32, v92
	s_mul_hi_i32 s3, s26, s27
	s_mul_i32 s2, s26, s27
	s_add_u32 s8, s43, s0
	s_addc_u32 s9, s46, s1
	v_cndmask_b32_e32 v4, v88, v92, vcc_lo
	v_cmp_gt_i32_e32 vcc_lo, 32, v91
	s_lshl_b64 s[6:7], s[2:3], 2
	v_mov_b32_e32 v55, v120
	v_mov_b32_e32 v60, v119
	v_lshlrev_b32_e32 v63, 2, v4
	v_cndmask_b32_e32 v5, v88, v91, vcc_lo
	v_cmp_gt_i32_e32 vcc_lo, 32, v90
	v_add_nc_u32_e32 v4, v1, v101
	v_lshlrev_b32_e32 v120, 2, v2
	v_lshlrev_b32_e32 v119, 2, v3
	v_add_co_u32 v10, s0, s8, v68
	v_cndmask_b32_e32 v6, v88, v90, vcc_lo
	v_add_co_u32 v3, vcc_lo, s8, v66
	v_add_co_u32 v13, s1, s8, v70
	v_lshlrev_b32_e32 v61, 2, v6
	v_add_nc_u32_e32 v6, v1, v103
	v_add_co_u32 v1, s2, s8, v64
	v_add_co_ci_u32_e64 v2, null, s9, v65, s2
	s_add_u32 s2, s21, s6
	v_add_co_ci_u32_e64 v8, null, s9, v67, vcc_lo
	v_add_co_ci_u32_e64 v12, null, s9, v69, s0
	v_add_co_ci_u32_e64 v14, null, s9, v71, s1
	s_addc_u32 s3, s36, s7
	v_add_co_u32 v17, vcc_lo, s2, v72
	v_add_co_u32 v18, s0, s2, v74
	v_add_co_u32 v45, s1, s2, v76
	;; [unrolled: 1-line block ×3, first 2 shown]
	v_add_co_ci_u32_e64 v50, null, s3, v79, s2
	v_add_co_u32 v19, s2, v1, v108
	v_add_co_ci_u32_e64 v47, null, s3, v73, vcc_lo
	v_add_co_u32 v9, vcc_lo, v3, v108
	v_add_co_ci_u32_e64 v48, null, s3, v75, s0
	v_add_co_u32 v11, s0, v10, v108
	v_add_co_ci_u32_e64 v20, null, 0, v2, s2
	v_add_co_ci_u32_e64 v49, null, s3, v77, s1
	v_add_co_u32 v15, s1, v13, v108
	v_add_co_ci_u32_e64 v10, null, 0, v8, vcc_lo
	v_add_co_ci_u32_e64 v12, null, 0, v12, s0
	v_add_co_ci_u32_e64 v16, null, 0, v14, s1
	v_mov_b32_e32 v53, v122
	v_mov_b32_e32 v54, v121
	s_clause 0x3
	global_load_dwordx4 v[121:124], v[19:20], off
	global_load_dwordx4 v[125:128], v[9:10], off
	;; [unrolled: 1-line block ×4, first 2 shown]
	v_lshlrev_b32_e32 v62, 2, v5
	v_ashrrev_i32_e32 v5, 31, v4
	s_or_b32 s6, s26, 64
	v_ashrrev_i32_e32 v7, 31, v6
	s_mul_hi_i32 s7, s6, s27
	s_mul_i32 s6, s6, s27
	v_add_co_u32 v1, vcc_lo, v17, v110
	s_lshl_b64 s[6:7], s[6:7], 2
	v_add_co_u32 v13, s1, v45, v110
	v_add_co_u32 v17, s2, v46, v110
	v_lshlrev_b64 v[45:46], 1, v[4:5]
	v_add_co_u32 v3, s0, v18, v110
	s_add_u32 s3, s21, s6
	v_lshlrev_b64 v[5:6], 1, v[6:7]
	v_add_co_ci_u32_e64 v2, null, 0, v47, vcc_lo
	v_add_co_ci_u32_e64 v4, null, 0, v48, s0
	s_addc_u32 s6, s36, s7
	v_add_co_u32 v48, vcc_lo, s3, v72
	v_add_co_ci_u32_e64 v14, null, 0, v49, s1
	v_add_co_ci_u32_e64 v18, null, 0, v50, s2
	v_add_co_u32 v47, s0, s3, v74
	v_add_co_u32 v50, s1, s3, v76
	;; [unrolled: 1-line block ×3, first 2 shown]
	v_add_co_ci_u32_e64 v52, null, s6, v73, vcc_lo
	v_add_co_u32 v7, vcc_lo, s44, v45
	v_add_co_ci_u32_e64 v137, null, s6, v75, s0
	v_add_co_ci_u32_e64 v138, null, s6, v77, s1
	;; [unrolled: 1-line block ×3, first 2 shown]
	v_add_co_ci_u32_e64 v8, null, s45, v46, vcc_lo
	v_add_co_u32 v5, vcc_lo, s44, v5
	v_add_co_ci_u32_e64 v6, null, s45, v6, vcc_lo
	v_add_co_u32 v49, vcc_lo, v47, v110
	v_add_co_u32 v47, s0, v50, v110
	v_add_co_u32 v45, s1, v51, v110
	;; [unrolled: 1-line block ×3, first 2 shown]
	v_add_co_ci_u32_e64 v50, null, 0, v137, vcc_lo
	v_add_co_ci_u32_e64 v48, null, 0, v138, s0
	v_add_co_ci_u32_e64 v46, null, 0, v139, s1
	v_mov_b32_e32 v33, 0
	v_mov_b32_e32 v34, 0
	;; [unrolled: 1-line block ×16, first 2 shown]
	v_add_co_ci_u32_e64 v52, null, 0, v52, s2
	s_waitcnt vmcnt(3)
	ds_write_b128 v95, v[121:124]
	s_waitcnt vmcnt(2)
	ds_write_b128 v96, v[125:128]
	;; [unrolled: 2-line block ×4, first 2 shown]
	s_waitcnt lgkmcnt(0)
	s_barrier
	buffer_gl0_inv
	ds_read_b128 v[121:124], v100
	ds_read_b128 v[125:128], v99
	ds_read_b128 v[129:132], v99 offset:256
	ds_read_b128 v[133:136], v99 offset:512
	;; [unrolled: 1-line block ×6, first 2 shown]
	s_waitcnt lgkmcnt(6)
	;;#ASMSTART
	v_dot2_f32_f16 v33, v121, v125, v33
	;;#ASMEND
	;;#ASMSTART
	v_dot2_f32_f16 v33, v122, v126, v33
	;;#ASMEND
	;;#ASMSTART
	v_dot2_f32_f16 v33, v123, v127, v33
	;;#ASMEND
	;;#ASMSTART
	v_dot2_f32_f16 v33, v124, v128, v33
	;;#ASMEND
	s_waitcnt lgkmcnt(5)
	;;#ASMSTART
	v_dot2_f32_f16 v34, v121, v129, v34
	;;#ASMEND
	;;#ASMSTART
	v_dot2_f32_f16 v34, v122, v130, v34
	;;#ASMEND
	;;#ASMSTART
	v_dot2_f32_f16 v34, v123, v131, v34
	;;#ASMEND
	;;#ASMSTART
	v_dot2_f32_f16 v34, v124, v132, v34
	;;#ASMEND
	;; [unrolled: 13-line block ×5, first 2 shown]
	;;#ASMSTART
	v_dot2_f32_f16 v38, v141, v129, v38
	;;#ASMEND
	;;#ASMSTART
	v_dot2_f32_f16 v38, v142, v130, v38
	;;#ASMEND
	;; [unrolled: 3-line block ×12, first 2 shown]
	s_waitcnt lgkmcnt(1)
	;;#ASMSTART
	v_dot2_f32_f16 v41, v145, v125, v41
	;;#ASMEND
	;;#ASMSTART
	v_dot2_f32_f16 v41, v146, v126, v41
	;;#ASMEND
	;; [unrolled: 3-line block ×16, first 2 shown]
	s_waitcnt lgkmcnt(0)
	;;#ASMSTART
	v_dot2_f32_f16 v56, v149, v125, v56
	;;#ASMEND
	;;#ASMSTART
	v_dot2_f32_f16 v56, v150, v126, v56
	;;#ASMEND
	;; [unrolled: 3-line block ×16, first 2 shown]
	ds_read_b128 v[121:124], v100 offset:16
	ds_read_b128 v[125:128], v99 offset:16
	;; [unrolled: 1-line block ×8, first 2 shown]
	s_waitcnt lgkmcnt(6)
	;;#ASMSTART
	v_dot2_f32_f16 v33, v121, v125, v33
	;;#ASMEND
	;;#ASMSTART
	v_dot2_f32_f16 v33, v122, v126, v33
	;;#ASMEND
	;;#ASMSTART
	v_dot2_f32_f16 v33, v123, v127, v33
	;;#ASMEND
	;;#ASMSTART
	v_dot2_f32_f16 v33, v124, v128, v33
	;;#ASMEND
	s_waitcnt lgkmcnt(5)
	;;#ASMSTART
	v_dot2_f32_f16 v34, v121, v129, v34
	;;#ASMEND
	;;#ASMSTART
	v_dot2_f32_f16 v34, v122, v130, v34
	;;#ASMEND
	;;#ASMSTART
	v_dot2_f32_f16 v34, v123, v131, v34
	;;#ASMEND
	;;#ASMSTART
	v_dot2_f32_f16 v34, v124, v132, v34
	;;#ASMEND
	;; [unrolled: 13-line block ×5, first 2 shown]
	;;#ASMSTART
	v_dot2_f32_f16 v38, v141, v129, v38
	;;#ASMEND
	;;#ASMSTART
	v_dot2_f32_f16 v38, v142, v130, v38
	;;#ASMEND
	;; [unrolled: 3-line block ×12, first 2 shown]
	s_waitcnt lgkmcnt(1)
	;;#ASMSTART
	v_dot2_f32_f16 v41, v145, v125, v41
	;;#ASMEND
	;;#ASMSTART
	v_dot2_f32_f16 v41, v146, v126, v41
	;;#ASMEND
	;; [unrolled: 3-line block ×16, first 2 shown]
	s_waitcnt lgkmcnt(0)
	;;#ASMSTART
	v_dot2_f32_f16 v56, v149, v125, v56
	;;#ASMEND
	;;#ASMSTART
	v_dot2_f32_f16 v56, v150, v126, v56
	;;#ASMEND
	;; [unrolled: 3-line block ×16, first 2 shown]
	ds_read_b128 v[121:124], v100 offset:32
	ds_read_b128 v[125:128], v99 offset:32
	;; [unrolled: 1-line block ×8, first 2 shown]
	s_waitcnt lgkmcnt(6)
	;;#ASMSTART
	v_dot2_f32_f16 v33, v121, v125, v33
	;;#ASMEND
	;;#ASMSTART
	v_dot2_f32_f16 v33, v122, v126, v33
	;;#ASMEND
	;;#ASMSTART
	v_dot2_f32_f16 v33, v123, v127, v33
	;;#ASMEND
	;;#ASMSTART
	v_dot2_f32_f16 v33, v124, v128, v33
	;;#ASMEND
	s_waitcnt lgkmcnt(5)
	;;#ASMSTART
	v_dot2_f32_f16 v34, v121, v129, v34
	;;#ASMEND
	;;#ASMSTART
	v_dot2_f32_f16 v34, v122, v130, v34
	;;#ASMEND
	;;#ASMSTART
	v_dot2_f32_f16 v34, v123, v131, v34
	;;#ASMEND
	;;#ASMSTART
	v_dot2_f32_f16 v34, v124, v132, v34
	;;#ASMEND
	;; [unrolled: 13-line block ×5, first 2 shown]
	;;#ASMSTART
	v_dot2_f32_f16 v38, v141, v129, v38
	;;#ASMEND
	;;#ASMSTART
	v_dot2_f32_f16 v38, v142, v130, v38
	;;#ASMEND
	;;#ASMSTART
	v_dot2_f32_f16 v38, v143, v131, v38
	;;#ASMEND
	;;#ASMSTART
	v_dot2_f32_f16 v38, v144, v132, v38
	;;#ASMEND
	;;#ASMSTART
	v_dot2_f32_f16 v39, v141, v133, v39
	;;#ASMEND
	;;#ASMSTART
	v_dot2_f32_f16 v39, v142, v134, v39
	;;#ASMEND
	;;#ASMSTART
	v_dot2_f32_f16 v39, v143, v135, v39
	;;#ASMEND
	;;#ASMSTART
	v_dot2_f32_f16 v39, v144, v136, v39
	;;#ASMEND
	;;#ASMSTART
	v_dot2_f32_f16 v40, v141, v137, v40
	;;#ASMEND
	;;#ASMSTART
	v_dot2_f32_f16 v40, v142, v138, v40
	;;#ASMEND
	;;#ASMSTART
	v_dot2_f32_f16 v40, v143, v139, v40
	;;#ASMEND
	;;#ASMSTART
	v_dot2_f32_f16 v40, v144, v140, v40
	;;#ASMEND
	s_waitcnt lgkmcnt(1)
	;;#ASMSTART
	v_dot2_f32_f16 v41, v145, v125, v41
	;;#ASMEND
	;;#ASMSTART
	v_dot2_f32_f16 v41, v146, v126, v41
	;;#ASMEND
	;; [unrolled: 3-line block ×16, first 2 shown]
	s_waitcnt lgkmcnt(0)
	;;#ASMSTART
	v_dot2_f32_f16 v56, v149, v125, v56
	;;#ASMEND
	;;#ASMSTART
	v_dot2_f32_f16 v56, v150, v126, v56
	;;#ASMEND
	;; [unrolled: 3-line block ×16, first 2 shown]
	ds_read_b128 v[121:124], v100 offset:48
	ds_read_b128 v[125:128], v99 offset:48
	;; [unrolled: 1-line block ×8, first 2 shown]
	s_waitcnt lgkmcnt(6)
	;;#ASMSTART
	v_dot2_f32_f16 v33, v121, v125, v33
	;;#ASMEND
	;;#ASMSTART
	v_dot2_f32_f16 v33, v122, v126, v33
	;;#ASMEND
	;;#ASMSTART
	v_dot2_f32_f16 v33, v123, v127, v33
	;;#ASMEND
	;;#ASMSTART
	v_dot2_f32_f16 v33, v124, v128, v33
	;;#ASMEND
	s_waitcnt lgkmcnt(5)
	;;#ASMSTART
	v_dot2_f32_f16 v34, v121, v129, v34
	;;#ASMEND
	;;#ASMSTART
	v_dot2_f32_f16 v34, v122, v130, v34
	;;#ASMEND
	;;#ASMSTART
	v_dot2_f32_f16 v34, v123, v131, v34
	;;#ASMEND
	;;#ASMSTART
	v_dot2_f32_f16 v34, v124, v132, v34
	;;#ASMEND
	;; [unrolled: 13-line block ×5, first 2 shown]
	;;#ASMSTART
	v_dot2_f32_f16 v38, v141, v129, v38
	;;#ASMEND
	;;#ASMSTART
	v_dot2_f32_f16 v38, v142, v130, v38
	;;#ASMEND
	;; [unrolled: 3-line block ×12, first 2 shown]
	s_waitcnt lgkmcnt(1)
	;;#ASMSTART
	v_dot2_f32_f16 v41, v145, v125, v41
	;;#ASMEND
	;;#ASMSTART
	v_dot2_f32_f16 v41, v146, v126, v41
	;;#ASMEND
	;; [unrolled: 3-line block ×16, first 2 shown]
	s_waitcnt lgkmcnt(0)
	;;#ASMSTART
	v_dot2_f32_f16 v56, v149, v125, v56
	;;#ASMEND
	;;#ASMSTART
	v_dot2_f32_f16 v56, v150, v126, v56
	;;#ASMEND
	;; [unrolled: 3-line block ×16, first 2 shown]
	ds_read_b128 v[121:124], v100 offset:64
	ds_read_b128 v[125:128], v99 offset:64
	ds_read_b128 v[129:132], v99 offset:320
	ds_read_b128 v[133:136], v99 offset:576
	ds_read_b128 v[137:140], v99 offset:832
	ds_read_b128 v[141:144], v100 offset:4672
	ds_read_b128 v[145:148], v100 offset:9280
	ds_read_b128 v[149:152], v100 offset:13888
	s_waitcnt lgkmcnt(6)
	;;#ASMSTART
	v_dot2_f32_f16 v33, v121, v125, v33
	;;#ASMEND
	;;#ASMSTART
	v_dot2_f32_f16 v33, v122, v126, v33
	;;#ASMEND
	;;#ASMSTART
	v_dot2_f32_f16 v33, v123, v127, v33
	;;#ASMEND
	;;#ASMSTART
	v_dot2_f32_f16 v33, v124, v128, v33
	;;#ASMEND
	s_waitcnt lgkmcnt(5)
	;;#ASMSTART
	v_dot2_f32_f16 v34, v121, v129, v34
	;;#ASMEND
	;;#ASMSTART
	v_dot2_f32_f16 v34, v122, v130, v34
	;;#ASMEND
	;;#ASMSTART
	v_dot2_f32_f16 v34, v123, v131, v34
	;;#ASMEND
	;;#ASMSTART
	v_dot2_f32_f16 v34, v124, v132, v34
	;;#ASMEND
	;; [unrolled: 13-line block ×5, first 2 shown]
	;;#ASMSTART
	v_dot2_f32_f16 v38, v141, v129, v38
	;;#ASMEND
	;;#ASMSTART
	v_dot2_f32_f16 v38, v142, v130, v38
	;;#ASMEND
	;;#ASMSTART
	v_dot2_f32_f16 v38, v143, v131, v38
	;;#ASMEND
	;;#ASMSTART
	v_dot2_f32_f16 v38, v144, v132, v38
	;;#ASMEND
	;;#ASMSTART
	v_dot2_f32_f16 v39, v141, v133, v39
	;;#ASMEND
	;;#ASMSTART
	v_dot2_f32_f16 v39, v142, v134, v39
	;;#ASMEND
	;;#ASMSTART
	v_dot2_f32_f16 v39, v143, v135, v39
	;;#ASMEND
	;;#ASMSTART
	v_dot2_f32_f16 v39, v144, v136, v39
	;;#ASMEND
	;;#ASMSTART
	v_dot2_f32_f16 v40, v141, v137, v40
	;;#ASMEND
	;;#ASMSTART
	v_dot2_f32_f16 v40, v142, v138, v40
	;;#ASMEND
	;;#ASMSTART
	v_dot2_f32_f16 v40, v143, v139, v40
	;;#ASMEND
	;;#ASMSTART
	v_dot2_f32_f16 v40, v144, v140, v40
	;;#ASMEND
	s_waitcnt lgkmcnt(1)
	;;#ASMSTART
	v_dot2_f32_f16 v41, v145, v125, v41
	;;#ASMEND
	;;#ASMSTART
	v_dot2_f32_f16 v41, v146, v126, v41
	;;#ASMEND
	;; [unrolled: 3-line block ×16, first 2 shown]
	s_waitcnt lgkmcnt(0)
	;;#ASMSTART
	v_dot2_f32_f16 v56, v149, v125, v56
	;;#ASMEND
	;;#ASMSTART
	v_dot2_f32_f16 v56, v150, v126, v56
	;;#ASMEND
	;; [unrolled: 3-line block ×16, first 2 shown]
	ds_read_b128 v[121:124], v100 offset:80
	ds_read_b128 v[125:128], v99 offset:80
	;; [unrolled: 1-line block ×8, first 2 shown]
	s_waitcnt lgkmcnt(6)
	;;#ASMSTART
	v_dot2_f32_f16 v33, v121, v125, v33
	;;#ASMEND
	;;#ASMSTART
	v_dot2_f32_f16 v33, v122, v126, v33
	;;#ASMEND
	;;#ASMSTART
	v_dot2_f32_f16 v33, v123, v127, v33
	;;#ASMEND
	;;#ASMSTART
	v_dot2_f32_f16 v33, v124, v128, v33
	;;#ASMEND
	s_waitcnt lgkmcnt(5)
	;;#ASMSTART
	v_dot2_f32_f16 v34, v121, v129, v34
	;;#ASMEND
	;;#ASMSTART
	v_dot2_f32_f16 v34, v122, v130, v34
	;;#ASMEND
	;;#ASMSTART
	v_dot2_f32_f16 v34, v123, v131, v34
	;;#ASMEND
	;;#ASMSTART
	v_dot2_f32_f16 v34, v124, v132, v34
	;;#ASMEND
	;; [unrolled: 13-line block ×5, first 2 shown]
	;;#ASMSTART
	v_dot2_f32_f16 v38, v141, v129, v38
	;;#ASMEND
	;;#ASMSTART
	v_dot2_f32_f16 v38, v142, v130, v38
	;;#ASMEND
	;; [unrolled: 3-line block ×12, first 2 shown]
	s_waitcnt lgkmcnt(1)
	;;#ASMSTART
	v_dot2_f32_f16 v41, v145, v125, v41
	;;#ASMEND
	;;#ASMSTART
	v_dot2_f32_f16 v41, v146, v126, v41
	;;#ASMEND
	;; [unrolled: 3-line block ×16, first 2 shown]
	s_waitcnt lgkmcnt(0)
	;;#ASMSTART
	v_dot2_f32_f16 v56, v149, v125, v56
	;;#ASMEND
	;;#ASMSTART
	v_dot2_f32_f16 v56, v150, v126, v56
	;;#ASMEND
	;;#ASMSTART
	v_dot2_f32_f16 v56, v151, v127, v56
	;;#ASMEND
	;;#ASMSTART
	v_dot2_f32_f16 v56, v152, v128, v56
	;;#ASMEND
	;;#ASMSTART
	v_dot2_f32_f16 v57, v149, v129, v57
	;;#ASMEND
	;;#ASMSTART
	v_dot2_f32_f16 v57, v150, v130, v57
	;;#ASMEND
	;;#ASMSTART
	v_dot2_f32_f16 v57, v151, v131, v57
	;;#ASMEND
	;;#ASMSTART
	v_dot2_f32_f16 v57, v152, v132, v57
	;;#ASMEND
	;;#ASMSTART
	v_dot2_f32_f16 v58, v149, v133, v58
	;;#ASMEND
	;;#ASMSTART
	v_dot2_f32_f16 v58, v150, v134, v58
	;;#ASMEND
	;;#ASMSTART
	v_dot2_f32_f16 v58, v151, v135, v58
	;;#ASMEND
	;;#ASMSTART
	v_dot2_f32_f16 v58, v152, v136, v58
	;;#ASMEND
	;;#ASMSTART
	v_dot2_f32_f16 v59, v149, v137, v59
	;;#ASMEND
	;;#ASMSTART
	v_dot2_f32_f16 v59, v150, v138, v59
	;;#ASMEND
	;;#ASMSTART
	v_dot2_f32_f16 v59, v151, v139, v59
	;;#ASMEND
	;;#ASMSTART
	v_dot2_f32_f16 v59, v152, v140, v59
	;;#ASMEND
	ds_read_b128 v[121:124], v100 offset:96
	ds_read_b128 v[125:128], v99 offset:96
	;; [unrolled: 1-line block ×8, first 2 shown]
	s_waitcnt lgkmcnt(6)
	;;#ASMSTART
	v_dot2_f32_f16 v33, v121, v125, v33
	;;#ASMEND
	;;#ASMSTART
	v_dot2_f32_f16 v33, v122, v126, v33
	;;#ASMEND
	;;#ASMSTART
	v_dot2_f32_f16 v33, v123, v127, v33
	;;#ASMEND
	;;#ASMSTART
	v_dot2_f32_f16 v33, v124, v128, v33
	;;#ASMEND
	s_waitcnt lgkmcnt(5)
	;;#ASMSTART
	v_dot2_f32_f16 v34, v121, v129, v34
	;;#ASMEND
	;;#ASMSTART
	v_dot2_f32_f16 v34, v122, v130, v34
	;;#ASMEND
	;;#ASMSTART
	v_dot2_f32_f16 v34, v123, v131, v34
	;;#ASMEND
	;;#ASMSTART
	v_dot2_f32_f16 v34, v124, v132, v34
	;;#ASMEND
	;; [unrolled: 13-line block ×5, first 2 shown]
	;;#ASMSTART
	v_dot2_f32_f16 v38, v141, v129, v38
	;;#ASMEND
	;;#ASMSTART
	v_dot2_f32_f16 v38, v142, v130, v38
	;;#ASMEND
	;;#ASMSTART
	v_dot2_f32_f16 v38, v143, v131, v38
	;;#ASMEND
	;;#ASMSTART
	v_dot2_f32_f16 v38, v144, v132, v38
	;;#ASMEND
	;;#ASMSTART
	v_dot2_f32_f16 v39, v141, v133, v39
	;;#ASMEND
	;;#ASMSTART
	v_dot2_f32_f16 v39, v142, v134, v39
	;;#ASMEND
	;;#ASMSTART
	v_dot2_f32_f16 v39, v143, v135, v39
	;;#ASMEND
	;;#ASMSTART
	v_dot2_f32_f16 v39, v144, v136, v39
	;;#ASMEND
	;;#ASMSTART
	v_dot2_f32_f16 v40, v141, v137, v40
	;;#ASMEND
	;;#ASMSTART
	v_dot2_f32_f16 v40, v142, v138, v40
	;;#ASMEND
	;;#ASMSTART
	v_dot2_f32_f16 v40, v143, v139, v40
	;;#ASMEND
	;;#ASMSTART
	v_dot2_f32_f16 v40, v144, v140, v40
	;;#ASMEND
	s_waitcnt lgkmcnt(1)
	;;#ASMSTART
	v_dot2_f32_f16 v41, v145, v125, v41
	;;#ASMEND
	;;#ASMSTART
	v_dot2_f32_f16 v41, v146, v126, v41
	;;#ASMEND
	;; [unrolled: 3-line block ×16, first 2 shown]
	s_waitcnt lgkmcnt(0)
	;;#ASMSTART
	v_dot2_f32_f16 v56, v149, v125, v56
	;;#ASMEND
	;;#ASMSTART
	v_dot2_f32_f16 v56, v150, v126, v56
	;;#ASMEND
	;; [unrolled: 3-line block ×16, first 2 shown]
	ds_read_b128 v[121:124], v100 offset:112
	ds_read_b128 v[125:128], v99 offset:112
	;; [unrolled: 1-line block ×8, first 2 shown]
	s_waitcnt lgkmcnt(6)
	;;#ASMSTART
	v_dot2_f32_f16 v33, v121, v125, v33
	;;#ASMEND
	;;#ASMSTART
	v_dot2_f32_f16 v33, v122, v126, v33
	;;#ASMEND
	;;#ASMSTART
	v_dot2_f32_f16 v33, v123, v127, v33
	;;#ASMEND
	;;#ASMSTART
	v_dot2_f32_f16 v33, v124, v128, v33
	;;#ASMEND
	s_waitcnt lgkmcnt(5)
	;;#ASMSTART
	v_dot2_f32_f16 v34, v121, v129, v34
	;;#ASMEND
	;;#ASMSTART
	v_dot2_f32_f16 v34, v122, v130, v34
	;;#ASMEND
	;;#ASMSTART
	v_dot2_f32_f16 v34, v123, v131, v34
	;;#ASMEND
	;;#ASMSTART
	v_dot2_f32_f16 v34, v124, v132, v34
	;;#ASMEND
	;; [unrolled: 13-line block ×5, first 2 shown]
	;;#ASMSTART
	v_dot2_f32_f16 v38, v141, v129, v38
	;;#ASMEND
	;;#ASMSTART
	v_dot2_f32_f16 v38, v142, v130, v38
	;;#ASMEND
	;; [unrolled: 3-line block ×12, first 2 shown]
	s_waitcnt lgkmcnt(1)
	;;#ASMSTART
	v_dot2_f32_f16 v41, v145, v125, v41
	;;#ASMEND
	;;#ASMSTART
	v_dot2_f32_f16 v41, v146, v126, v41
	;;#ASMEND
	;; [unrolled: 3-line block ×16, first 2 shown]
	s_waitcnt lgkmcnt(0)
	;;#ASMSTART
	v_dot2_f32_f16 v56, v149, v125, v56
	;;#ASMEND
	;;#ASMSTART
	v_dot2_f32_f16 v56, v150, v126, v56
	;;#ASMEND
	;; [unrolled: 3-line block ×16, first 2 shown]
	s_barrier
	buffer_gl0_inv
	s_clause 0x3
	global_load_dwordx4 v[121:124], v[19:20], off offset:128
	global_load_dwordx4 v[125:128], v[9:10], off offset:128
	;; [unrolled: 1-line block ×4, first 2 shown]
	s_waitcnt vmcnt(3)
	ds_write_b128 v95, v[121:124]
	s_waitcnt vmcnt(2)
	ds_write_b128 v96, v[125:128]
	;; [unrolled: 2-line block ×4, first 2 shown]
	s_waitcnt lgkmcnt(0)
	s_barrier
	buffer_gl0_inv
	ds_read_b128 v[9:12], v100
	ds_read_b128 v[121:124], v99 offset:128
	ds_read_b128 v[125:128], v99 offset:384
	;; [unrolled: 1-line block ×7, first 2 shown]
	s_waitcnt lgkmcnt(6)
	;;#ASMSTART
	v_dot2_f32_f16 v33, v9, v121, v33
	;;#ASMEND
	;;#ASMSTART
	v_dot2_f32_f16 v33, v10, v122, v33
	;;#ASMEND
	;;#ASMSTART
	v_dot2_f32_f16 v33, v11, v123, v33
	;;#ASMEND
	;;#ASMSTART
	v_dot2_f32_f16 v33, v12, v124, v33
	;;#ASMEND
	s_waitcnt lgkmcnt(5)
	;;#ASMSTART
	v_dot2_f32_f16 v34, v9, v125, v34
	;;#ASMEND
	;;#ASMSTART
	v_dot2_f32_f16 v34, v10, v126, v34
	;;#ASMEND
	;;#ASMSTART
	v_dot2_f32_f16 v34, v11, v127, v34
	;;#ASMEND
	;;#ASMSTART
	v_dot2_f32_f16 v34, v12, v128, v34
	;;#ASMEND
	;; [unrolled: 13-line block ×5, first 2 shown]
	;;#ASMSTART
	v_dot2_f32_f16 v38, v137, v125, v38
	;;#ASMEND
	;;#ASMSTART
	v_dot2_f32_f16 v38, v138, v126, v38
	;;#ASMEND
	;; [unrolled: 3-line block ×12, first 2 shown]
	s_waitcnt lgkmcnt(1)
	;;#ASMSTART
	v_dot2_f32_f16 v41, v141, v121, v41
	;;#ASMEND
	;;#ASMSTART
	v_dot2_f32_f16 v41, v142, v122, v41
	;;#ASMEND
	;; [unrolled: 3-line block ×16, first 2 shown]
	s_waitcnt lgkmcnt(0)
	;;#ASMSTART
	v_dot2_f32_f16 v56, v145, v121, v56
	;;#ASMEND
	;;#ASMSTART
	v_dot2_f32_f16 v56, v146, v122, v56
	;;#ASMEND
	;; [unrolled: 3-line block ×16, first 2 shown]
	ds_read_b128 v[9:12], v100 offset:16
	ds_read_b128 v[121:124], v99 offset:144
	;; [unrolled: 1-line block ×8, first 2 shown]
	s_waitcnt lgkmcnt(6)
	;;#ASMSTART
	v_dot2_f32_f16 v33, v9, v121, v33
	;;#ASMEND
	;;#ASMSTART
	v_dot2_f32_f16 v33, v10, v122, v33
	;;#ASMEND
	;;#ASMSTART
	v_dot2_f32_f16 v33, v11, v123, v33
	;;#ASMEND
	;;#ASMSTART
	v_dot2_f32_f16 v33, v12, v124, v33
	;;#ASMEND
	s_waitcnt lgkmcnt(5)
	;;#ASMSTART
	v_dot2_f32_f16 v34, v9, v125, v34
	;;#ASMEND
	;;#ASMSTART
	v_dot2_f32_f16 v34, v10, v126, v34
	;;#ASMEND
	;;#ASMSTART
	v_dot2_f32_f16 v34, v11, v127, v34
	;;#ASMEND
	;;#ASMSTART
	v_dot2_f32_f16 v34, v12, v128, v34
	;;#ASMEND
	;; [unrolled: 13-line block ×5, first 2 shown]
	;;#ASMSTART
	v_dot2_f32_f16 v38, v137, v125, v38
	;;#ASMEND
	;;#ASMSTART
	v_dot2_f32_f16 v38, v138, v126, v38
	;;#ASMEND
	;; [unrolled: 3-line block ×12, first 2 shown]
	s_waitcnt lgkmcnt(1)
	;;#ASMSTART
	v_dot2_f32_f16 v41, v141, v121, v41
	;;#ASMEND
	;;#ASMSTART
	v_dot2_f32_f16 v41, v142, v122, v41
	;;#ASMEND
	;; [unrolled: 3-line block ×16, first 2 shown]
	s_waitcnt lgkmcnt(0)
	;;#ASMSTART
	v_dot2_f32_f16 v56, v145, v121, v56
	;;#ASMEND
	;;#ASMSTART
	v_dot2_f32_f16 v56, v146, v122, v56
	;;#ASMEND
	;; [unrolled: 3-line block ×16, first 2 shown]
	ds_read_b128 v[9:12], v100 offset:32
	ds_read_b128 v[121:124], v99 offset:160
	;; [unrolled: 1-line block ×8, first 2 shown]
	s_waitcnt lgkmcnt(6)
	;;#ASMSTART
	v_dot2_f32_f16 v33, v9, v121, v33
	;;#ASMEND
	;;#ASMSTART
	v_dot2_f32_f16 v33, v10, v122, v33
	;;#ASMEND
	;;#ASMSTART
	v_dot2_f32_f16 v33, v11, v123, v33
	;;#ASMEND
	;;#ASMSTART
	v_dot2_f32_f16 v33, v12, v124, v33
	;;#ASMEND
	s_waitcnt lgkmcnt(5)
	;;#ASMSTART
	v_dot2_f32_f16 v34, v9, v125, v34
	;;#ASMEND
	;;#ASMSTART
	v_dot2_f32_f16 v34, v10, v126, v34
	;;#ASMEND
	;;#ASMSTART
	v_dot2_f32_f16 v34, v11, v127, v34
	;;#ASMEND
	;;#ASMSTART
	v_dot2_f32_f16 v34, v12, v128, v34
	;;#ASMEND
	;; [unrolled: 13-line block ×5, first 2 shown]
	;;#ASMSTART
	v_dot2_f32_f16 v38, v137, v125, v38
	;;#ASMEND
	;;#ASMSTART
	v_dot2_f32_f16 v38, v138, v126, v38
	;;#ASMEND
	;; [unrolled: 3-line block ×12, first 2 shown]
	s_waitcnt lgkmcnt(1)
	;;#ASMSTART
	v_dot2_f32_f16 v41, v141, v121, v41
	;;#ASMEND
	;;#ASMSTART
	v_dot2_f32_f16 v41, v142, v122, v41
	;;#ASMEND
	;; [unrolled: 3-line block ×16, first 2 shown]
	s_waitcnt lgkmcnt(0)
	;;#ASMSTART
	v_dot2_f32_f16 v56, v145, v121, v56
	;;#ASMEND
	;;#ASMSTART
	v_dot2_f32_f16 v56, v146, v122, v56
	;;#ASMEND
	;; [unrolled: 3-line block ×16, first 2 shown]
	ds_read_b128 v[9:12], v100 offset:48
	ds_read_b128 v[121:124], v99 offset:176
	;; [unrolled: 1-line block ×8, first 2 shown]
	s_waitcnt lgkmcnt(6)
	;;#ASMSTART
	v_dot2_f32_f16 v33, v9, v121, v33
	;;#ASMEND
	;;#ASMSTART
	v_dot2_f32_f16 v33, v10, v122, v33
	;;#ASMEND
	;;#ASMSTART
	v_dot2_f32_f16 v33, v11, v123, v33
	;;#ASMEND
	;;#ASMSTART
	v_dot2_f32_f16 v33, v12, v124, v33
	;;#ASMEND
	s_waitcnt lgkmcnt(5)
	;;#ASMSTART
	v_dot2_f32_f16 v34, v9, v125, v34
	;;#ASMEND
	;;#ASMSTART
	v_dot2_f32_f16 v34, v10, v126, v34
	;;#ASMEND
	;;#ASMSTART
	v_dot2_f32_f16 v34, v11, v127, v34
	;;#ASMEND
	;;#ASMSTART
	v_dot2_f32_f16 v34, v12, v128, v34
	;;#ASMEND
	;; [unrolled: 13-line block ×5, first 2 shown]
	;;#ASMSTART
	v_dot2_f32_f16 v38, v137, v125, v38
	;;#ASMEND
	;;#ASMSTART
	v_dot2_f32_f16 v38, v138, v126, v38
	;;#ASMEND
	;; [unrolled: 3-line block ×12, first 2 shown]
	s_waitcnt lgkmcnt(1)
	;;#ASMSTART
	v_dot2_f32_f16 v41, v141, v121, v41
	;;#ASMEND
	;;#ASMSTART
	v_dot2_f32_f16 v41, v142, v122, v41
	;;#ASMEND
	;; [unrolled: 3-line block ×16, first 2 shown]
	s_waitcnt lgkmcnt(0)
	;;#ASMSTART
	v_dot2_f32_f16 v56, v145, v121, v56
	;;#ASMEND
	;;#ASMSTART
	v_dot2_f32_f16 v56, v146, v122, v56
	;;#ASMEND
	;; [unrolled: 3-line block ×16, first 2 shown]
	ds_read_b128 v[9:12], v100 offset:64
	ds_read_b128 v[121:124], v99 offset:192
	;; [unrolled: 1-line block ×8, first 2 shown]
	s_waitcnt lgkmcnt(6)
	;;#ASMSTART
	v_dot2_f32_f16 v33, v9, v121, v33
	;;#ASMEND
	;;#ASMSTART
	v_dot2_f32_f16 v33, v10, v122, v33
	;;#ASMEND
	;;#ASMSTART
	v_dot2_f32_f16 v33, v11, v123, v33
	;;#ASMEND
	;;#ASMSTART
	v_dot2_f32_f16 v33, v12, v124, v33
	;;#ASMEND
	s_waitcnt lgkmcnt(5)
	;;#ASMSTART
	v_dot2_f32_f16 v34, v9, v125, v34
	;;#ASMEND
	;;#ASMSTART
	v_dot2_f32_f16 v34, v10, v126, v34
	;;#ASMEND
	;;#ASMSTART
	v_dot2_f32_f16 v34, v11, v127, v34
	;;#ASMEND
	;;#ASMSTART
	v_dot2_f32_f16 v34, v12, v128, v34
	;;#ASMEND
	;; [unrolled: 13-line block ×5, first 2 shown]
	;;#ASMSTART
	v_dot2_f32_f16 v38, v137, v125, v38
	;;#ASMEND
	;;#ASMSTART
	v_dot2_f32_f16 v38, v138, v126, v38
	;;#ASMEND
	;; [unrolled: 3-line block ×12, first 2 shown]
	s_waitcnt lgkmcnt(1)
	;;#ASMSTART
	v_dot2_f32_f16 v41, v141, v121, v41
	;;#ASMEND
	;;#ASMSTART
	v_dot2_f32_f16 v41, v142, v122, v41
	;;#ASMEND
	;; [unrolled: 3-line block ×16, first 2 shown]
	s_waitcnt lgkmcnt(0)
	;;#ASMSTART
	v_dot2_f32_f16 v56, v145, v121, v56
	;;#ASMEND
	;;#ASMSTART
	v_dot2_f32_f16 v56, v146, v122, v56
	;;#ASMEND
	;; [unrolled: 3-line block ×16, first 2 shown]
	ds_read_b128 v[9:12], v100 offset:80
	ds_read_b128 v[121:124], v99 offset:208
	;; [unrolled: 1-line block ×8, first 2 shown]
	s_waitcnt lgkmcnt(6)
	;;#ASMSTART
	v_dot2_f32_f16 v33, v9, v121, v33
	;;#ASMEND
	;;#ASMSTART
	v_dot2_f32_f16 v33, v10, v122, v33
	;;#ASMEND
	;;#ASMSTART
	v_dot2_f32_f16 v33, v11, v123, v33
	;;#ASMEND
	;;#ASMSTART
	v_dot2_f32_f16 v33, v12, v124, v33
	;;#ASMEND
	s_waitcnt lgkmcnt(5)
	;;#ASMSTART
	v_dot2_f32_f16 v34, v9, v125, v34
	;;#ASMEND
	;;#ASMSTART
	v_dot2_f32_f16 v34, v10, v126, v34
	;;#ASMEND
	;;#ASMSTART
	v_dot2_f32_f16 v34, v11, v127, v34
	;;#ASMEND
	;;#ASMSTART
	v_dot2_f32_f16 v34, v12, v128, v34
	;;#ASMEND
	;; [unrolled: 13-line block ×5, first 2 shown]
	;;#ASMSTART
	v_dot2_f32_f16 v38, v137, v125, v38
	;;#ASMEND
	;;#ASMSTART
	v_dot2_f32_f16 v38, v138, v126, v38
	;;#ASMEND
	;; [unrolled: 3-line block ×12, first 2 shown]
	s_waitcnt lgkmcnt(1)
	;;#ASMSTART
	v_dot2_f32_f16 v41, v141, v121, v41
	;;#ASMEND
	;;#ASMSTART
	v_dot2_f32_f16 v41, v142, v122, v41
	;;#ASMEND
	;;#ASMSTART
	v_dot2_f32_f16 v41, v143, v123, v41
	;;#ASMEND
	;;#ASMSTART
	v_dot2_f32_f16 v41, v144, v124, v41
	;;#ASMEND
	;;#ASMSTART
	v_dot2_f32_f16 v42, v141, v125, v42
	;;#ASMEND
	;;#ASMSTART
	v_dot2_f32_f16 v42, v142, v126, v42
	;;#ASMEND
	;;#ASMSTART
	v_dot2_f32_f16 v42, v143, v127, v42
	;;#ASMEND
	;;#ASMSTART
	v_dot2_f32_f16 v42, v144, v128, v42
	;;#ASMEND
	;;#ASMSTART
	v_dot2_f32_f16 v43, v141, v129, v43
	;;#ASMEND
	;;#ASMSTART
	v_dot2_f32_f16 v43, v142, v130, v43
	;;#ASMEND
	;;#ASMSTART
	v_dot2_f32_f16 v43, v143, v131, v43
	;;#ASMEND
	;;#ASMSTART
	v_dot2_f32_f16 v43, v144, v132, v43
	;;#ASMEND
	;;#ASMSTART
	v_dot2_f32_f16 v44, v141, v133, v44
	;;#ASMEND
	;;#ASMSTART
	v_dot2_f32_f16 v44, v142, v134, v44
	;;#ASMEND
	;;#ASMSTART
	v_dot2_f32_f16 v44, v143, v135, v44
	;;#ASMEND
	;;#ASMSTART
	v_dot2_f32_f16 v44, v144, v136, v44
	;;#ASMEND
	s_waitcnt lgkmcnt(0)
	;;#ASMSTART
	v_dot2_f32_f16 v56, v145, v121, v56
	;;#ASMEND
	;;#ASMSTART
	v_dot2_f32_f16 v56, v146, v122, v56
	;;#ASMEND
	;; [unrolled: 3-line block ×16, first 2 shown]
	ds_read_b128 v[9:12], v100 offset:96
	ds_read_b128 v[121:124], v99 offset:224
	;; [unrolled: 1-line block ×8, first 2 shown]
	s_waitcnt lgkmcnt(6)
	;;#ASMSTART
	v_dot2_f32_f16 v33, v9, v121, v33
	;;#ASMEND
	;;#ASMSTART
	v_dot2_f32_f16 v33, v10, v122, v33
	;;#ASMEND
	;;#ASMSTART
	v_dot2_f32_f16 v33, v11, v123, v33
	;;#ASMEND
	;;#ASMSTART
	v_dot2_f32_f16 v33, v12, v124, v33
	;;#ASMEND
	s_waitcnt lgkmcnt(5)
	;;#ASMSTART
	v_dot2_f32_f16 v34, v9, v125, v34
	;;#ASMEND
	;;#ASMSTART
	v_dot2_f32_f16 v34, v10, v126, v34
	;;#ASMEND
	;;#ASMSTART
	v_dot2_f32_f16 v34, v11, v127, v34
	;;#ASMEND
	;;#ASMSTART
	v_dot2_f32_f16 v34, v12, v128, v34
	;;#ASMEND
	;; [unrolled: 13-line block ×5, first 2 shown]
	;;#ASMSTART
	v_dot2_f32_f16 v38, v137, v125, v38
	;;#ASMEND
	;;#ASMSTART
	v_dot2_f32_f16 v38, v138, v126, v38
	;;#ASMEND
	;; [unrolled: 3-line block ×12, first 2 shown]
	s_waitcnt lgkmcnt(1)
	;;#ASMSTART
	v_dot2_f32_f16 v41, v141, v121, v41
	;;#ASMEND
	;;#ASMSTART
	v_dot2_f32_f16 v41, v142, v122, v41
	;;#ASMEND
	;; [unrolled: 3-line block ×16, first 2 shown]
	s_waitcnt lgkmcnt(0)
	;;#ASMSTART
	v_dot2_f32_f16 v56, v145, v121, v56
	;;#ASMEND
	;;#ASMSTART
	v_dot2_f32_f16 v56, v146, v122, v56
	;;#ASMEND
	;;#ASMSTART
	v_dot2_f32_f16 v56, v147, v123, v56
	;;#ASMEND
	;;#ASMSTART
	v_dot2_f32_f16 v56, v148, v124, v56
	;;#ASMEND
	;;#ASMSTART
	v_dot2_f32_f16 v57, v145, v125, v57
	;;#ASMEND
	;;#ASMSTART
	v_dot2_f32_f16 v57, v146, v126, v57
	;;#ASMEND
	;;#ASMSTART
	v_dot2_f32_f16 v57, v147, v127, v57
	;;#ASMEND
	;;#ASMSTART
	v_dot2_f32_f16 v57, v148, v128, v57
	;;#ASMEND
	;;#ASMSTART
	v_dot2_f32_f16 v58, v145, v129, v58
	;;#ASMEND
	;;#ASMSTART
	v_dot2_f32_f16 v58, v146, v130, v58
	;;#ASMEND
	;;#ASMSTART
	v_dot2_f32_f16 v58, v147, v131, v58
	;;#ASMEND
	;;#ASMSTART
	v_dot2_f32_f16 v58, v148, v132, v58
	;;#ASMEND
	;;#ASMSTART
	v_dot2_f32_f16 v59, v145, v133, v59
	;;#ASMEND
	;;#ASMSTART
	v_dot2_f32_f16 v59, v146, v134, v59
	;;#ASMEND
	;;#ASMSTART
	v_dot2_f32_f16 v59, v147, v135, v59
	;;#ASMEND
	;;#ASMSTART
	v_dot2_f32_f16 v59, v148, v136, v59
	;;#ASMEND
	ds_read_b128 v[9:12], v100 offset:112
	ds_read_b128 v[121:124], v99 offset:240
	ds_read_b128 v[125:128], v99 offset:496
	ds_read_b128 v[129:132], v99 offset:752
	ds_read_b128 v[133:136], v99 offset:1008
	ds_read_b128 v[137:140], v100 offset:4720
	ds_read_b128 v[141:144], v100 offset:9328
	ds_read_b128 v[145:148], v100 offset:13936
	s_waitcnt lgkmcnt(6)
	;;#ASMSTART
	v_dot2_f32_f16 v33, v9, v121, v33
	;;#ASMEND
	;;#ASMSTART
	v_dot2_f32_f16 v33, v10, v122, v33
	;;#ASMEND
	;;#ASMSTART
	v_dot2_f32_f16 v33, v11, v123, v33
	;;#ASMEND
	;;#ASMSTART
	v_dot2_f32_f16 v33, v12, v124, v33
	;;#ASMEND
	s_waitcnt lgkmcnt(5)
	;;#ASMSTART
	v_dot2_f32_f16 v34, v9, v125, v34
	;;#ASMEND
	;;#ASMSTART
	v_dot2_f32_f16 v34, v10, v126, v34
	;;#ASMEND
	;;#ASMSTART
	v_dot2_f32_f16 v34, v11, v127, v34
	;;#ASMEND
	;;#ASMSTART
	v_dot2_f32_f16 v34, v12, v128, v34
	;;#ASMEND
	;; [unrolled: 13-line block ×5, first 2 shown]
	;;#ASMSTART
	v_dot2_f32_f16 v38, v137, v125, v38
	;;#ASMEND
	;;#ASMSTART
	v_dot2_f32_f16 v38, v138, v126, v38
	;;#ASMEND
	;; [unrolled: 3-line block ×12, first 2 shown]
	s_waitcnt lgkmcnt(1)
	;;#ASMSTART
	v_dot2_f32_f16 v41, v141, v121, v41
	;;#ASMEND
	;;#ASMSTART
	v_dot2_f32_f16 v41, v142, v122, v41
	;;#ASMEND
	;; [unrolled: 3-line block ×16, first 2 shown]
	s_waitcnt lgkmcnt(0)
	;;#ASMSTART
	v_dot2_f32_f16 v56, v145, v121, v56
	;;#ASMEND
	;;#ASMSTART
	v_dot2_f32_f16 v56, v146, v122, v56
	;;#ASMEND
	;; [unrolled: 3-line block ×16, first 2 shown]
	s_clause 0x7
	global_load_ushort v121, v[7:8], off
	global_load_ushort v122, v[7:8], off offset:64
	global_load_ushort v123, v[7:8], off offset:128
	;; [unrolled: 1-line block ×3, first 2 shown]
	global_load_ushort v125, v[5:6], off
	global_load_ushort v126, v[5:6], off offset:64
	global_load_ushort v127, v[5:6], off offset:128
	;; [unrolled: 1-line block ×3, first 2 shown]
	s_waitcnt vmcnt(0)
	s_barrier
	buffer_gl0_inv
	s_clause 0x3
	global_load_dwordx4 v[5:8], v[1:2], off
	global_load_dwordx4 v[9:12], v[3:4], off
	;; [unrolled: 1-line block ×4, first 2 shown]
	v_cvt_f32_f16_e32 v1, v121
	v_cvt_f32_f16_e32 v2, v122
	;; [unrolled: 1-line block ×8, first 2 shown]
	v_add_f32_e32 v33, v33, v1
	v_add_f32_e32 v37, v37, v2
	;; [unrolled: 1-line block ×32, first 2 shown]
	v_max3_f32 v1, v32, v1, v2
	v_max3_f32 v2, v31, v121, v122
	;; [unrolled: 1-line block ×8, first 2 shown]
	ds_bpermute_b32 v121, v120, v1
	ds_bpermute_b32 v122, v120, v2
	ds_bpermute_b32 v123, v120, v3
	ds_bpermute_b32 v120, v120, v4
	s_waitcnt lgkmcnt(3)
	v_max_f32_e32 v121, v121, v121
	s_waitcnt lgkmcnt(2)
	v_max_f32_e32 v122, v122, v122
	s_waitcnt lgkmcnt(1)
	v_max_f32_e32 v123, v123, v123
	s_waitcnt lgkmcnt(0)
	v_max_f32_e32 v120, v120, v120
	v_max_f32_e32 v1, v1, v121
	v_max_f32_e32 v2, v2, v122
	v_max_f32_e32 v3, v3, v123
	v_max_f32_e32 v4, v4, v120
	ds_bpermute_b32 v120, v119, v1
	ds_bpermute_b32 v121, v119, v2
	ds_bpermute_b32 v122, v119, v3
	ds_bpermute_b32 v119, v119, v4
	s_waitcnt lgkmcnt(3)
	v_max_f32_e32 v120, v120, v120
	s_waitcnt lgkmcnt(2)
	v_max_f32_e32 v121, v121, v121
	s_waitcnt lgkmcnt(1)
	v_max_f32_e32 v122, v122, v122
	s_waitcnt lgkmcnt(0)
	v_max_f32_e32 v119, v119, v119
	v_max_f32_e32 v1, v1, v120
	v_max_f32_e32 v2, v2, v121
	v_max_f32_e32 v3, v3, v122
	v_max_f32_e32 v4, v4, v119
	;; [unrolled: 16-line block ×5, first 2 shown]
	v_sub_f32_e32 v32, v32, v1
	v_sub_f32_e32 v33, v33, v1
	;; [unrolled: 1-line block ×20, first 2 shown]
	v_mul_f32_e32 v61, 0x3fb8aa3b, v33
	v_mul_f32_e32 v62, 0x3fb8aa3b, v37
	;; [unrolled: 1-line block ×20, first 2 shown]
	v_fma_f32 v136, 0x3fb8aa3b, v33, -v61
	v_rndne_f32_e32 v137, v61
	v_fma_f32 v138, 0x3fb8aa3b, v37, -v62
	v_rndne_f32_e32 v139, v62
	;; [unrolled: 2-line block ×20, first 2 shown]
	v_fmac_f32_e32 v136, 0x32a5705f, v33
	v_sub_f32_e32 v61, v61, v137
	v_fmac_f32_e32 v138, 0x32a5705f, v37
	v_sub_f32_e32 v62, v62, v139
	;; [unrolled: 2-line block ×20, first 2 shown]
	v_add_f32_e32 v61, v61, v136
	v_add_f32_e32 v62, v62, v138
	;; [unrolled: 1-line block ×20, first 2 shown]
	v_exp_f32_e32 v61, v61
	v_exp_f32_e32 v62, v62
	;; [unrolled: 1-line block ×19, first 2 shown]
	v_cvt_i32_f32_e32 v137, v137
	v_cvt_i32_f32_e32 v139, v139
	;; [unrolled: 1-line block ×17, first 2 shown]
	v_exp_f32_e32 v135, v135
	v_cvt_i32_f32_e32 v171, v171
	v_cvt_i32_f32_e32 v173, v173
	;; [unrolled: 1-line block ×3, first 2 shown]
	v_ldexp_f32 v61, v61, v137
	v_ldexp_f32 v62, v62, v139
	v_cmp_ngt_f32_e32 vcc_lo, 0xc2ce8ed0, v37
	v_ldexp_f32 v63, v63, v141
	v_cmp_ngt_f32_e64 s0, 0xc2ce8ed0, v41
	v_ldexp_f32 v119, v119, v143
	v_cmp_ngt_f32_e64 s1, 0xc2ce8ed0, v56
	;; [unrolled: 2-line block ×15, first 2 shown]
	v_cmp_ngt_f32_e64 s20, 0xc2ce8ed0, v33
	v_ldexp_f32 v133, v133, v171
	v_cmp_ngt_f32_e64 s17, 0xc2ce8ed0, v44
	v_ldexp_f32 v134, v134, v173
	;; [unrolled: 2-line block ×3, first 2 shown]
	v_cmp_ngt_f32_e64 s19, 0xc2ce8ed0, v29
	v_cndmask_b32_e64 v61, 0, v61, s20
	v_cndmask_b32_e32 v62, 0, v62, vcc_lo
	v_cmp_nlt_f32_e32 vcc_lo, 0x42b17218, v37
	v_cndmask_b32_e64 v37, 0, v63, s0
	v_cmp_nlt_f32_e64 s0, 0x42b17218, v41
	v_cndmask_b32_e64 v41, 0, v119, s1
	v_cmp_nlt_f32_e64 s1, 0x42b17218, v56
	;; [unrolled: 2-line block ×15, first 2 shown]
	v_cmp_nlt_f32_e64 s20, 0x42b17218, v33
	v_cndmask_b32_e64 v40, 0, v133, s17
	v_cmp_nlt_f32_e64 s17, 0x42b17218, v44
	v_cndmask_b32_e64 v44, 0, v134, s18
	;; [unrolled: 2-line block ×4, first 2 shown]
	v_cndmask_b32_e32 v33, 0x7f800000, v62, vcc_lo
	v_cndmask_b32_e64 v32, 0x7f800000, v32, s3
	v_cndmask_b32_e64 v34, 0x7f800000, v34, s6
	;; [unrolled: 1-line block ×14, first 2 shown]
	v_cvt_f16_f32_e32 v61, v29
	v_add_f32_e32 v29, v29, v33
	v_cvt_f16_f32_e32 v33, v33
	v_cvt_f16_f32_e32 v120, v32
	v_add_f32_e32 v32, v32, v34
	v_cvt_f16_f32_e32 v34, v34
	;; [unrolled: 3-line block ×4, first 2 shown]
	v_cvt_f16_f32_e32 v62, v37
	v_cvt_f16_f32_e32 v63, v41
	;; [unrolled: 1-line block ×8, first 2 shown]
	v_add_f32_e32 v37, v37, v29
	v_add_f32_e32 v38, v38, v32
	;; [unrolled: 1-line block ×4, first 2 shown]
	v_pack_b32_f16 v30, v124, v128
	v_pack_b32_f16 v29, v61, v120
	;; [unrolled: 1-line block ×8, first 2 shown]
	ds_write2_b64 v109, v[29:30], v[31:32] offset1:32
	ds_write2_b64 v109, v[33:34], v[35:36] offset0:64 offset1:96
	s_waitcnt vmcnt(3)
	ds_write_b128 v102, v[5:8]
	s_waitcnt vmcnt(2)
	ds_write_b128 v105, v[9:12]
	;; [unrolled: 2-line block ×4, first 2 shown]
	s_waitcnt lgkmcnt(0)
	s_barrier
	buffer_gl0_inv
	ds_read_b128 v[29:32], v104
	v_cndmask_b32_e64 v56, 0x7f800000, v56, s2
	v_cndmask_b32_e64 v57, 0x7f800000, v57, s9
	;; [unrolled: 1-line block ×4, first 2 shown]
	v_add_f32_e32 v120, v41, v37
	v_cvt_f16_f32_e32 v119, v56
	v_cvt_f16_f32_e32 v123, v57
	;; [unrolled: 1-line block ×4, first 2 shown]
	v_add_f32_e32 v121, v42, v38
	v_mul_u32_u24_sdwa v153, v119, v111 dst_sel:DWORD dst_unused:UNUSED_PAD src0_sel:WORD_0 src1_sel:DWORD
	v_mul_u32_u24_sdwa v154, v123, v111 dst_sel:DWORD dst_unused:UNUSED_PAD src0_sel:WORD_0 src1_sel:DWORD
	v_mul_u32_u24_sdwa v162, v127, v111 dst_sel:DWORD dst_unused:UNUSED_PAD src0_sel:WORD_0 src1_sel:DWORD
	v_mul_u32_u24_sdwa v123, v131, v111 dst_sel:DWORD dst_unused:UNUSED_PAD src0_sel:WORD_0 src1_sel:DWORD
	v_add_f32_e32 v122, v43, v39
	v_pk_mul_f16 v62, v28, v153
	v_pk_mul_f16 v42, v27, v154
	;; [unrolled: 1-line block ×3, first 2 shown]
	v_add_f32_e32 v119, v44, v40
	v_pk_mul_f16 v166, v25, v123
	v_pk_mul_f16 v24, v24, v123
	ds_read2_b64 v[38:41], v87 offset1:32
	ds_read_b128 v[33:36], v104 offset:16
	ds_read_b128 v[123:126], v104 offset:32
	;; [unrolled: 1-line block ×3, first 2 shown]
	ds_read2_b64 v[25:28], v87 offset0:64 offset1:96
	ds_read2_b64 v[17:20], v87 offset0:128 offset1:160
	;; [unrolled: 1-line block ×3, first 2 shown]
	ds_read2_b64 v[9:12], v112 offset1:32
	ds_read2_b64 v[5:8], v112 offset0:64 offset1:96
	ds_read_b128 v[131:134], v104 offset:64
	ds_read_b128 v[135:138], v104 offset:80
	;; [unrolled: 1-line block ×6, first 2 shown]
	s_waitcnt lgkmcnt(15)
	v_mul_u32_u24_sdwa v167, v29, v111 dst_sel:DWORD dst_unused:UNUSED_PAD src0_sel:WORD_0 src1_sel:DWORD
	v_mul_u32_u24_sdwa v168, v29, v111 dst_sel:DWORD dst_unused:UNUSED_PAD src0_sel:WORD_1 src1_sel:DWORD
	v_mul_u32_u24_sdwa v169, v30, v111 dst_sel:DWORD dst_unused:UNUSED_PAD src0_sel:WORD_0 src1_sel:DWORD
	v_mul_u32_u24_sdwa v170, v30, v111 dst_sel:DWORD dst_unused:UNUSED_PAD src0_sel:WORD_1 src1_sel:DWORD
	;; [unrolled: 2-line block ×3, first 2 shown]
	s_waitcnt lgkmcnt(13)
	v_mul_u32_u24_sdwa v179, v33, v111 dst_sel:DWORD dst_unused:UNUSED_PAD src0_sel:WORD_0 src1_sel:DWORD
	v_mul_u32_u24_sdwa v180, v33, v111 dst_sel:DWORD dst_unused:UNUSED_PAD src0_sel:WORD_1 src1_sel:DWORD
	s_waitcnt lgkmcnt(12)
	v_mul_u32_u24_sdwa v192, v125, v111 dst_sel:DWORD dst_unused:UNUSED_PAD src0_sel:WORD_0 src1_sel:DWORD
	v_mul_u32_u24_sdwa v193, v125, v111 dst_sel:DWORD dst_unused:UNUSED_PAD src0_sel:WORD_1 src1_sel:DWORD
	v_mul_u32_u24_sdwa v194, v126, v111 dst_sel:DWORD dst_unused:UNUSED_PAD src0_sel:WORD_0 src1_sel:DWORD
	v_mul_u32_u24_sdwa v195, v126, v111 dst_sel:DWORD dst_unused:UNUSED_PAD src0_sel:WORD_1 src1_sel:DWORD
	v_pk_mul_f16 v33, v38, v167
	v_pk_fma_f16 v125, v38, v170, v166
	v_pk_mul_f16 v126, v38, v168
	v_pk_mul_f16 v38, v38, v169
	v_mul_u32_u24_sdwa v177, v32, v111 dst_sel:DWORD dst_unused:UNUSED_PAD src0_sel:WORD_0 src1_sel:DWORD
	v_mul_u32_u24_sdwa v178, v32, v111 dst_sel:DWORD dst_unused:UNUSED_PAD src0_sel:WORD_1 src1_sel:DWORD
	s_waitcnt lgkmcnt(11)
	v_mul_u32_u24_sdwa v196, v127, v111 dst_sel:DWORD dst_unused:UNUSED_PAD src0_sel:WORD_0 src1_sel:DWORD
	v_mul_u32_u24_sdwa v197, v127, v111 dst_sel:DWORD dst_unused:UNUSED_PAD src0_sel:WORD_1 src1_sel:DWORD
	v_mul_u32_u24_sdwa v198, v128, v111 dst_sel:DWORD dst_unused:UNUSED_PAD src0_sel:WORD_0 src1_sel:DWORD
	v_mul_u32_u24_sdwa v199, v128, v111 dst_sel:DWORD dst_unused:UNUSED_PAD src0_sel:WORD_1 src1_sel:DWORD
	;; [unrolled: 2-line block ×3, first 2 shown]
	v_pk_fma_f16 v62, v39, v167, v62
	v_pk_fma_f16 v24, v39, v170, v24
	;; [unrolled: 1-line block ×7, first 2 shown]
	ds_read_b128 v[126:129], v104 offset:160
	v_mul_u32_u24_sdwa v182, v34, v111 dst_sel:DWORD dst_unused:UNUSED_PAD src0_sel:WORD_0 src1_sel:DWORD
	v_mul_u32_u24_sdwa v183, v34, v111 dst_sel:DWORD dst_unused:UNUSED_PAD src0_sel:WORD_1 src1_sel:DWORD
	v_mul_u32_u24_sdwa v202, v130, v111 dst_sel:DWORD dst_unused:UNUSED_PAD src0_sel:WORD_0 src1_sel:DWORD
	v_mul_u32_u24_sdwa v203, v130, v111 dst_sel:DWORD dst_unused:UNUSED_PAD src0_sel:WORD_1 src1_sel:DWORD
	s_waitcnt lgkmcnt(5)
	v_mul_u32_u24_sdwa v212, v135, v111 dst_sel:DWORD dst_unused:UNUSED_PAD src0_sel:WORD_0 src1_sel:DWORD
	v_mul_u32_u24_sdwa v213, v135, v111 dst_sel:DWORD dst_unused:UNUSED_PAD src0_sel:WORD_1 src1_sel:DWORD
	v_mul_u32_u24_sdwa v214, v136, v111 dst_sel:DWORD dst_unused:UNUSED_PAD src0_sel:WORD_0 src1_sel:DWORD
	v_mul_u32_u24_sdwa v215, v136, v111 dst_sel:DWORD dst_unused:UNUSED_PAD src0_sel:WORD_1 src1_sel:DWORD
	;; [unrolled: 2-line block ×4, first 2 shown]
	v_pk_fma_f16 v63, v40, v178, v125
	v_pk_fma_f16 v135, v41, v178, v24
	v_pk_fma_f16 v136, v41, v171, v62
	v_pk_fma_f16 v137, v40, v171, v23
	v_pk_fma_f16 v42, v41, v176, v42
	v_pk_fma_f16 v138, v40, v176, v22
	v_pk_fma_f16 v39, v41, v177, v39
	v_pk_fma_f16 v40, v40, v177, v21
	v_mul_u32_u24_sdwa v184, v35, v111 dst_sel:DWORD dst_unused:UNUSED_PAD src0_sel:WORD_0 src1_sel:DWORD
	v_mul_u32_u24_sdwa v185, v35, v111 dst_sel:DWORD dst_unused:UNUSED_PAD src0_sel:WORD_1 src1_sel:DWORD
	v_mul_u32_u24_sdwa v186, v36, v111 dst_sel:DWORD dst_unused:UNUSED_PAD src0_sel:WORD_0 src1_sel:DWORD
	v_mul_u32_u24_sdwa v187, v36, v111 dst_sel:DWORD dst_unused:UNUSED_PAD src0_sel:WORD_1 src1_sel:DWORD
	v_pk_fma_f16 v41, v25, v183, v63
	v_pk_fma_f16 v63, v26, v179, v136
	v_pk_fma_f16 v42, v26, v180, v42
	v_pk_fma_f16 v39, v26, v182, v39
	v_pk_fma_f16 v26, v26, v183, v135
	v_pk_fma_f16 v136, v25, v179, v137
	v_pk_fma_f16 v137, v25, v180, v138
	v_pk_fma_f16 v25, v25, v182, v40
	v_mul_u32_u24_sdwa v188, v123, v111 dst_sel:DWORD dst_unused:UNUSED_PAD src0_sel:WORD_0 src1_sel:DWORD
	v_mul_u32_u24_sdwa v189, v123, v111 dst_sel:DWORD dst_unused:UNUSED_PAD src0_sel:WORD_1 src1_sel:DWORD
	v_mul_u32_u24_sdwa v190, v124, v111 dst_sel:DWORD dst_unused:UNUSED_PAD src0_sel:WORD_0 src1_sel:DWORD
	v_mul_u32_u24_sdwa v191, v124, v111 dst_sel:DWORD dst_unused:UNUSED_PAD src0_sel:WORD_1 src1_sel:DWORD
	v_mul_u32_u24_sdwa v204, v131, v111 dst_sel:DWORD dst_unused:UNUSED_PAD src0_sel:WORD_0 src1_sel:DWORD
	v_mul_u32_u24_sdwa v205, v131, v111 dst_sel:DWORD dst_unused:UNUSED_PAD src0_sel:WORD_1 src1_sel:DWORD
	s_waitcnt lgkmcnt(4)
	v_mul_u32_u24_sdwa v163, v140, v111 dst_sel:DWORD dst_unused:UNUSED_PAD src0_sel:WORD_0 src1_sel:DWORD
	v_mul_u32_u24_sdwa v172, v140, v111 dst_sel:DWORD dst_unused:UNUSED_PAD src0_sel:WORD_1 src1_sel:DWORD
	v_mul_u32_u24_sdwa v175, v141, v111 dst_sel:DWORD dst_unused:UNUSED_PAD src0_sel:WORD_0 src1_sel:DWORD
	v_mul_u32_u24_sdwa v181, v141, v111 dst_sel:DWORD dst_unused:UNUSED_PAD src0_sel:WORD_1 src1_sel:DWORD
	;; [unrolled: 2-line block ×3, first 2 shown]
	ds_read_b128 v[168:171], v104 offset:176
	v_pk_fma_f16 v40, v27, v187, v41
	v_pk_fma_f16 v41, v28, v187, v26
	;; [unrolled: 1-line block ×8, first 2 shown]
	ds_read_b128 v[182:185], v104 offset:192
	v_mul_u32_u24_sdwa v206, v132, v111 dst_sel:DWORD dst_unused:UNUSED_PAD src0_sel:WORD_0 src1_sel:DWORD
	v_mul_u32_u24_sdwa v207, v132, v111 dst_sel:DWORD dst_unused:UNUSED_PAD src0_sel:WORD_1 src1_sel:DWORD
	v_mul_u32_u24_sdwa v208, v133, v111 dst_sel:DWORD dst_unused:UNUSED_PAD src0_sel:WORD_0 src1_sel:DWORD
	v_mul_u32_u24_sdwa v209, v133, v111 dst_sel:DWORD dst_unused:UNUSED_PAD src0_sel:WORD_1 src1_sel:DWORD
	;; [unrolled: 2-line block ×3, first 2 shown]
	s_waitcnt lgkmcnt(5)
	v_mul_u32_u24_sdwa v143, v146, v111 dst_sel:DWORD dst_unused:UNUSED_PAD src0_sel:WORD_0 src1_sel:DWORD
	v_mul_u32_u24_sdwa v132, v146, v111 dst_sel:DWORD dst_unused:UNUSED_PAD src0_sel:WORD_1 src1_sel:DWORD
	s_waitcnt lgkmcnt(4)
	v_mul_u32_u24_sdwa v133, v149, v111 dst_sel:DWORD dst_unused:UNUSED_PAD src0_sel:WORD_0 src1_sel:DWORD
	v_mul_u32_u24_sdwa v146, v149, v111 dst_sel:DWORD dst_unused:UNUSED_PAD src0_sel:WORD_1 src1_sel:DWORD
	v_mul_u32_u24_sdwa v149, v150, v111 dst_sel:DWORD dst_unused:UNUSED_PAD src0_sel:WORD_0 src1_sel:DWORD
	v_mul_u32_u24_sdwa v157, v150, v111 dst_sel:DWORD dst_unused:UNUSED_PAD src0_sel:WORD_1 src1_sel:DWORD
	s_waitcnt lgkmcnt(3)
	v_mul_u32_u24_sdwa v154, v159, v111 dst_sel:DWORD dst_unused:UNUSED_PAD src0_sel:WORD_0 src1_sel:DWORD
	v_mul_u32_u24_sdwa v166, v159, v111 dst_sel:DWORD dst_unused:UNUSED_PAD src0_sel:WORD_1 src1_sel:DWORD
	s_waitcnt lgkmcnt(2)
	v_mul_u32_u24_sdwa v135, v126, v111 dst_sel:DWORD dst_unused:UNUSED_PAD src0_sel:WORD_0 src1_sel:DWORD
	v_mul_u32_u24_sdwa v150, v126, v111 dst_sel:DWORD dst_unused:UNUSED_PAD src0_sel:WORD_1 src1_sel:DWORD
	v_mul_u32_u24_sdwa v159, v127, v111 dst_sel:DWORD dst_unused:UNUSED_PAD src0_sel:WORD_0 src1_sel:DWORD
	v_mul_u32_u24_sdwa v176, v127, v111 dst_sel:DWORD dst_unused:UNUSED_PAD src0_sel:WORD_1 src1_sel:DWORD
	;; [unrolled: 2-line block ×4, first 2 shown]
	v_pk_fma_f16 v40, v17, v191, v40
	v_pk_fma_f16 v127, v18, v188, v138
	v_pk_fma_f16 v42, v18, v189, v42
	v_pk_fma_f16 v128, v18, v190, v141
	v_pk_fma_f16 v18, v18, v191, v41
	v_pk_fma_f16 v41, v17, v188, v136
	v_pk_fma_f16 v129, v17, v189, v137
	v_pk_fma_f16 v17, v17, v190, v142
	v_mul_u32_u24_sdwa v164, v144, v111 dst_sel:DWORD dst_unused:UNUSED_PAD src0_sel:WORD_0 src1_sel:DWORD
	v_mul_u32_u24_sdwa v165, v144, v111 dst_sel:DWORD dst_unused:UNUSED_PAD src0_sel:WORD_1 src1_sel:DWORD
	v_pk_fma_f16 v137, v19, v195, v40
	v_pk_fma_f16 v138, v20, v195, v18
	;; [unrolled: 1-line block ×8, first 2 shown]
	ds_read_b128 v[187:190], v104 offset:208
	v_mul_u32_u24_sdwa v173, v145, v111 dst_sel:DWORD dst_unused:UNUSED_PAD src0_sel:WORD_0 src1_sel:DWORD
	v_mul_u32_u24_sdwa v174, v145, v111 dst_sel:DWORD dst_unused:UNUSED_PAD src0_sel:WORD_1 src1_sel:DWORD
	v_pk_fma_f16 v137, v13, v199, v137
	v_pk_fma_f16 v145, v14, v196, v142
	;; [unrolled: 1-line block ×8, first 2 shown]
	v_mul_u32_u24_sdwa v210, v134, v111 dst_sel:DWORD dst_unused:UNUSED_PAD src0_sel:WORD_0 src1_sel:DWORD
	v_mul_u32_u24_sdwa v211, v134, v111 dst_sel:DWORD dst_unused:UNUSED_PAD src0_sel:WORD_1 src1_sel:DWORD
	v_mul_u32_u24_sdwa v123, v147, v111 dst_sel:DWORD dst_unused:UNUSED_PAD src0_sel:WORD_0 src1_sel:DWORD
	v_mul_u32_u24_sdwa v156, v147, v111 dst_sel:DWORD dst_unused:UNUSED_PAD src0_sel:WORD_1 src1_sel:DWORD
	;; [unrolled: 2-line block ×6, first 2 shown]
	s_waitcnt lgkmcnt(2)
	v_mul_u32_u24_sdwa v160, v169, v111 dst_sel:DWORD dst_unused:UNUSED_PAD src0_sel:WORD_0 src1_sel:DWORD
	v_mul_u32_u24_sdwa v177, v169, v111 dst_sel:DWORD dst_unused:UNUSED_PAD src0_sel:WORD_1 src1_sel:DWORD
	v_mul_u32_u24_sdwa v136, v170, v111 dst_sel:DWORD dst_unused:UNUSED_PAD src0_sel:WORD_0 src1_sel:DWORD
	v_mul_u32_u24_sdwa v127, v170, v111 dst_sel:DWORD dst_unused:UNUSED_PAD src0_sel:WORD_1 src1_sel:DWORD
	v_pk_fma_f16 v138, v15, v203, v137
	v_pk_fma_f16 v144, v16, v203, v14
	s_waitcnt lgkmcnt(1)
	v_mul_u32_u24_sdwa v142, v182, v111 dst_sel:DWORD dst_unused:UNUSED_PAD src0_sel:WORD_0 src1_sel:DWORD
	v_pk_fma_f16 v145, v16, v200, v145
	v_pk_fma_f16 v153, v15, v200, v41
	v_mul_u32_u24_sdwa v152, v182, v111 dst_sel:DWORD dst_unused:UNUSED_PAD src0_sel:WORD_1 src1_sel:DWORD
	v_pk_fma_f16 v42, v16, v201, v42
	v_pk_fma_f16 v129, v15, v201, v129
	v_mul_u32_u24_sdwa v161, v183, v111 dst_sel:DWORD dst_unused:UNUSED_PAD src0_sel:WORD_0 src1_sel:DWORD
	v_pk_fma_f16 v162, v16, v202, v128
	v_pk_fma_f16 v170, v15, v202, v13
	v_mul_u32_u24_sdwa v178, v183, v111 dst_sel:DWORD dst_unused:UNUSED_PAD src0_sel:WORD_1 src1_sel:DWORD
	v_mul_u32_u24_sdwa v137, v184, v111 dst_sel:DWORD dst_unused:UNUSED_PAD src0_sel:WORD_0 src1_sel:DWORD
	v_mul_u32_u24_sdwa v128, v184, v111 dst_sel:DWORD dst_unused:UNUSED_PAD src0_sel:WORD_1 src1_sel:DWORD
	v_mul_u32_u24_sdwa v41, v185, v111 dst_sel:DWORD dst_unused:UNUSED_PAD src0_sel:WORD_0 src1_sel:DWORD
	v_mul_u32_u24_sdwa v169, v185, v111 dst_sel:DWORD dst_unused:UNUSED_PAD src0_sel:WORD_1 src1_sel:DWORD
	ds_read_b128 v[182:185], v104 offset:224
	ds_read2_b64 v[29:32], v112 offset0:128 offset1:160
	v_pk_fma_f16 v138, v9, v207, v138
	v_pk_fma_f16 v145, v10, v204, v145
	;; [unrolled: 1-line block ×8, first 2 shown]
	v_mul_u32_u24_sdwa v124, v151, v111 dst_sel:DWORD dst_unused:UNUSED_PAD src0_sel:WORD_0 src1_sel:DWORD
	v_mul_u32_u24_sdwa v61, v151, v111 dst_sel:DWORD dst_unused:UNUSED_PAD src0_sel:WORD_1 src1_sel:DWORD
	v_mul_u32_u24_sdwa v141, v168, v111 dst_sel:DWORD dst_unused:UNUSED_PAD src0_sel:WORD_0 src1_sel:DWORD
	v_mul_u32_u24_sdwa v151, v168, v111 dst_sel:DWORD dst_unused:UNUSED_PAD src0_sel:WORD_1 src1_sel:DWORD
	;; [unrolled: 2-line block ×3, first 2 shown]
	v_pk_fma_f16 v171, v11, v211, v138
	v_pk_fma_f16 v180, v12, v211, v10
	s_waitcnt lgkmcnt(2)
	v_mul_u32_u24_sdwa v144, v187, v111 dst_sel:DWORD dst_unused:UNUSED_PAD src0_sel:WORD_0 src1_sel:DWORD
	v_pk_fma_f16 v145, v12, v208, v145
	v_pk_fma_f16 v186, v11, v208, v153
	v_mul_u32_u24_sdwa v153, v187, v111 dst_sel:DWORD dst_unused:UNUSED_PAD src0_sel:WORD_1 src1_sel:DWORD
	v_pk_fma_f16 v187, v12, v209, v42
	v_pk_fma_f16 v191, v11, v209, v129
	;; [unrolled: 1-line block ×4, first 2 shown]
	ds_read2_b64 v[33:36], v112 offset0:192 offset1:224
	v_mul_u32_u24_sdwa v138, v189, v111 dst_sel:DWORD dst_unused:UNUSED_PAD src0_sel:WORD_0 src1_sel:DWORD
	v_mul_u32_u24_sdwa v129, v189, v111 dst_sel:DWORD dst_unused:UNUSED_PAD src0_sel:WORD_1 src1_sel:DWORD
	v_mul_u32_u24_sdwa v42, v190, v111 dst_sel:DWORD dst_unused:UNUSED_PAD src0_sel:WORD_0 src1_sel:DWORD
	v_mul_u32_u24_sdwa v179, v190, v111 dst_sel:DWORD dst_unused:UNUSED_PAD src0_sel:WORD_1 src1_sel:DWORD
	v_pk_fma_f16 v171, v5, v215, v171
	v_pk_fma_f16 v189, v6, v212, v145
	;; [unrolled: 1-line block ×8, first 2 shown]
	ds_read_b128 v[190:193], v104 offset:240
	v_pk_fma_f16 v186, v7, v216, v171
	v_pk_fma_f16 v195, v8, v216, v6
	s_waitcnt lgkmcnt(3)
	v_mul_u32_u24_sdwa v145, v182, v111 dst_sel:DWORD dst_unused:UNUSED_PAD src0_sel:WORD_0 src1_sel:DWORD
	v_pk_fma_f16 v196, v8, v139, v189
	v_pk_fma_f16 v197, v7, v139, v162
	v_mul_u32_u24_sdwa v162, v182, v111 dst_sel:DWORD dst_unused:UNUSED_PAD src0_sel:WORD_1 src1_sel:DWORD
	v_pk_fma_f16 v182, v8, v130, v187
	v_pk_fma_f16 v187, v7, v130, v180
	;; [unrolled: 1-line block ×4, first 2 shown]
	ds_read2_b64 v[21:24], v113 offset1:32
	v_mul_u32_u24_sdwa v171, v183, v111 dst_sel:DWORD dst_unused:UNUSED_PAD src0_sel:WORD_0 src1_sel:DWORD
	v_mul_u32_u24_sdwa v189, v183, v111 dst_sel:DWORD dst_unused:UNUSED_PAD src0_sel:WORD_1 src1_sel:DWORD
	v_mul_u32_u24_sdwa v139, v184, v111 dst_sel:DWORD dst_unused:UNUSED_PAD src0_sel:WORD_0 src1_sel:DWORD
	v_mul_u32_u24_sdwa v130, v184, v111 dst_sel:DWORD dst_unused:UNUSED_PAD src0_sel:WORD_1 src1_sel:DWORD
	;; [unrolled: 2-line block ×3, first 2 shown]
	s_waitcnt lgkmcnt(3)
	v_pk_fma_f16 v186, v29, v181, v186
	v_pk_fma_f16 v196, v30, v163, v196
	;; [unrolled: 1-line block ×8, first 2 shown]
	ds_read_b128 v[182:185], v104 offset:256
	v_pk_fma_f16 v175, v31, v155, v186
	v_pk_fma_f16 v186, v32, v155, v30
	;; [unrolled: 1-line block ×8, first 2 shown]
	ds_read2_b64 v[25:28], v113 offset0:64 offset1:96
	s_waitcnt lgkmcnt(3)
	v_mul_u32_u24_sdwa v155, v190, v111 dst_sel:DWORD dst_unused:UNUSED_PAD src0_sel:WORD_0 src1_sel:DWORD
	v_mul_u32_u24_sdwa v163, v190, v111 dst_sel:DWORD dst_unused:UNUSED_PAD src0_sel:WORD_1 src1_sel:DWORD
	v_mul_u32_u24_sdwa v172, v191, v111 dst_sel:DWORD dst_unused:UNUSED_PAD src0_sel:WORD_0 src1_sel:DWORD
	v_mul_u32_u24_sdwa v190, v191, v111 dst_sel:DWORD dst_unused:UNUSED_PAD src0_sel:WORD_1 src1_sel:DWORD
	;; [unrolled: 2-line block ×4, first 2 shown]
	v_pk_fma_f16 v175, v33, v174, v175
	v_pk_fma_f16 v187, v34, v164, v187
	;; [unrolled: 1-line block ×8, first 2 shown]
	ds_read_b128 v[192:195], v104 offset:272
	v_pk_fma_f16 v174, v35, v156, v175
	v_pk_fma_f16 v175, v36, v156, v34
	;; [unrolled: 1-line block ×8, first 2 shown]
	ds_read2_b64 v[17:20], v113 offset0:128 offset1:160
	s_waitcnt lgkmcnt(3)
	v_mul_u32_u24_sdwa v173, v183, v111 dst_sel:DWORD dst_unused:UNUSED_PAD src0_sel:WORD_0 src1_sel:DWORD
	v_mul_u32_u24_sdwa v191, v183, v111 dst_sel:DWORD dst_unused:UNUSED_PAD src0_sel:WORD_1 src1_sel:DWORD
	v_pk_fma_f16 v174, v21, v157, v174
	v_pk_fma_f16 v183, v22, v133, v186
	;; [unrolled: 1-line block ×16, first 2 shown]
	ds_read2_b64 v[13:16], v113 offset0:192 offset1:224
	s_waitcnt lgkmcnt(2)
	v_mul_u32_u24_sdwa v157, v192, v111 dst_sel:DWORD dst_unused:UNUSED_PAD src0_sel:WORD_0 src1_sel:DWORD
	v_mul_u32_u24_sdwa v165, v192, v111 dst_sel:DWORD dst_unused:UNUSED_PAD src0_sel:WORD_1 src1_sel:DWORD
	v_mul_u32_u24_sdwa v174, v193, v111 dst_sel:DWORD dst_unused:UNUSED_PAD src0_sel:WORD_0 src1_sel:DWORD
	v_mul_u32_u24_sdwa v192, v193, v111 dst_sel:DWORD dst_unused:UNUSED_PAD src0_sel:WORD_1 src1_sel:DWORD
	v_pk_fma_f16 v149, v25, v166, v149
	v_pk_fma_f16 v193, v26, v134, v198
	;; [unrolled: 1-line block ×16, first 2 shown]
	ds_read2_b64 v[9:12], v114 offset1:32
	s_waitcnt lgkmcnt(2)
	v_pk_fma_f16 v37, v17, v176, v37
	v_pk_fma_f16 v146, v18, v135, v154
	;; [unrolled: 1-line block ×16, first 2 shown]
	ds_read2_b64 v[5:8], v114 offset0:64 offset1:96
	s_waitcnt lgkmcnt(2)
	v_pk_fma_f16 v37, v13, v177, v37
	v_pk_fma_f16 v63, v14, v141, v146
	;; [unrolled: 1-line block ×16, first 2 shown]
	ds_read2_b64 v[29:32], v114 offset0:128 offset1:160
	v_mul_u32_u24_sdwa v156, v182, v111 dst_sel:DWORD dst_unused:UNUSED_PAD src0_sel:WORD_0 src1_sel:DWORD
	v_mul_u32_u24_sdwa v164, v182, v111 dst_sel:DWORD dst_unused:UNUSED_PAD src0_sel:WORD_1 src1_sel:DWORD
	v_mul_u32_u24_sdwa v143, v184, v111 dst_sel:DWORD dst_unused:UNUSED_PAD src0_sel:WORD_0 src1_sel:DWORD
	v_mul_u32_u24_sdwa v132, v184, v111 dst_sel:DWORD dst_unused:UNUSED_PAD src0_sel:WORD_1 src1_sel:DWORD
	v_mul_u32_u24_sdwa v123, v185, v111 dst_sel:DWORD dst_unused:UNUSED_PAD src0_sel:WORD_0 src1_sel:DWORD
	v_mul_u32_u24_sdwa v182, v185, v111 dst_sel:DWORD dst_unused:UNUSED_PAD src0_sel:WORD_1 src1_sel:DWORD
	ds_read_b128 v[184:187], v104 offset:288
	v_mul_u32_u24_sdwa v148, v194, v111 dst_sel:DWORD dst_unused:UNUSED_PAD src0_sel:WORD_0 src1_sel:DWORD
	v_mul_u32_u24_sdwa v133, v194, v111 dst_sel:DWORD dst_unused:UNUSED_PAD src0_sel:WORD_1 src1_sel:DWORD
	v_mul_u32_u24_sdwa v124, v195, v111 dst_sel:DWORD dst_unused:UNUSED_PAD src0_sel:WORD_0 src1_sel:DWORD
	v_mul_u32_u24_sdwa v183, v195, v111 dst_sel:DWORD dst_unused:UNUSED_PAD src0_sel:WORD_1 src1_sel:DWORD
	ds_read_b128 v[194:197], v104 offset:304
	ds_read_b128 v[198:201], v104 offset:320
	;; [unrolled: 1-line block ×3, first 2 shown]
	s_waitcnt lgkmcnt(6)
	v_pk_fma_f16 v37, v9, v178, v37
	v_pk_fma_f16 v63, v10, v142, v63
	;; [unrolled: 1-line block ×8, first 2 shown]
	v_mul_u32_u24_sdwa v170, v188, v111 dst_sel:DWORD dst_unused:UNUSED_PAD src0_sel:WORD_0 src1_sel:DWORD
	v_mul_u32_u24_sdwa v188, v188, v111 dst_sel:DWORD dst_unused:UNUSED_PAD src0_sel:WORD_1 src1_sel:DWORD
	v_pk_fma_f16 v61, v11, v169, v37
	v_pk_fma_f16 v10, v12, v169, v10
	v_pk_fma_f16 v63, v12, v137, v63
	v_pk_fma_f16 v142, v11, v137, v38
	v_pk_fma_f16 v141, v12, v128, v141
	v_pk_fma_f16 v146, v11, v128, v39
	v_pk_fma_f16 v12, v12, v41, v62
	v_pk_fma_f16 v9, v11, v41, v9
	ds_read2_b64 v[33:36], v114 offset0:192 offset1:224
	s_waitcnt lgkmcnt(6)
	v_pk_fma_f16 v11, v5, v188, v61
	v_pk_fma_f16 v61, v6, v144, v63
	;; [unrolled: 1-line block ×16, first 2 shown]
	ds_read2_b64 v[21:24], v115 offset1:32
	s_waitcnt lgkmcnt(5)
	v_mul_u32_u24_sdwa v175, v185, v111 dst_sel:DWORD dst_unused:UNUSED_PAD src0_sel:WORD_0 src1_sel:DWORD
	v_mul_u32_u24_sdwa v193, v185, v111 dst_sel:DWORD dst_unused:UNUSED_PAD src0_sel:WORD_1 src1_sel:DWORD
	v_mul_u32_u24_sdwa v149, v186, v111 dst_sel:DWORD dst_unused:UNUSED_PAD src0_sel:WORD_0 src1_sel:DWORD
	v_mul_u32_u24_sdwa v134, v186, v111 dst_sel:DWORD dst_unused:UNUSED_PAD src0_sel:WORD_1 src1_sel:DWORD
	s_waitcnt lgkmcnt(4)
	v_mul_u32_u24_sdwa v159, v194, v111 dst_sel:DWORD dst_unused:UNUSED_PAD src0_sel:WORD_0 src1_sel:DWORD
	v_mul_u32_u24_sdwa v167, v194, v111 dst_sel:DWORD dst_unused:UNUSED_PAD src0_sel:WORD_1 src1_sel:DWORD
	v_mul_u32_u24_sdwa v176, v195, v111 dst_sel:DWORD dst_unused:UNUSED_PAD src0_sel:WORD_0 src1_sel:DWORD
	v_mul_u32_u24_sdwa v194, v195, v111 dst_sel:DWORD dst_unused:UNUSED_PAD src0_sel:WORD_1 src1_sel:DWORD
	;; [unrolled: 2-line block ×4, first 2 shown]
	s_waitcnt lgkmcnt(3)
	v_mul_u32_u24_sdwa v160, v198, v111 dst_sel:DWORD dst_unused:UNUSED_PAD src0_sel:WORD_0 src1_sel:DWORD
	v_mul_u32_u24_sdwa v168, v198, v111 dst_sel:DWORD dst_unused:UNUSED_PAD src0_sel:WORD_1 src1_sel:DWORD
	v_mul_u32_u24_sdwa v177, v199, v111 dst_sel:DWORD dst_unused:UNUSED_PAD src0_sel:WORD_0 src1_sel:DWORD
	v_mul_u32_u24_sdwa v195, v199, v111 dst_sel:DWORD dst_unused:UNUSED_PAD src0_sel:WORD_1 src1_sel:DWORD
	;; [unrolled: 2-line block ×4, first 2 shown]
	ds_read_b128 v[197:200], v104 offset:352
	s_waitcnt lgkmcnt(3)
	v_mul_u32_u24_sdwa v161, v202, v111 dst_sel:DWORD dst_unused:UNUSED_PAD src0_sel:WORD_0 src1_sel:DWORD
	v_mul_u32_u24_sdwa v169, v202, v111 dst_sel:DWORD dst_unused:UNUSED_PAD src0_sel:WORD_1 src1_sel:DWORD
	v_mul_u32_u24_sdwa v178, v203, v111 dst_sel:DWORD dst_unused:UNUSED_PAD src0_sel:WORD_0 src1_sel:DWORD
	v_mul_u32_u24_sdwa v196, v203, v111 dst_sel:DWORD dst_unused:UNUSED_PAD src0_sel:WORD_1 src1_sel:DWORD
	;; [unrolled: 2-line block ×3, first 2 shown]
	ds_read_b128 v[201:204], v104 offset:368
	v_pk_fma_f16 v7, v29, v189, v141
	v_pk_fma_f16 v42, v30, v145, v142
	;; [unrolled: 1-line block ×16, first 2 shown]
	s_waitcnt lgkmcnt(3)
	v_pk_fma_f16 v29, v33, v190, v29
	v_pk_fma_f16 v42, v34, v155, v42
	v_pk_fma_f16 v43, v34, v163, v139
	v_pk_fma_f16 v32, v34, v172, v32
	v_pk_fma_f16 v34, v34, v190, v162
	v_pk_fma_f16 v30, v33, v155, v30
	v_pk_fma_f16 v130, v33, v163, v130
	v_pk_fma_f16 v31, v33, v172, v31
	ds_read2_b64 v[25:28], v115 offset0:64 offset1:96
	v_pk_fma_f16 v33, v35, v181, v29
	v_pk_fma_f16 v34, v36, v181, v34
	;; [unrolled: 1-line block ×8, first 2 shown]
	s_waitcnt lgkmcnt(2)
	v_mul_u32_u24_sdwa v154, v197, v111 dst_sel:DWORD dst_unused:UNUSED_PAD src0_sel:WORD_0 src1_sel:DWORD
	v_mul_u32_u24_sdwa v138, v197, v111 dst_sel:DWORD dst_unused:UNUSED_PAD src0_sel:WORD_1 src1_sel:DWORD
	v_mul_u32_u24_sdwa v129, v198, v111 dst_sel:DWORD dst_unused:UNUSED_PAD src0_sel:WORD_0 src1_sel:DWORD
	v_mul_u32_u24_sdwa v179, v198, v111 dst_sel:DWORD dst_unused:UNUSED_PAD src0_sel:WORD_1 src1_sel:DWORD
	;; [unrolled: 2-line block ×4, first 2 shown]
	ds_read_b128 v[197:200], v104 offset:384
	s_waitcnt lgkmcnt(2)
	v_mul_u32_u24_sdwa v141, v201, v111 dst_sel:DWORD dst_unused:UNUSED_PAD src0_sel:WORD_0 src1_sel:DWORD
	v_mul_u32_u24_sdwa v142, v201, v111 dst_sel:DWORD dst_unused:UNUSED_PAD src0_sel:WORD_1 src1_sel:DWORD
	v_mul_u32_u24_sdwa v144, v202, v111 dst_sel:DWORD dst_unused:UNUSED_PAD src0_sel:WORD_0 src1_sel:DWORD
	v_mul_u32_u24_sdwa v153, v202, v111 dst_sel:DWORD dst_unused:UNUSED_PAD src0_sel:WORD_1 src1_sel:DWORD
	;; [unrolled: 2-line block ×4, first 2 shown]
	ds_read_b128 v[201:204], v104 offset:400
	v_pk_fma_f16 v44, v21, v191, v33
	v_pk_fma_f16 v42, v22, v156, v42
	;; [unrolled: 1-line block ×8, first 2 shown]
	ds_read_b128 v[33:36], v104 offset:416
	ds_read2_b64 v[17:20], v115 offset0:128 offset1:160
	v_pk_fma_f16 v140, v24, v182, v22
	v_pk_fma_f16 v42, v24, v143, v42
	;; [unrolled: 1-line block ×8, first 2 shown]
	s_waitcnt lgkmcnt(4)
	v_pk_fma_f16 v42, v26, v157, v42
	v_pk_fma_f16 v43, v26, v165, v43
	;; [unrolled: 1-line block ×4, first 2 shown]
	v_mul_u32_u24_sdwa v166, v184, v111 dst_sel:DWORD dst_unused:UNUSED_PAD src0_sel:WORD_1 src1_sel:DWORD
	ds_read2_b64 v[13:16], v115 offset0:192 offset1:224
	s_waitcnt lgkmcnt(4)
	v_mul_u32_u24_sdwa v163, v198, v111 dst_sel:DWORD dst_unused:UNUSED_PAD src0_sel:WORD_0 src1_sel:DWORD
	v_mul_u32_u24_sdwa v188, v198, v111 dst_sel:DWORD dst_unused:UNUSED_PAD src0_sel:WORD_1 src1_sel:DWORD
	v_mul_u32_u24_sdwa v171, v199, v111 dst_sel:DWORD dst_unused:UNUSED_PAD src0_sel:WORD_0 src1_sel:DWORD
	v_mul_u32_u24_sdwa v172, v199, v111 dst_sel:DWORD dst_unused:UNUSED_PAD src0_sel:WORD_1 src1_sel:DWORD
	v_mul_u32_u24_sdwa v180, v200, v111 dst_sel:DWORD dst_unused:UNUSED_PAD src0_sel:WORD_0 src1_sel:DWORD
	v_mul_u32_u24_sdwa v181, v200, v111 dst_sel:DWORD dst_unused:UNUSED_PAD src0_sel:WORD_1 src1_sel:DWORD
	s_waitcnt lgkmcnt(3)
	v_mul_u32_u24_sdwa v156, v201, v111 dst_sel:DWORD dst_unused:UNUSED_PAD src0_sel:WORD_0 src1_sel:DWORD
	v_mul_u32_u24_sdwa v164, v201, v111 dst_sel:DWORD dst_unused:UNUSED_PAD src0_sel:WORD_1 src1_sel:DWORD
	v_pk_fma_f16 v44, v25, v192, v44
	v_pk_fma_f16 v132, v25, v157, v139
	;; [unrolled: 1-line block ×4, first 2 shown]
	ds_read_b128 v[198:201], v104 offset:432
	v_pk_fma_f16 v139, v28, v183, v26
	s_waitcnt lgkmcnt(3)
	v_mul_u32_u24_sdwa v25, v33, v111 dst_sel:DWORD dst_unused:UNUSED_PAD src0_sel:WORD_0 src1_sel:DWORD
	v_mul_u32_u24_sdwa v26, v33, v111 dst_sel:DWORD dst_unused:UNUSED_PAD src0_sel:WORD_1 src1_sel:DWORD
	v_pk_fma_f16 v33, v28, v133, v43
	v_mul_u32_u24_sdwa v158, v184, v111 dst_sel:DWORD dst_unused:UNUSED_PAD src0_sel:WORD_0 src1_sel:DWORD
	v_pk_fma_f16 v44, v27, v183, v44
	v_pk_fma_f16 v42, v28, v148, v42
	;; [unrolled: 1-line block ×4, first 2 shown]
	v_mul_u32_u24_sdwa v148, v34, v111 dst_sel:DWORD dst_unused:UNUSED_PAD src0_sel:WORD_0 src1_sel:DWORD
	v_pk_fma_f16 v28, v28, v124, v131
	v_pk_fma_f16 v123, v27, v124, v123
	v_mul_u32_u24_sdwa v174, v34, v111 dst_sel:DWORD dst_unused:UNUSED_PAD src0_sel:WORD_1 src1_sel:DWORD
	v_mul_u32_u24_sdwa v183, v35, v111 dst_sel:DWORD dst_unused:UNUSED_PAD src0_sel:WORD_0 src1_sel:DWORD
	v_mul_u32_u24_sdwa v192, v35, v111 dst_sel:DWORD dst_unused:UNUSED_PAD src0_sel:WORD_1 src1_sel:DWORD
	v_mul_u32_u24_sdwa v27, v36, v111 dst_sel:DWORD dst_unused:UNUSED_PAD src0_sel:WORD_0 src1_sel:DWORD
	v_mul_u32_u24_sdwa v206, v36, v111 dst_sel:DWORD dst_unused:UNUSED_PAD src0_sel:WORD_1 src1_sel:DWORD
	s_waitcnt lgkmcnt(2)
	v_pk_fma_f16 v124, v18, v166, v33
	ds_read_b128 v[33:36], v104 offset:448
	v_mul_u32_u24_sdwa v125, v187, v111 dst_sel:DWORD dst_unused:UNUSED_PAD src0_sel:WORD_0 src1_sel:DWORD
	v_mul_u32_u24_sdwa v184, v187, v111 dst_sel:DWORD dst_unused:UNUSED_PAD src0_sel:WORD_1 src1_sel:DWORD
	ds_read2_b64 v[37:40], v116 offset1:32
	v_pk_fma_f16 v42, v18, v158, v42
	v_pk_fma_f16 v28, v18, v175, v28
	;; [unrolled: 1-line block ×15, first 2 shown]
	s_waitcnt lgkmcnt(3)
	v_pk_fma_f16 v42, v14, v159, v42
	v_pk_fma_f16 v124, v14, v167, v124
	;; [unrolled: 1-line block ×5, first 2 shown]
	ds_read2_b64 v[9:12], v116 offset0:64 offset1:96
	v_pk_fma_f16 v44, v13, v194, v44
	v_pk_fma_f16 v43, v13, v167, v43
	;; [unrolled: 1-line block ×3, first 2 shown]
	ds_read_b128 v[130:133], v104 offset:464
	s_waitcnt lgkmcnt(3)
	v_mul_u32_u24_sdwa v176, v33, v111 dst_sel:DWORD dst_unused:UNUSED_PAD src0_sel:WORD_0 src1_sel:DWORD
	v_pk_fma_f16 v42, v16, v150, v42
	v_pk_fma_f16 v123, v15, v150, v123
	v_mul_u32_u24_sdwa v150, v33, v111 dst_sel:DWORD dst_unused:UNUSED_PAD src0_sel:WORD_1 src1_sel:DWORD
	v_pk_fma_f16 v33, v16, v135, v124
	v_pk_fma_f16 v44, v15, v185, v44
	v_pk_fma_f16 v125, v16, v185, v14
	v_pk_fma_f16 v43, v15, v135, v43
	v_mul_u32_u24_sdwa v185, v34, v111 dst_sel:DWORD dst_unused:UNUSED_PAD src0_sel:WORD_0 src1_sel:DWORD
	v_pk_fma_f16 v28, v16, v126, v28
	v_pk_fma_f16 v124, v15, v126, v13
	v_mul_u32_u24_sdwa v194, v34, v111 dst_sel:DWORD dst_unused:UNUSED_PAD src0_sel:WORD_1 src1_sel:DWORD
	v_mul_u32_u24_sdwa v207, v35, v111 dst_sel:DWORD dst_unused:UNUSED_PAD src0_sel:WORD_0 src1_sel:DWORD
	v_mul_u32_u24_sdwa v208, v35, v111 dst_sel:DWORD dst_unused:UNUSED_PAD src0_sel:WORD_1 src1_sel:DWORD
	v_mul_u32_u24_sdwa v209, v36, v111 dst_sel:DWORD dst_unused:UNUSED_PAD src0_sel:WORD_0 src1_sel:DWORD
	v_mul_u32_u24_sdwa v210, v36, v111 dst_sel:DWORD dst_unused:UNUSED_PAD src0_sel:WORD_1 src1_sel:DWORD
	s_waitcnt lgkmcnt(2)
	v_pk_fma_f16 v126, v38, v168, v33
	ds_read_b128 v[33:36], v104 offset:480
	ds_read2_b64 v[5:8], v116 offset0:128 offset1:160
	v_pk_fma_f16 v44, v37, v195, v44
	v_pk_fma_f16 v42, v38, v160, v42
	;; [unrolled: 1-line block ×15, first 2 shown]
	ds_read_b128 v[165:168], v104 offset:496
	v_mul_u32_u24_sdwa v41, v205, v111 dst_sel:DWORD dst_unused:UNUSED_PAD src0_sel:WORD_0 src1_sel:DWORD
	v_mul_u32_u24_sdwa v187, v205, v111 dst_sel:DWORD dst_unused:UNUSED_PAD src0_sel:WORD_1 src1_sel:DWORD
	s_waitcnt lgkmcnt(4)
	v_pk_fma_f16 v39, v9, v196, v44
	v_pk_fma_f16 v40, v10, v161, v42
	;; [unrolled: 1-line block ×10, first 2 shown]
	s_waitcnt lgkmcnt(2)
	v_mul_u32_u24_sdwa v126, v33, v111 dst_sel:DWORD dst_unused:UNUSED_PAD src0_sel:WORD_0 src1_sel:DWORD
	v_pk_fma_f16 v39, v12, v137, v40
	v_pk_fma_f16 v38, v11, v137, v38
	v_mul_u32_u24_sdwa v127, v33, v111 dst_sel:DWORD dst_unused:UNUSED_PAD src0_sel:WORD_1 src1_sel:DWORD
	v_pk_fma_f16 v33, v12, v128, v42
	v_pk_fma_f16 v40, v11, v128, v43
	;; [unrolled: 1-line block ×4, first 2 shown]
	v_mul_u32_u24_sdwa v128, v34, v111 dst_sel:DWORD dst_unused:UNUSED_PAD src0_sel:WORD_0 src1_sel:DWORD
	v_mul_u32_u24_sdwa v137, v34, v111 dst_sel:DWORD dst_unused:UNUSED_PAD src0_sel:WORD_1 src1_sel:DWORD
	s_waitcnt lgkmcnt(1)
	v_pk_fma_f16 v11, v5, v179, v37
	v_pk_fma_f16 v28, v6, v154, v39
	;; [unrolled: 1-line block ×8, first 2 shown]
	v_mul_u32_u24_sdwa v155, v197, v111 dst_sel:DWORD dst_unused:UNUSED_PAD src0_sel:WORD_0 src1_sel:DWORD
	v_mul_u32_u24_sdwa v162, v197, v111 dst_sel:DWORD dst_unused:UNUSED_PAD src0_sel:WORD_1 src1_sel:DWORD
	ds_read2_b64 v[29:32], v116 offset0:192 offset1:224
	v_mul_u32_u24_sdwa v173, v202, v111 dst_sel:DWORD dst_unused:UNUSED_PAD src0_sel:WORD_0 src1_sel:DWORD
	v_mul_u32_u24_sdwa v197, v202, v111 dst_sel:DWORD dst_unused:UNUSED_PAD src0_sel:WORD_1 src1_sel:DWORD
	v_mul_u32_u24_sdwa v182, v203, v111 dst_sel:DWORD dst_unused:UNUSED_PAD src0_sel:WORD_0 src1_sel:DWORD
	v_mul_u32_u24_sdwa v189, v203, v111 dst_sel:DWORD dst_unused:UNUSED_PAD src0_sel:WORD_1 src1_sel:DWORD
	;; [unrolled: 2-line block ×3, first 2 shown]
	ds_read2_b64 v[21:24], v117 offset1:32
	ds_read2_b64 v[202:205], v117 offset0:64 offset1:96
	ds_read2_b64 v[17:20], v117 offset0:128 offset1:160
	;; [unrolled: 1-line block ×3, first 2 shown]
	v_mul_u32_u24_sdwa v186, v131, v111 dst_sel:DWORD dst_unused:UNUSED_PAD src0_sel:WORD_0 src1_sel:DWORD
	v_mul_u32_u24_sdwa v195, v131, v111 dst_sel:DWORD dst_unused:UNUSED_PAD src0_sel:WORD_1 src1_sel:DWORD
	v_mul_u32_u24_sdwa v123, v132, v111 dst_sel:DWORD dst_unused:UNUSED_PAD src0_sel:WORD_0 src1_sel:DWORD
	v_mul_u32_u24_sdwa v124, v132, v111 dst_sel:DWORD dst_unused:UNUSED_PAD src0_sel:WORD_1 src1_sel:DWORD
	;; [unrolled: 2-line block ×3, first 2 shown]
	ds_read2_b64 v[157:160], v118 offset1:32
	v_mul_u32_u24_sdwa v131, v35, v111 dst_sel:DWORD dst_unused:UNUSED_PAD src0_sel:WORD_0 src1_sel:DWORD
	v_mul_u32_u24_sdwa v132, v35, v111 dst_sel:DWORD dst_unused:UNUSED_PAD src0_sel:WORD_1 src1_sel:DWORD
	v_mul_u32_u24_sdwa v133, v36, v111 dst_sel:DWORD dst_unused:UNUSED_PAD src0_sel:WORD_0 src1_sel:DWORD
	v_mul_u32_u24_sdwa v135, v36, v111 dst_sel:DWORD dst_unused:UNUSED_PAD src0_sel:WORD_1 src1_sel:DWORD
	ds_read2_b64 v[41:44], v118 offset0:64 offset1:96
	ds_read2_b64 v[37:40], v118 offset0:128 offset1:160
	v_pk_fma_f16 v154, v7, v170, v11
	v_pk_fma_f16 v161, v8, v170, v6
	s_waitcnt lgkmcnt(8)
	v_mul_u32_u24_sdwa v138, v165, v111 dst_sel:DWORD dst_unused:UNUSED_PAD src0_sel:WORD_0 src1_sel:DWORD
	v_pk_fma_f16 v28, v8, v63, v28
	v_pk_fma_f16 v63, v7, v63, v10
	v_mul_u32_u24_sdwa v139, v165, v111 dst_sel:DWORD dst_unused:UNUSED_PAD src0_sel:WORD_1 src1_sel:DWORD
	v_pk_fma_f16 v165, v8, v62, v33
	v_pk_fma_f16 v62, v7, v62, v34
	v_pk_fma_f16 v169, v8, v61, v12
	v_pk_fma_f16 v61, v7, v61, v5
	ds_read2_b64 v[33:36], v118 offset0:192 offset1:224
	s_waitcnt lgkmcnt(0)
	s_barrier
	buffer_gl0_inv
	s_clause 0x2
	global_load_dwordx4 v[5:8], v[51:52], off
	global_load_dwordx4 v[9:12], v[49:50], off
	;; [unrolled: 1-line block ×3, first 2 shown]
	v_fmac_f32_e32 v121, v54, v57
	v_fmac_f32_e32 v122, v53, v58
	global_load_dwordx4 v[51:54], v[45:46], off
	v_fmac_f32_e32 v120, v55, v56
	v_pk_fma_f16 v45, v29, v153, v154
	v_pk_fma_f16 v28, v30, v141, v28
	;; [unrolled: 1-line block ×56, first 2 shown]
	v_mul_u32_u24_sdwa v175, v198, v111 dst_sel:DWORD dst_unused:UNUSED_PAD src0_sel:WORD_0 src1_sel:DWORD
	v_mul_u32_u24_sdwa v149, v198, v111 dst_sel:DWORD dst_unused:UNUSED_PAD src0_sel:WORD_1 src1_sel:DWORD
	v_mul_u32_u24_sdwa v184, v199, v111 dst_sel:DWORD dst_unused:UNUSED_PAD src0_sel:WORD_0 src1_sel:DWORD
	v_mul_u32_u24_sdwa v193, v199, v111 dst_sel:DWORD dst_unused:UNUSED_PAD src0_sel:WORD_1 src1_sel:DWORD
	v_pk_fma_f16 v21, v19, v206, v23
	v_pk_fma_f16 v23, v20, v183, v28
	;; [unrolled: 1-line block ×8, first 2 shown]
	v_mul_u32_u24_sdwa v198, v200, v111 dst_sel:DWORD dst_unused:UNUSED_PAD src0_sel:WORD_0 src1_sel:DWORD
	v_mul_u32_u24_sdwa v199, v200, v111 dst_sel:DWORD dst_unused:UNUSED_PAD src0_sel:WORD_1 src1_sel:DWORD
	v_mul_u32_u24_sdwa v200, v201, v111 dst_sel:DWORD dst_unused:UNUSED_PAD src0_sel:WORD_0 src1_sel:DWORD
	v_mul_u32_u24_sdwa v201, v201, v111 dst_sel:DWORD dst_unused:UNUSED_PAD src0_sel:WORD_1 src1_sel:DWORD
	v_pk_fma_f16 v19, v13, v193, v21
	v_pk_fma_f16 v21, v14, v175, v23
	;; [unrolled: 1-line block ×24, first 2 shown]
	v_mul_u32_u24_sdwa v177, v130, v111 dst_sel:DWORD dst_unused:UNUSED_PAD src0_sel:WORD_0 src1_sel:DWORD
	v_mul_u32_u24_sdwa v151, v130, v111 dst_sel:DWORD dst_unused:UNUSED_PAD src0_sel:WORD_1 src1_sel:DWORD
	v_pk_fma_f16 v15, v159, v210, v15
	v_pk_fma_f16 v17, v160, v207, v17
	;; [unrolled: 1-line block ×32, first 2 shown]
	v_mul_u32_u24_sdwa v140, v166, v111 dst_sel:DWORD dst_unused:UNUSED_PAD src0_sel:WORD_0 src1_sel:DWORD
	v_mul_u32_u24_sdwa v143, v166, v111 dst_sel:DWORD dst_unused:UNUSED_PAD src0_sel:WORD_1 src1_sel:DWORD
	v_pk_fma_f16 v41, v39, v135, v43
	v_pk_fma_f16 v43, v40, v131, v124
	;; [unrolled: 1-line block ×8, first 2 shown]
	v_mul_u32_u24_sdwa v134, v167, v111 dst_sel:DWORD dst_unused:UNUSED_PAD src0_sel:WORD_0 src1_sel:DWORD
	v_mul_u32_u24_sdwa v130, v167, v111 dst_sel:DWORD dst_unused:UNUSED_PAD src0_sel:WORD_1 src1_sel:DWORD
	v_mul_u32_u24_sdwa v129, v168, v111 dst_sel:DWORD dst_unused:UNUSED_PAD src0_sel:WORD_0 src1_sel:DWORD
	v_mul_u32_u24_sdwa v136, v168, v111 dst_sel:DWORD dst_unused:UNUSED_PAD src0_sel:WORD_1 src1_sel:DWORD
	v_fmac_f32_e32 v119, v60, v59
	s_waitcnt vmcnt(3)
	ds_write_b128 v102, v[5:8]
	s_waitcnt vmcnt(2)
	ds_write_b128 v105, v[9:12]
	;; [unrolled: 2-line block ×4, first 2 shown]
	s_waitcnt lgkmcnt(0)
	s_barrier
	buffer_gl0_inv
	ds_read2_b64 v[44:47], v87 offset1:32
	ds_read_b128 v[60:63], v104 offset:512
	ds_read_b128 v[56:59], v104 offset:528
	;; [unrolled: 1-line block ×4, first 2 shown]
	ds_read2_b64 v[29:32], v87 offset0:64 offset1:96
	ds_read2_b64 v[13:16], v87 offset0:128 offset1:160
	;; [unrolled: 1-line block ×3, first 2 shown]
	ds_read2_b64 v[5:8], v112 offset1:32
	ds_read_b128 v[148:151], v104 offset:576
	ds_read_b128 v[153:156], v104 offset:592
	;; [unrolled: 1-line block ×4, first 2 shown]
	ds_read2_b64 v[25:28], v112 offset0:64 offset1:96
	ds_read_b128 v[179:182], v104 offset:640
	ds_read_b128 v[186:189], v104 offset:656
	ds_read2_b64 v[21:24], v112 offset0:128 offset1:160
	ds_read_b128 v[190:193], v104 offset:672
	ds_read2_b64 v[17:20], v112 offset0:192 offset1:224
	v_pk_fma_f16 v39, v33, v143, v41
	v_pk_fma_f16 v123, v34, v138, v43
	;; [unrolled: 1-line block ×8, first 2 shown]
	s_waitcnt lgkmcnt(17)
	v_mul_u32_u24_sdwa v37, v60, v111 dst_sel:DWORD dst_unused:UNUSED_PAD src0_sel:WORD_0 src1_sel:DWORD
	v_mul_u32_u24_sdwa v126, v60, v111 dst_sel:DWORD dst_unused:UNUSED_PAD src0_sel:WORD_1 src1_sel:DWORD
	v_mul_u32_u24_sdwa v127, v61, v111 dst_sel:DWORD dst_unused:UNUSED_PAD src0_sel:WORD_0 src1_sel:DWORD
	v_mul_u32_u24_sdwa v133, v61, v111 dst_sel:DWORD dst_unused:UNUSED_PAD src0_sel:WORD_1 src1_sel:DWORD
	s_waitcnt lgkmcnt(14)
	v_mul_u32_u24_sdwa v208, v49, v111 dst_sel:DWORD dst_unused:UNUSED_PAD src0_sel:WORD_0 src1_sel:DWORD
	v_mul_u32_u24_sdwa v209, v49, v111 dst_sel:DWORD dst_unused:UNUSED_PAD src0_sel:WORD_1 src1_sel:DWORD
	v_pk_fma_f16 v39, v35, v136, v39
	v_pk_fma_f16 v49, v36, v134, v123
	v_pk_fma_f16 v123, v36, v130, v124
	v_pk_fma_f16 v124, v36, v129, v125
	v_pk_fma_f16 v125, v36, v136, v34
	v_pk_fma_f16 v38, v35, v134, v38
	v_pk_fma_f16 v40, v35, v130, v40
	v_pk_fma_f16 v129, v35, v129, v33
	v_mul_u32_u24_sdwa v135, v62, v111 dst_sel:DWORD dst_unused:UNUSED_PAD src0_sel:WORD_0 src1_sel:DWORD
	v_mul_u32_u24_sdwa v137, v62, v111 dst_sel:DWORD dst_unused:UNUSED_PAD src0_sel:WORD_1 src1_sel:DWORD
	v_mul_u32_u24_sdwa v161, v63, v111 dst_sel:DWORD dst_unused:UNUSED_PAD src0_sel:WORD_0 src1_sel:DWORD
	v_mul_u32_u24_sdwa v144, v63, v111 dst_sel:DWORD dst_unused:UNUSED_PAD src0_sel:WORD_1 src1_sel:DWORD
	;; [unrolled: 2-line block ×6, first 2 shown]
	ds_read_b128 v[56:59], v104 offset:688
	v_pk_fma_f16 v39, v44, v133, v39
	v_pk_fma_f16 v49, v45, v37, v49
	;; [unrolled: 1-line block ×16, first 2 shown]
	s_waitcnt lgkmcnt(14)
	v_pk_fma_f16 v44, v29, v172, v44
	v_pk_fma_f16 v49, v30, v162, v49
	v_pk_fma_f16 v127, v30, v170, v127
	v_pk_fma_f16 v124, v30, v171, v124
	v_pk_fma_f16 v30, v30, v172, v125
	v_pk_fma_f16 v125, v29, v162, v126
	v_pk_fma_f16 v126, v29, v170, v129
	v_pk_fma_f16 v29, v29, v171, v46
	v_mul_u32_u24_sdwa v198, v52, v111 dst_sel:DWORD dst_unused:UNUSED_PAD src0_sel:WORD_0 src1_sel:DWORD
	v_mul_u32_u24_sdwa v199, v52, v111 dst_sel:DWORD dst_unused:UNUSED_PAD src0_sel:WORD_1 src1_sel:DWORD
	v_mul_u32_u24_sdwa v200, v53, v111 dst_sel:DWORD dst_unused:UNUSED_PAD src0_sel:WORD_0 src1_sel:DWORD
	v_mul_u32_u24_sdwa v201, v53, v111 dst_sel:DWORD dst_unused:UNUSED_PAD src0_sel:WORD_1 src1_sel:DWORD
	;; [unrolled: 2-line block ×4, first 2 shown]
	s_waitcnt lgkmcnt(8)
	v_mul_u32_u24_sdwa v184, v158, v111 dst_sel:DWORD dst_unused:UNUSED_PAD src0_sel:WORD_0 src1_sel:DWORD
	v_mul_u32_u24_sdwa v185, v158, v111 dst_sel:DWORD dst_unused:UNUSED_PAD src0_sel:WORD_1 src1_sel:DWORD
	s_waitcnt lgkmcnt(4)
	v_mul_u32_u24_sdwa v142, v186, v111 dst_sel:DWORD dst_unused:UNUSED_PAD src0_sel:WORD_0 src1_sel:DWORD
	v_mul_u32_u24_sdwa v146, v186, v111 dst_sel:DWORD dst_unused:UNUSED_PAD src0_sel:WORD_1 src1_sel:DWORD
	v_mul_u32_u24_sdwa v147, v187, v111 dst_sel:DWORD dst_unused:UNUSED_PAD src0_sel:WORD_0 src1_sel:DWORD
	v_mul_u32_u24_sdwa v158, v187, v111 dst_sel:DWORD dst_unused:UNUSED_PAD src0_sel:WORD_1 src1_sel:DWORD
	;; [unrolled: 2-line block ×4, first 2 shown]
	ds_read_b128 v[186:189], v104 offset:704
	v_pk_fma_f16 v44, v31, v197, v44
	v_pk_fma_f16 v129, v32, v197, v30
	;; [unrolled: 1-line block ×8, first 2 shown]
	v_mul_u32_u24_sdwa v202, v54, v111 dst_sel:DWORD dst_unused:UNUSED_PAD src0_sel:WORD_0 src1_sel:DWORD
	v_mul_u32_u24_sdwa v203, v54, v111 dst_sel:DWORD dst_unused:UNUSED_PAD src0_sel:WORD_1 src1_sel:DWORD
	v_mul_u32_u24_sdwa v213, v148, v111 dst_sel:DWORD dst_unused:UNUSED_PAD src0_sel:WORD_0 src1_sel:DWORD
	v_mul_u32_u24_sdwa v214, v148, v111 dst_sel:DWORD dst_unused:UNUSED_PAD src0_sel:WORD_1 src1_sel:DWORD
	v_mul_u32_u24_sdwa v173, v154, v111 dst_sel:DWORD dst_unused:UNUSED_PAD src0_sel:WORD_0 src1_sel:DWORD
	v_mul_u32_u24_sdwa v183, v154, v111 dst_sel:DWORD dst_unused:UNUSED_PAD src0_sel:WORD_1 src1_sel:DWORD
	v_mul_u32_u24_sdwa v52, v156, v111 dst_sel:DWORD dst_unused:UNUSED_PAD src0_sel:WORD_0 src1_sel:DWORD
	v_mul_u32_u24_sdwa v138, v156, v111 dst_sel:DWORD dst_unused:UNUSED_PAD src0_sel:WORD_1 src1_sel:DWORD
	v_mul_u32_u24_sdwa v139, v159, v111 dst_sel:DWORD dst_unused:UNUSED_PAD src0_sel:WORD_0 src1_sel:DWORD
	v_mul_u32_u24_sdwa v61, v159, v111 dst_sel:DWORD dst_unused:UNUSED_PAD src0_sel:WORD_1 src1_sel:DWORD
	v_mul_u32_u24_sdwa v165, v166, v111 dst_sel:DWORD dst_unused:UNUSED_PAD src0_sel:WORD_0 src1_sel:DWORD
	v_mul_u32_u24_sdwa v175, v166, v111 dst_sel:DWORD dst_unused:UNUSED_PAD src0_sel:WORD_1 src1_sel:DWORD
	v_mul_u32_u24_sdwa v54, v169, v111 dst_sel:DWORD dst_unused:UNUSED_PAD src0_sel:WORD_0 src1_sel:DWORD
	v_mul_u32_u24_sdwa v154, v169, v111 dst_sel:DWORD dst_unused:UNUSED_PAD src0_sel:WORD_1 src1_sel:DWORD
	v_mul_u32_u24_sdwa v156, v179, v111 dst_sel:DWORD dst_unused:UNUSED_PAD src0_sel:WORD_0 src1_sel:DWORD
	v_mul_u32_u24_sdwa v166, v179, v111 dst_sel:DWORD dst_unused:UNUSED_PAD src0_sel:WORD_1 src1_sel:DWORD
	s_waitcnt lgkmcnt(1)
	v_mul_u32_u24_sdwa v148, v56, v111 dst_sel:DWORD dst_unused:UNUSED_PAD src0_sel:WORD_0 src1_sel:DWORD
	v_mul_u32_u24_sdwa v159, v56, v111 dst_sel:DWORD dst_unused:UNUSED_PAD src0_sel:WORD_1 src1_sel:DWORD
	v_mul_u32_u24_sdwa v169, v57, v111 dst_sel:DWORD dst_unused:UNUSED_PAD src0_sel:WORD_0 src1_sel:DWORD
	v_mul_u32_u24_sdwa v179, v57, v111 dst_sel:DWORD dst_unused:UNUSED_PAD src0_sel:WORD_1 src1_sel:DWORD
	;; [unrolled: 2-line block ×4, first 2 shown]
	v_pk_fma_f16 v44, v13, v201, v44
	v_pk_fma_f16 v49, v14, v198, v49
	;; [unrolled: 1-line block ×8, first 2 shown]
	v_mul_u32_u24_sdwa v164, v157, v111 dst_sel:DWORD dst_unused:UNUSED_PAD src0_sel:WORD_0 src1_sel:DWORD
	v_mul_u32_u24_sdwa v174, v157, v111 dst_sel:DWORD dst_unused:UNUSED_PAD src0_sel:WORD_1 src1_sel:DWORD
	v_mul_u32_u24_sdwa v177, v167, v111 dst_sel:DWORD dst_unused:UNUSED_PAD src0_sel:WORD_0 src1_sel:DWORD
	v_mul_u32_u24_sdwa v178, v167, v111 dst_sel:DWORD dst_unused:UNUSED_PAD src0_sel:WORD_1 src1_sel:DWORD
	;; [unrolled: 2-line block ×6, first 2 shown]
	ds_read_b128 v[190:193], v104 offset:720
	ds_read_b128 v[194:197], v104 offset:736
	v_pk_fma_f16 v44, v15, v205, v44
	v_pk_fma_f16 v126, v16, v205, v14
	v_pk_fma_f16 v127, v16, v202, v49
	v_pk_fma_f16 v59, v15, v202, v59
	v_pk_fma_f16 v129, v16, v203, v57
	v_pk_fma_f16 v130, v15, v203, v125
	v_pk_fma_f16 v58, v16, v204, v58
	v_pk_fma_f16 v136, v15, v204, v13
	v_mul_u32_u24_sdwa v210, v50, v111 dst_sel:DWORD dst_unused:UNUSED_PAD src0_sel:WORD_0 src1_sel:DWORD
	v_mul_u32_u24_sdwa v50, v50, v111 dst_sel:DWORD dst_unused:UNUSED_PAD src0_sel:WORD_1 src1_sel:DWORD
	v_mul_u32_u24_sdwa v211, v51, v111 dst_sel:DWORD dst_unused:UNUSED_PAD src0_sel:WORD_0 src1_sel:DWORD
	v_mul_u32_u24_sdwa v212, v51, v111 dst_sel:DWORD dst_unused:UNUSED_PAD src0_sel:WORD_1 src1_sel:DWORD
	v_pk_fma_f16 v44, v9, v209, v44
	v_pk_fma_f16 v127, v10, v206, v127
	;; [unrolled: 1-line block ×8, first 2 shown]
	v_mul_u32_u24_sdwa v215, v149, v111 dst_sel:DWORD dst_unused:UNUSED_PAD src0_sel:WORD_0 src1_sel:DWORD
	v_mul_u32_u24_sdwa v216, v149, v111 dst_sel:DWORD dst_unused:UNUSED_PAD src0_sel:WORD_1 src1_sel:DWORD
	v_mul_u32_u24_sdwa v41, v151, v111 dst_sel:DWORD dst_unused:UNUSED_PAD src0_sel:WORD_0 src1_sel:DWORD
	v_mul_u32_u24_sdwa v51, v151, v111 dst_sel:DWORD dst_unused:UNUSED_PAD src0_sel:WORD_1 src1_sel:DWORD
	;; [unrolled: 2-line block ×6, first 2 shown]
	s_waitcnt lgkmcnt(2)
	v_mul_u32_u24_sdwa v149, v186, v111 dst_sel:DWORD dst_unused:UNUSED_PAD src0_sel:WORD_0 src1_sel:DWORD
	v_mul_u32_u24_sdwa v160, v186, v111 dst_sel:DWORD dst_unused:UNUSED_PAD src0_sel:WORD_1 src1_sel:DWORD
	v_mul_u32_u24_sdwa v170, v187, v111 dst_sel:DWORD dst_unused:UNUSED_PAD src0_sel:WORD_0 src1_sel:DWORD
	v_mul_u32_u24_sdwa v180, v187, v111 dst_sel:DWORD dst_unused:UNUSED_PAD src0_sel:WORD_1 src1_sel:DWORD
	;; [unrolled: 2-line block ×4, first 2 shown]
	ds_read_b128 v[186:189], v104 offset:752
	v_pk_fma_f16 v44, v11, v212, v44
	v_pk_fma_f16 v130, v12, v212, v10
	;; [unrolled: 1-line block ×8, first 2 shown]
	v_mul_u32_u24_sdwa v43, v150, v111 dst_sel:DWORD dst_unused:UNUSED_PAD src0_sel:WORD_0 src1_sel:DWORD
	v_mul_u32_u24_sdwa v42, v150, v111 dst_sel:DWORD dst_unused:UNUSED_PAD src0_sel:WORD_1 src1_sel:DWORD
	v_mul_u32_u24_sdwa v128, v155, v111 dst_sel:DWORD dst_unused:UNUSED_PAD src0_sel:WORD_0 src1_sel:DWORD
	v_mul_u32_u24_sdwa v60, v155, v111 dst_sel:DWORD dst_unused:UNUSED_PAD src0_sel:WORD_1 src1_sel:DWORD
	;; [unrolled: 2-line block ×3, first 2 shown]
	v_pk_fma_f16 v44, v5, v216, v44
	v_pk_fma_f16 v127, v6, v213, v127
	;; [unrolled: 1-line block ×8, first 2 shown]
	v_mul_u32_u24_sdwa v143, v181, v111 dst_sel:DWORD dst_unused:UNUSED_PAD src0_sel:WORD_0 src1_sel:DWORD
	v_mul_u32_u24_sdwa v141, v181, v111 dst_sel:DWORD dst_unused:UNUSED_PAD src0_sel:WORD_1 src1_sel:DWORD
	s_waitcnt lgkmcnt(2)
	v_mul_u32_u24_sdwa v150, v190, v111 dst_sel:DWORD dst_unused:UNUSED_PAD src0_sel:WORD_0 src1_sel:DWORD
	v_mul_u32_u24_sdwa v161, v190, v111 dst_sel:DWORD dst_unused:UNUSED_PAD src0_sel:WORD_1 src1_sel:DWORD
	v_mul_u32_u24_sdwa v171, v191, v111 dst_sel:DWORD dst_unused:UNUSED_PAD src0_sel:WORD_0 src1_sel:DWORD
	v_mul_u32_u24_sdwa v181, v191, v111 dst_sel:DWORD dst_unused:UNUSED_PAD src0_sel:WORD_1 src1_sel:DWORD
	;; [unrolled: 2-line block ×4, first 2 shown]
	ds_read_b128 v[190:193], v104 offset:768
	v_pk_fma_f16 v198, v7, v51, v44
	v_pk_fma_f16 v6, v8, v51, v6
	;; [unrolled: 1-line block ×8, first 2 shown]
	s_waitcnt lgkmcnt(2)
	v_mul_u32_u24_sdwa v151, v194, v111 dst_sel:DWORD dst_unused:UNUSED_PAD src0_sel:WORD_0 src1_sel:DWORD
	v_mul_u32_u24_sdwa v162, v194, v111 dst_sel:DWORD dst_unused:UNUSED_PAD src0_sel:WORD_1 src1_sel:DWORD
	v_mul_u32_u24_sdwa v172, v195, v111 dst_sel:DWORD dst_unused:UNUSED_PAD src0_sel:WORD_0 src1_sel:DWORD
	v_mul_u32_u24_sdwa v182, v195, v111 dst_sel:DWORD dst_unused:UNUSED_PAD src0_sel:WORD_1 src1_sel:DWORD
	;; [unrolled: 2-line block ×3, first 2 shown]
	v_pk_fma_f16 v194, v25, v183, v198
	v_pk_fma_f16 v195, v26, v152, v199
	;; [unrolled: 1-line block ×8, first 2 shown]
	v_mul_u32_u24_sdwa v51, v197, v111 dst_sel:DWORD dst_unused:UNUSED_PAD src0_sel:WORD_0 src1_sel:DWORD
	v_mul_u32_u24_sdwa v137, v197, v111 dst_sel:DWORD dst_unused:UNUSED_PAD src0_sel:WORD_1 src1_sel:DWORD
	ds_read_b128 v[5:8], v104 offset:784
	v_pk_fma_f16 v194, v27, v138, v194
	v_pk_fma_f16 v197, v28, v138, v26
	s_waitcnt lgkmcnt(2)
	v_mul_u32_u24_sdwa v152, v186, v111 dst_sel:DWORD dst_unused:UNUSED_PAD src0_sel:WORD_0 src1_sel:DWORD
	v_pk_fma_f16 v195, v28, v128, v195
	v_pk_fma_f16 v198, v27, v128, v183
	v_mul_u32_u24_sdwa v163, v186, v111 dst_sel:DWORD dst_unused:UNUSED_PAD src0_sel:WORD_1 src1_sel:DWORD
	v_pk_fma_f16 v129, v28, v60, v129
	v_pk_fma_f16 v130, v27, v60, v130
	;; [unrolled: 1-line block ×4, first 2 shown]
	ds_read2_b64 v[33:36], v113 offset1:32
	v_pk_fma_f16 v194, v21, v185, v194
	v_pk_fma_f16 v195, v22, v164, v195
	;; [unrolled: 1-line block ×10, first 2 shown]
	s_waitcnt lgkmcnt(2)
	v_mul_u32_u24_sdwa v153, v190, v111 dst_sel:DWORD dst_unused:UNUSED_PAD src0_sel:WORD_0 src1_sel:DWORD
	v_pk_fma_f16 v195, v24, v139, v195
	v_pk_fma_f16 v196, v23, v139, v164
	v_mul_u32_u24_sdwa v164, v190, v111 dst_sel:DWORD dst_unused:UNUSED_PAD src0_sel:WORD_1 src1_sel:DWORD
	v_pk_fma_f16 v190, v24, v61, v129
	v_pk_fma_f16 v130, v23, v61, v130
	;; [unrolled: 1-line block ×4, first 2 shown]
	ds_read2_b64 v[37:40], v113 offset0:64 offset1:96
	v_mul_u32_u24_sdwa v173, v187, v111 dst_sel:DWORD dst_unused:UNUSED_PAD src0_sel:WORD_0 src1_sel:DWORD
	v_mul_u32_u24_sdwa v183, v187, v111 dst_sel:DWORD dst_unused:UNUSED_PAD src0_sel:WORD_1 src1_sel:DWORD
	v_mul_u32_u24_sdwa v128, v188, v111 dst_sel:DWORD dst_unused:UNUSED_PAD src0_sel:WORD_0 src1_sel:DWORD
	v_mul_u32_u24_sdwa v60, v188, v111 dst_sel:DWORD dst_unused:UNUSED_PAD src0_sel:WORD_1 src1_sel:DWORD
	;; [unrolled: 2-line block ×3, first 2 shown]
	ds_read_b128 v[186:189], v104 offset:800
	v_pk_fma_f16 v185, v17, v178, v185
	v_pk_fma_f16 v195, v18, v165, v195
	;; [unrolled: 1-line block ×10, first 2 shown]
	s_waitcnt lgkmcnt(3)
	v_mul_u32_u24_sdwa v154, v5, v111 dst_sel:DWORD dst_unused:UNUSED_PAD src0_sel:WORD_0 src1_sel:DWORD
	v_pk_fma_f16 v194, v20, v140, v195
	v_pk_fma_f16 v195, v19, v140, v165
	v_mul_u32_u24_sdwa v165, v5, v111 dst_sel:DWORD dst_unused:UNUSED_PAD src0_sel:WORD_1 src1_sel:DWORD
	v_pk_fma_f16 v5, v20, v62, v199
	v_pk_fma_f16 v196, v19, v62, v130
	v_pk_fma_f16 v197, v20, v54, v197
	v_pk_fma_f16 v198, v19, v54, v17
	ds_read2_b64 v[29:32], v113 offset0:128 offset1:160
	v_mul_u32_u24_sdwa v174, v191, v111 dst_sel:DWORD dst_unused:UNUSED_PAD src0_sel:WORD_0 src1_sel:DWORD
	v_mul_u32_u24_sdwa v184, v191, v111 dst_sel:DWORD dst_unused:UNUSED_PAD src0_sel:WORD_1 src1_sel:DWORD
	v_mul_u32_u24_sdwa v129, v192, v111 dst_sel:DWORD dst_unused:UNUSED_PAD src0_sel:WORD_0 src1_sel:DWORD
	v_mul_u32_u24_sdwa v61, v192, v111 dst_sel:DWORD dst_unused:UNUSED_PAD src0_sel:WORD_1 src1_sel:DWORD
	;; [unrolled: 2-line block ×3, first 2 shown]
	ds_read_b128 v[190:193], v104 offset:816
	s_waitcnt lgkmcnt(4)
	v_pk_fma_f16 v177, v33, v176, v177
	v_pk_fma_f16 v194, v34, v156, v194
	;; [unrolled: 1-line block ×8, first 2 shown]
	v_mul_u32_u24_sdwa v175, v6, v111 dst_sel:DWORD dst_unused:UNUSED_PAD src0_sel:WORD_0 src1_sel:DWORD
	v_mul_u32_u24_sdwa v185, v6, v111 dst_sel:DWORD dst_unused:UNUSED_PAD src0_sel:WORD_1 src1_sel:DWORD
	v_mul_u32_u24_sdwa v130, v7, v111 dst_sel:DWORD dst_unused:UNUSED_PAD src0_sel:WORD_0 src1_sel:DWORD
	v_mul_u32_u24_sdwa v62, v7, v111 dst_sel:DWORD dst_unused:UNUSED_PAD src0_sel:WORD_1 src1_sel:DWORD
	;; [unrolled: 2-line block ×3, first 2 shown]
	ds_read_b128 v[5:8], v104 offset:832
	v_pk_fma_f16 v168, v35, v155, v177
	v_pk_fma_f16 v177, v36, v155, v34
	v_pk_fma_f16 v178, v36, v143, v194
	v_pk_fma_f16 v194, v35, v143, v156
	v_pk_fma_f16 v195, v36, v141, v199
	v_pk_fma_f16 v196, v35, v141, v176
	v_pk_fma_f16 v197, v36, v131, v197
	v_pk_fma_f16 v198, v35, v131, v33
	ds_read2_b64 v[13:16], v113 offset0:192 offset1:224
	s_waitcnt lgkmcnt(4)
	v_mul_u32_u24_sdwa v155, v186, v111 dst_sel:DWORD dst_unused:UNUSED_PAD src0_sel:WORD_0 src1_sel:DWORD
	v_mul_u32_u24_sdwa v166, v186, v111 dst_sel:DWORD dst_unused:UNUSED_PAD src0_sel:WORD_1 src1_sel:DWORD
	v_mul_u32_u24_sdwa v176, v187, v111 dst_sel:DWORD dst_unused:UNUSED_PAD src0_sel:WORD_0 src1_sel:DWORD
	v_mul_u32_u24_sdwa v186, v187, v111 dst_sel:DWORD dst_unused:UNUSED_PAD src0_sel:WORD_1 src1_sel:DWORD
	;; [unrolled: 2-line block ×3, first 2 shown]
	v_pk_fma_f16 v168, v37, v158, v168
	v_pk_fma_f16 v178, v38, v142, v178
	;; [unrolled: 1-line block ×8, first 2 shown]
	v_mul_u32_u24_sdwa v131, v189, v111 dst_sel:DWORD dst_unused:UNUSED_PAD src0_sel:WORD_0 src1_sel:DWORD
	v_mul_u32_u24_sdwa v156, v189, v111 dst_sel:DWORD dst_unused:UNUSED_PAD src0_sel:WORD_1 src1_sel:DWORD
	v_pk_fma_f16 v189, v39, v132, v168
	v_pk_fma_f16 v198, v40, v132, v38
	;; [unrolled: 1-line block ×8, first 2 shown]
	ds_read2_b64 v[9:12], v114 offset1:32
	s_waitcnt lgkmcnt(3)
	v_mul_u32_u24_sdwa v142, v192, v111 dst_sel:DWORD dst_unused:UNUSED_PAD src0_sel:WORD_0 src1_sel:DWORD
	v_mul_u32_u24_sdwa v132, v192, v111 dst_sel:DWORD dst_unused:UNUSED_PAD src0_sel:WORD_1 src1_sel:DWORD
	v_mul_u32_u24_sdwa v63, v193, v111 dst_sel:DWORD dst_unused:UNUSED_PAD src0_sel:WORD_0 src1_sel:DWORD
	v_mul_u32_u24_sdwa v147, v193, v111 dst_sel:DWORD dst_unused:UNUSED_PAD src0_sel:WORD_1 src1_sel:DWORD
	v_pk_fma_f16 v192, v29, v167, v189
	v_pk_fma_f16 v193, v30, v144, v199
	;; [unrolled: 1-line block ×8, first 2 shown]
	ds_read_b128 v[194:197], v104 offset:848
	v_mul_u32_u24_sdwa v146, v190, v111 dst_sel:DWORD dst_unused:UNUSED_PAD src0_sel:WORD_0 src1_sel:DWORD
	v_mul_u32_u24_sdwa v158, v190, v111 dst_sel:DWORD dst_unused:UNUSED_PAD src0_sel:WORD_1 src1_sel:DWORD
	v_mul_u32_u24_sdwa v168, v191, v111 dst_sel:DWORD dst_unused:UNUSED_PAD src0_sel:WORD_0 src1_sel:DWORD
	v_mul_u32_u24_sdwa v178, v191, v111 dst_sel:DWORD dst_unused:UNUSED_PAD src0_sel:WORD_1 src1_sel:DWORD
	ds_read_b128 v[188:191], v104 offset:864
	v_pk_fma_f16 v48, v31, v133, v192
	v_pk_fma_f16 v192, v32, v133, v30
	s_waitcnt lgkmcnt(4)
	v_mul_u32_u24_sdwa v144, v5, v111 dst_sel:DWORD dst_unused:UNUSED_PAD src0_sel:WORD_0 src1_sel:DWORD
	v_pk_fma_f16 v193, v32, v123, v193
	v_pk_fma_f16 v198, v31, v123, v167
	v_mul_u32_u24_sdwa v157, v5, v111 dst_sel:DWORD dst_unused:UNUSED_PAD src0_sel:WORD_1 src1_sel:DWORD
	v_pk_fma_f16 v5, v32, v47, v187
	v_pk_fma_f16 v47, v31, v47, v55
	;; [unrolled: 1-line block ×4, first 2 shown]
	ds_read2_b64 v[41:44], v114 offset0:64 offset1:96
	v_mul_u32_u24_sdwa v167, v6, v111 dst_sel:DWORD dst_unused:UNUSED_PAD src0_sel:WORD_0 src1_sel:DWORD
	v_mul_u32_u24_sdwa v177, v6, v111 dst_sel:DWORD dst_unused:UNUSED_PAD src0_sel:WORD_1 src1_sel:DWORD
	v_mul_u32_u24_sdwa v133, v7, v111 dst_sel:DWORD dst_unused:UNUSED_PAD src0_sel:WORD_0 src1_sel:DWORD
	v_mul_u32_u24_sdwa v123, v7, v111 dst_sel:DWORD dst_unused:UNUSED_PAD src0_sel:WORD_1 src1_sel:DWORD
	;; [unrolled: 2-line block ×3, first 2 shown]
	s_waitcnt lgkmcnt(4)
	v_pk_fma_f16 v6, v13, v179, v48
	v_pk_fma_f16 v7, v14, v148, v193
	;; [unrolled: 1-line block ×16, first 2 shown]
	ds_read2_b64 v[25:28], v114 offset0:128 offset1:160
	ds_read_b128 v[198:201], v104 offset:880
	s_waitcnt lgkmcnt(5)
	v_pk_fma_f16 v6, v9, v180, v6
	v_pk_fma_f16 v7, v10, v149, v7
	v_pk_fma_f16 v5, v10, v160, v5
	v_pk_fma_f16 v8, v10, v170, v8
	v_pk_fma_f16 v10, v10, v180, v134
	v_pk_fma_f16 v124, v9, v149, v124
	v_pk_fma_f16 v134, v9, v160, v56
	v_pk_fma_f16 v9, v9, v170, v148
	v_pk_fma_f16 v149, v11, v135, v6
	v_pk_fma_f16 v10, v12, v135, v10
	s_waitcnt lgkmcnt(3)
	v_mul_u32_u24_sdwa v56, v188, v111 dst_sel:DWORD dst_unused:UNUSED_PAD src0_sel:WORD_0 src1_sel:DWORD
	v_pk_fma_f16 v160, v12, v125, v7
	v_pk_fma_f16 v170, v11, v125, v124
	v_mul_u32_u24_sdwa v124, v188, v111 dst_sel:DWORD dst_unused:UNUSED_PAD src0_sel:WORD_1 src1_sel:DWORD
	v_pk_fma_f16 v180, v12, v57, v5
	v_pk_fma_f16 v188, v11, v57, v134
	;; [unrolled: 1-line block ×4, first 2 shown]
	ds_read2_b64 v[21:24], v114 offset0:192 offset1:224
	v_mul_u32_u24_sdwa v159, v194, v111 dst_sel:DWORD dst_unused:UNUSED_PAD src0_sel:WORD_0 src1_sel:DWORD
	v_mul_u32_u24_sdwa v169, v194, v111 dst_sel:DWORD dst_unused:UNUSED_PAD src0_sel:WORD_1 src1_sel:DWORD
	v_mul_u32_u24_sdwa v179, v195, v111 dst_sel:DWORD dst_unused:UNUSED_PAD src0_sel:WORD_0 src1_sel:DWORD
	v_mul_u32_u24_sdwa v187, v195, v111 dst_sel:DWORD dst_unused:UNUSED_PAD src0_sel:WORD_1 src1_sel:DWORD
	ds_read_b128 v[192:195], v104 offset:896
	s_waitcnt lgkmcnt(4)
	v_pk_fma_f16 v11, v41, v181, v149
	v_pk_fma_f16 v149, v42, v150, v160
	;; [unrolled: 1-line block ×8, first 2 shown]
	v_mul_u32_u24_sdwa v134, v189, v111 dst_sel:DWORD dst_unused:UNUSED_PAD src0_sel:WORD_0 src1_sel:DWORD
	v_mul_u32_u24_sdwa v148, v189, v111 dst_sel:DWORD dst_unused:UNUSED_PAD src0_sel:WORD_1 src1_sel:DWORD
	v_mul_u32_u24_sdwa v49, v190, v111 dst_sel:DWORD dst_unused:UNUSED_PAD src0_sel:WORD_0 src1_sel:DWORD
	v_mul_u32_u24_sdwa v57, v190, v111 dst_sel:DWORD dst_unused:UNUSED_PAD src0_sel:WORD_1 src1_sel:DWORD
	v_mul_u32_u24_sdwa v125, v191, v111 dst_sel:DWORD dst_unused:UNUSED_PAD src0_sel:WORD_0 src1_sel:DWORD
	v_mul_u32_u24_sdwa v135, v191, v111 dst_sel:DWORD dst_unused:UNUSED_PAD src0_sel:WORD_1 src1_sel:DWORD
	ds_read_b128 v[188:191], v104 offset:912
	v_pk_fma_f16 v161, v43, v136, v11
	v_pk_fma_f16 v170, v44, v136, v10
	;; [unrolled: 1-line block ×8, first 2 shown]
	ds_read2_b64 v[17:20], v115 offset1:32
	s_waitcnt lgkmcnt(4)
	v_mul_u32_u24_sdwa v43, v200, v111 dst_sel:DWORD dst_unused:UNUSED_PAD src0_sel:WORD_0 src1_sel:DWORD
	v_mul_u32_u24_sdwa v44, v200, v111 dst_sel:DWORD dst_unused:UNUSED_PAD src0_sel:WORD_1 src1_sel:DWORD
	v_pk_fma_f16 v161, v25, v182, v161
	v_pk_fma_f16 v200, v26, v151, v149
	v_pk_fma_f16 v160, v26, v162, v160
	v_pk_fma_f16 v180, v26, v172, v180
	v_pk_fma_f16 v26, v26, v182, v170
	v_pk_fma_f16 v151, v25, v151, v171
	v_pk_fma_f16 v162, v25, v162, v150
	v_pk_fma_f16 v25, v25, v172, v181
	v_pk_fma_f16 v161, v27, v137, v161
	v_pk_fma_f16 v170, v28, v137, v26
	v_pk_fma_f16 v171, v28, v127, v200
	v_pk_fma_f16 v172, v27, v127, v151
	v_pk_fma_f16 v181, v28, v59, v160
	v_pk_fma_f16 v162, v27, v59, v162
	v_pk_fma_f16 v180, v28, v51, v180
	v_pk_fma_f16 v182, v27, v51, v25
	ds_read2_b64 v[33:36], v115 offset0:64 offset1:96
	v_mul_u32_u24_sdwa v47, v196, v111 dst_sel:DWORD dst_unused:UNUSED_PAD src0_sel:WORD_0 src1_sel:DWORD
	v_mul_u32_u24_sdwa v46, v196, v111 dst_sel:DWORD dst_unused:UNUSED_PAD src0_sel:WORD_1 src1_sel:DWORD
	v_mul_u32_u24_sdwa v45, v197, v111 dst_sel:DWORD dst_unused:UNUSED_PAD src0_sel:WORD_0 src1_sel:DWORD
	v_mul_u32_u24_sdwa v48, v197, v111 dst_sel:DWORD dst_unused:UNUSED_PAD src0_sel:WORD_1 src1_sel:DWORD
	;; [unrolled: 2-line block ×4, first 2 shown]
	ds_read_b128 v[196:199], v104 offset:928
	s_waitcnt lgkmcnt(4)
	v_mul_u32_u24_sdwa v149, v192, v111 dst_sel:DWORD dst_unused:UNUSED_PAD src0_sel:WORD_0 src1_sel:DWORD
	v_mul_u32_u24_sdwa v150, v192, v111 dst_sel:DWORD dst_unused:UNUSED_PAD src0_sel:WORD_1 src1_sel:DWORD
	v_mul_u32_u24_sdwa v151, v193, v111 dst_sel:DWORD dst_unused:UNUSED_PAD src0_sel:WORD_0 src1_sel:DWORD
	v_mul_u32_u24_sdwa v160, v193, v111 dst_sel:DWORD dst_unused:UNUSED_PAD src0_sel:WORD_1 src1_sel:DWORD
	v_pk_fma_f16 v161, v21, v183, v161
	v_pk_fma_f16 v171, v22, v152, v171
	;; [unrolled: 1-line block ×8, first 2 shown]
	v_mul_u32_u24_sdwa v59, v194, v111 dst_sel:DWORD dst_unused:UNUSED_PAD src0_sel:WORD_0 src1_sel:DWORD
	v_mul_u32_u24_sdwa v127, v194, v111 dst_sel:DWORD dst_unused:UNUSED_PAD src0_sel:WORD_1 src1_sel:DWORD
	v_pk_fma_f16 v170, v23, v138, v161
	v_pk_fma_f16 v172, v24, v138, v22
	s_waitcnt lgkmcnt(3)
	v_mul_u32_u24_sdwa v138, v188, v111 dst_sel:DWORD dst_unused:UNUSED_PAD src0_sel:WORD_0 src1_sel:DWORD
	v_pk_fma_f16 v171, v24, v128, v171
	v_pk_fma_f16 v173, v23, v128, v152
	v_mul_u32_u24_sdwa v128, v188, v111 dst_sel:DWORD dst_unused:UNUSED_PAD src0_sel:WORD_1 src1_sel:DWORD
	v_pk_fma_f16 v188, v24, v60, v192
	v_pk_fma_f16 v192, v23, v60, v162
	;; [unrolled: 1-line block ×4, first 2 shown]
	ds_read2_b64 v[37:40], v115 offset0:128 offset1:160
	v_mul_u32_u24_sdwa v51, v195, v111 dst_sel:DWORD dst_unused:UNUSED_PAD src0_sel:WORD_0 src1_sel:DWORD
	v_mul_u32_u24_sdwa v137, v195, v111 dst_sel:DWORD dst_unused:UNUSED_PAD src0_sel:WORD_1 src1_sel:DWORD
	s_waitcnt lgkmcnt(3)
	v_pk_fma_f16 v170, v17, v184, v170
	v_pk_fma_f16 v171, v18, v153, v171
	;; [unrolled: 1-line block ×16, first 2 shown]
	ds_read2_b64 v[29:32], v115 offset0:192 offset1:224
	s_waitcnt lgkmcnt(2)
	v_mul_u32_u24_sdwa v139, v196, v111 dst_sel:DWORD dst_unused:UNUSED_PAD src0_sel:WORD_0 src1_sel:DWORD
	v_mul_u32_u24_sdwa v129, v196, v111 dst_sel:DWORD dst_unused:UNUSED_PAD src0_sel:WORD_1 src1_sel:DWORD
	v_mul_u32_u24_sdwa v164, v197, v111 dst_sel:DWORD dst_unused:UNUSED_PAD src0_sel:WORD_0 src1_sel:DWORD
	v_mul_u32_u24_sdwa v171, v197, v111 dst_sel:DWORD dst_unused:UNUSED_PAD src0_sel:WORD_1 src1_sel:DWORD
	v_pk_fma_f16 v196, v33, v185, v172
	v_pk_fma_f16 v197, v34, v154, v174
	;; [unrolled: 1-line block ×16, first 2 shown]
	ds_read2_b64 v[13:16], v116 offset1:32
	v_mul_u32_u24_sdwa v53, v198, v111 dst_sel:DWORD dst_unused:UNUSED_PAD src0_sel:WORD_0 src1_sel:DWORD
	v_mul_u32_u24_sdwa v61, v198, v111 dst_sel:DWORD dst_unused:UNUSED_PAD src0_sel:WORD_1 src1_sel:DWORD
	s_waitcnt lgkmcnt(2)
	v_pk_fma_f16 v185, v37, v186, v185
	v_pk_fma_f16 v196, v38, v155, v195
	v_pk_fma_f16 v197, v38, v166, v192
	v_pk_fma_f16 v198, v38, v176, v193
	v_pk_fma_f16 v38, v38, v186, v194
	v_pk_fma_f16 v154, v37, v155, v154
	v_pk_fma_f16 v155, v37, v166, v165
	v_pk_fma_f16 v37, v37, v176, v184
	v_pk_fma_f16 v165, v39, v156, v185
	v_pk_fma_f16 v156, v40, v156, v38
	v_pk_fma_f16 v176, v40, v143, v196
	v_pk_fma_f16 v143, v39, v143, v154
	v_pk_fma_f16 v154, v40, v141, v197
	v_pk_fma_f16 v141, v39, v141, v155
	v_pk_fma_f16 v155, v40, v131, v198
	v_pk_fma_f16 v131, v39, v131, v37
	ds_read2_b64 v[5:8], v116 offset0:64 offset1:96
	ds_read_b128 v[172:175], v104 offset:976
	ds_read_b128 v[192:195], v104 offset:992
	s_waitcnt lgkmcnt(4)
	v_pk_fma_f16 v165, v29, v178, v165
	v_pk_fma_f16 v176, v30, v146, v176
	;; [unrolled: 1-line block ×16, first 2 shown]
	ds_read2_b64 v[9:12], v116 offset0:128 offset1:160
	s_waitcnt lgkmcnt(4)
	v_pk_fma_f16 v131, v13, v177, v131
	v_pk_fma_f16 v154, v14, v144, v156
	;; [unrolled: 1-line block ×16, first 2 shown]
	ds_read2_b64 v[25:28], v116 offset0:192 offset1:224
	s_waitcnt lgkmcnt(2)
	v_mul_u32_u24_sdwa v145, v192, v111 dst_sel:DWORD dst_unused:UNUSED_PAD src0_sel:WORD_0 src1_sel:DWORD
	v_mul_u32_u24_sdwa v146, v192, v111 dst_sel:DWORD dst_unused:UNUSED_PAD src0_sel:WORD_1 src1_sel:DWORD
	v_mul_u32_u24_sdwa v132, v193, v111 dst_sel:DWORD dst_unused:UNUSED_PAD src0_sel:WORD_0 src1_sel:DWORD
	v_mul_u32_u24_sdwa v167, v193, v111 dst_sel:DWORD dst_unused:UNUSED_PAD src0_sel:WORD_1 src1_sel:DWORD
	;; [unrolled: 2-line block ×4, first 2 shown]
	v_pk_fma_f16 v63, v5, v187, v63
	v_pk_fma_f16 v193, v6, v159, v154
	;; [unrolled: 1-line block ×16, first 2 shown]
	ds_read_b128 v[180:183], v104 offset:944
	ds_read2_b64 v[21:24], v117 offset1:32
	s_waitcnt lgkmcnt(3)
	v_pk_fma_f16 v55, v9, v148, v55
	v_pk_fma_f16 v63, v10, v56, v63
	;; [unrolled: 1-line block ×16, first 2 shown]
	v_mul_u32_u24_sdwa v50, v201, v111 dst_sel:DWORD dst_unused:UNUSED_PAD src0_sel:WORD_0 src1_sel:DWORD
	v_mul_u32_u24_sdwa v126, v201, v111 dst_sel:DWORD dst_unused:UNUSED_PAD src0_sel:WORD_1 src1_sel:DWORD
	ds_read2_b64 v[17:20], v117 offset0:64 offset1:96
	s_waitcnt lgkmcnt(3)
	v_pk_fma_f16 v9, v25, v136, v9
	v_pk_fma_f16 v11, v26, v41, v47
	;; [unrolled: 1-line block ×16, first 2 shown]
	v_mul_u32_u24_sdwa v161, v189, v111 dst_sel:DWORD dst_unused:UNUSED_PAD src0_sel:WORD_0 src1_sel:DWORD
	v_mul_u32_u24_sdwa v163, v189, v111 dst_sel:DWORD dst_unused:UNUSED_PAD src0_sel:WORD_1 src1_sel:DWORD
	v_mul_u32_u24_sdwa v52, v190, v111 dst_sel:DWORD dst_unused:UNUSED_PAD src0_sel:WORD_0 src1_sel:DWORD
	v_mul_u32_u24_sdwa v60, v190, v111 dst_sel:DWORD dst_unused:UNUSED_PAD src0_sel:WORD_1 src1_sel:DWORD
	;; [unrolled: 2-line block ×3, first 2 shown]
	ds_read_b128 v[188:191], v104 offset:960
	s_waitcnt lgkmcnt(3)
	v_mul_u32_u24_sdwa v33, v180, v111 dst_sel:DWORD dst_unused:UNUSED_PAD src0_sel:WORD_0 src1_sel:DWORD
	v_mul_u32_u24_sdwa v34, v180, v111 dst_sel:DWORD dst_unused:UNUSED_PAD src0_sel:WORD_1 src1_sel:DWORD
	v_mul_u32_u24_sdwa v62, v181, v111 dst_sel:DWORD dst_unused:UNUSED_PAD src0_sel:WORD_0 src1_sel:DWORD
	v_mul_u32_u24_sdwa v140, v181, v111 dst_sel:DWORD dst_unused:UNUSED_PAD src0_sel:WORD_1 src1_sel:DWORD
	;; [unrolled: 2-line block ×4, first 2 shown]
	ds_read2_b64 v[180:183], v117 offset0:128 offset1:160
	s_waitcnt lgkmcnt(3)
	v_pk_fma_f16 v9, v21, v160, v9
	v_pk_fma_f16 v11, v22, v149, v11
	;; [unrolled: 1-line block ×16, first 2 shown]
	ds_read2_b64 v[37:40], v117 offset0:192 offset1:224
	s_waitcnt lgkmcnt(3)
	v_pk_fma_f16 v9, v17, v163, v9
	v_pk_fma_f16 v11, v18, v138, v11
	;; [unrolled: 1-line block ×16, first 2 shown]
	v_mul_u32_u24_sdwa v153, v199, v111 dst_sel:DWORD dst_unused:UNUSED_PAD src0_sel:WORD_0 src1_sel:DWORD
	v_mul_u32_u24_sdwa v170, v199, v111 dst_sel:DWORD dst_unused:UNUSED_PAD src0_sel:WORD_1 src1_sel:DWORD
	ds_read2_b64 v[29:32], v118 offset1:32
	s_waitcnt lgkmcnt(2)
	v_pk_fma_f16 v9, v180, v171, v9
	v_pk_fma_f16 v11, v181, v139, v11
	;; [unrolled: 1-line block ×16, first 2 shown]
	ds_read2_b64 v[141:144], v118 offset0:64 offset1:96
	s_waitcnt lgkmcnt(2)
	v_pk_fma_f16 v9, v37, v140, v9
	v_pk_fma_f16 v11, v38, v33, v11
	;; [unrolled: 1-line block ×8, first 2 shown]
	v_mul_u32_u24_sdwa v166, v188, v111 dst_sel:DWORD dst_unused:UNUSED_PAD src0_sel:WORD_0 src1_sel:DWORD
	v_mul_u32_u24_sdwa v184, v188, v111 dst_sel:DWORD dst_unused:UNUSED_PAD src0_sel:WORD_1 src1_sel:DWORD
	v_mul_u32_u24_sdwa v185, v189, v111 dst_sel:DWORD dst_unused:UNUSED_PAD src0_sel:WORD_0 src1_sel:DWORD
	v_mul_u32_u24_sdwa v186, v189, v111 dst_sel:DWORD dst_unused:UNUSED_PAD src0_sel:WORD_1 src1_sel:DWORD
	v_pk_fma_f16 v9, v39, v130, v9
	v_pk_fma_f16 v11, v40, v35, v11
	;; [unrolled: 1-line block ×8, first 2 shown]
	v_mul_u32_u24_sdwa v196, v190, v111 dst_sel:DWORD dst_unused:UNUSED_PAD src0_sel:WORD_0 src1_sel:DWORD
	v_mul_u32_u24_sdwa v197, v190, v111 dst_sel:DWORD dst_unused:UNUSED_PAD src0_sel:WORD_1 src1_sel:DWORD
	v_mul_u32_u24_sdwa v198, v191, v111 dst_sel:DWORD dst_unused:UNUSED_PAD src0_sel:WORD_0 src1_sel:DWORD
	v_mul_u32_u24_sdwa v199, v191, v111 dst_sel:DWORD dst_unused:UNUSED_PAD src0_sel:WORD_1 src1_sel:DWORD
	ds_read2_b64 v[13:16], v118 offset0:128 offset1:160
	s_waitcnt lgkmcnt(2)
	v_pk_fma_f16 v9, v29, v186, v9
	v_pk_fma_f16 v11, v30, v166, v11
	;; [unrolled: 1-line block ×8, first 2 shown]
	ds_read_b128 v[188:191], v104 offset:1008
	v_mul_u32_u24_sdwa v147, v172, v111 dst_sel:DWORD dst_unused:UNUSED_PAD src0_sel:WORD_0 src1_sel:DWORD
	v_mul_u32_u24_sdwa v158, v172, v111 dst_sel:DWORD dst_unused:UNUSED_PAD src0_sel:WORD_1 src1_sel:DWORD
	v_mul_u32_u24_sdwa v165, v173, v111 dst_sel:DWORD dst_unused:UNUSED_PAD src0_sel:WORD_0 src1_sel:DWORD
	v_mul_u32_u24_sdwa v168, v173, v111 dst_sel:DWORD dst_unused:UNUSED_PAD src0_sel:WORD_1 src1_sel:DWORD
	v_pk_fma_f16 v9, v31, v199, v9
	v_pk_fma_f16 v11, v32, v196, v11
	;; [unrolled: 1-line block ×8, first 2 shown]
	v_mul_u32_u24_sdwa v172, v174, v111 dst_sel:DWORD dst_unused:UNUSED_PAD src0_sel:WORD_0 src1_sel:DWORD
	v_mul_u32_u24_sdwa v173, v174, v111 dst_sel:DWORD dst_unused:UNUSED_PAD src0_sel:WORD_1 src1_sel:DWORD
	v_mul_u32_u24_sdwa v174, v175, v111 dst_sel:DWORD dst_unused:UNUSED_PAD src0_sel:WORD_0 src1_sel:DWORD
	v_mul_u32_u24_sdwa v175, v175, v111 dst_sel:DWORD dst_unused:UNUSED_PAD src0_sel:WORD_1 src1_sel:DWORD
	ds_read2_b64 v[154:157], v118 offset0:192 offset1:224
	s_waitcnt lgkmcnt(3)
	v_pk_fma_f16 v9, v141, v168, v9
	v_pk_fma_f16 v11, v142, v147, v11
	;; [unrolled: 1-line block ×8, first 2 shown]
	s_waitcnt lgkmcnt(0)
	s_barrier
	buffer_gl0_inv
	s_load_dword s0, s[22:23], 0x4
	v_pk_fma_f16 v9, v143, v175, v9
	v_pk_fma_f16 v11, v144, v172, v11
	;; [unrolled: 1-line block ×16, first 2 shown]
	v_mul_u32_u24_sdwa v48, v188, v111 dst_sel:DWORD dst_unused:UNUSED_PAD src0_sel:WORD_0 src1_sel:DWORD
	v_mul_u32_u24_sdwa v131, v188, v111 dst_sel:DWORD dst_unused:UNUSED_PAD src0_sel:WORD_1 src1_sel:DWORD
	v_mul_u32_u24_sdwa v123, v189, v111 dst_sel:DWORD dst_unused:UNUSED_PAD src0_sel:WORD_0 src1_sel:DWORD
	v_mul_u32_u24_sdwa v7, v189, v111 dst_sel:DWORD dst_unused:UNUSED_PAD src0_sel:WORD_1 src1_sel:DWORD
	v_pk_fma_f16 v9, v15, v192, v9
	v_pk_fma_f16 v11, v16, v176, v11
	;; [unrolled: 1-line block ×8, first 2 shown]
	v_mul_u32_u24_sdwa v45, v190, v111 dst_sel:DWORD dst_unused:UNUSED_PAD src0_sel:WORD_0 src1_sel:DWORD
	v_mul_u32_u24_sdwa v159, v190, v111 dst_sel:DWORD dst_unused:UNUSED_PAD src0_sel:WORD_1 src1_sel:DWORD
	v_mul_u32_u24_sdwa v169, v191, v111 dst_sel:DWORD dst_unused:UNUSED_PAD src0_sel:WORD_0 src1_sel:DWORD
	v_mul_u32_u24_sdwa v179, v191, v111 dst_sel:DWORD dst_unused:UNUSED_PAD src0_sel:WORD_1 src1_sel:DWORD
	v_pk_fma_f16 v9, v154, v7, v9
	v_pk_fma_f16 v11, v155, v48, v11
	;; [unrolled: 1-line block ×8, first 2 shown]
	s_waitcnt lgkmcnt(0)
	s_lshl_b32 s0, s0, 7
	v_pk_fma_f16 v25, v156, v179, v9
	v_pk_fma_f16 v28, v157, v45, v11
	;; [unrolled: 1-line block ×8, first 2 shown]
	s_add_i32 s26, s0, s26
	s_cmp_ge_i32 s26, s42
	s_cbranch_scc0 .LBB37_9
; %bb.10:
	v_mov_b32_e32 v5, v88
.LBB37_11:
	v_cmp_lt_i32_e32 vcc_lo, v94, v89
	s_cmp_lg_u64 s[24:25], 0
	s_cselect_b32 s0, -1, 0
	s_cmp_eq_u32 s34, 0
	v_cndmask_b32_e32 v6, v5, v94, vcc_lo
	v_cmp_lt_i32_e32 vcc_lo, v93, v89
	s_cselect_b32 s1, -1, 0
	s_and_b32 s0, s1, s0
	v_lshlrev_b32_e32 v6, 2, v6
	v_cndmask_b32_e32 v10, v5, v93, vcc_lo
	v_cmp_lt_i32_e32 vcc_lo, v92, v89
	ds_bpermute_b32 v7, v6, v120
	ds_bpermute_b32 v8, v6, v121
	;; [unrolled: 1-line block ×4, first 2 shown]
	v_lshlrev_b32_e32 v10, 2, v10
	v_cndmask_b32_e32 v14, v5, v92, vcc_lo
	v_cmp_lt_i32_e32 vcc_lo, v91, v89
	v_lshlrev_b32_e32 v14, 2, v14
	s_waitcnt lgkmcnt(3)
	v_add_f32_e32 v7, v120, v7
	s_waitcnt lgkmcnt(2)
	v_add_f32_e32 v8, v121, v8
	;; [unrolled: 2-line block ×4, first 2 shown]
	ds_bpermute_b32 v11, v10, v7
	ds_bpermute_b32 v12, v10, v8
	;; [unrolled: 1-line block ×4, first 2 shown]
	s_waitcnt lgkmcnt(3)
	v_add_f32_e32 v7, v7, v11
	s_waitcnt lgkmcnt(2)
	v_add_f32_e32 v8, v8, v12
	;; [unrolled: 2-line block ×4, first 2 shown]
	ds_bpermute_b32 v10, v14, v7
	ds_bpermute_b32 v11, v14, v8
	;; [unrolled: 1-line block ×4, first 2 shown]
	v_cndmask_b32_e32 v14, v5, v91, vcc_lo
	v_cmp_lt_i32_e32 vcc_lo, v90, v89
	v_lshlrev_b32_e32 v14, 2, v14
	v_cndmask_b32_e32 v5, v5, v90, vcc_lo
	s_and_b32 vcc_lo, exec_lo, s0
	v_lshlrev_b32_e32 v5, 2, v5
	s_waitcnt lgkmcnt(3)
	v_add_f32_e32 v7, v7, v10
	s_waitcnt lgkmcnt(2)
	v_add_f32_e32 v8, v8, v11
	;; [unrolled: 2-line block ×4, first 2 shown]
	ds_bpermute_b32 v10, v14, v7
	ds_bpermute_b32 v11, v14, v8
	;; [unrolled: 1-line block ×4, first 2 shown]
	s_waitcnt lgkmcnt(3)
	v_add_f32_e32 v7, v7, v10
	s_waitcnt lgkmcnt(2)
	v_add_f32_e32 v8, v8, v11
	;; [unrolled: 2-line block ×4, first 2 shown]
	ds_bpermute_b32 v6, v5, v7
	ds_bpermute_b32 v11, v5, v8
	;; [unrolled: 1-line block ×4, first 2 shown]
	s_waitcnt lgkmcnt(3)
	v_add_f32_e32 v5, v7, v6
	s_waitcnt lgkmcnt(2)
	v_add_f32_e32 v6, v8, v11
	s_waitcnt lgkmcnt(1)
	v_add_f32_e32 v7, v9, v12
	s_waitcnt lgkmcnt(0)
	v_add_f32_e32 v8, v10, v13
	s_cbranch_vccz .LBB37_14
; %bb.12:
	s_ashr_i32 s41, s40, 31
	v_mov_b32_e32 v9, 0
	s_lshl_b64 s[0:1], s[40:41], 2
	v_max_f32_e32 v10, v2, v2
	s_add_u32 s0, s24, s0
	s_addc_u32 s1, s25, s1
	v_max_f32_e32 v15, v3, v3
	global_load_dwordx2 v[13:14], v9, s[0:1]
	v_max_f32_e32 v9, v1, v1
	v_max_f32_e32 v16, v4, v4
	v_mov_b32_e32 v17, 0x10001
	s_waitcnt vmcnt(0)
	v_max_f32_e32 v11, v13, v13
	v_max_f32_e32 v12, v14, v14
	v_max_f32_e32 v9, v9, v11
	v_max_f32_e32 v10, v10, v12
	v_max_f32_e32 v11, v15, v11
	v_max_f32_e32 v12, v16, v12
	v_sub_f32_e32 v15, v1, v9
	v_sub_f32_e32 v18, v2, v10
	;; [unrolled: 1-line block ×4, first 2 shown]
	v_mov_b32_e32 v1, v9
	v_sub_f32_e32 v16, v13, v9
	v_mov_b32_e32 v2, v10
	v_mov_b32_e32 v3, v11
	;; [unrolled: 1-line block ×3, first 2 shown]
	v_mul_f32_e32 v9, 0x3fb8aa3b, v15
	v_sub_f32_e32 v19, v14, v10
	v_mul_f32_e32 v10, 0x3fb8aa3b, v16
	v_sub_f32_e32 v13, v13, v11
	v_mul_f32_e32 v11, 0x3fb8aa3b, v18
	v_fma_f32 v34, 0x3fb8aa3b, v15, -v9
	v_rndne_f32_e32 v35, v9
	v_fma_f32 v36, 0x3fb8aa3b, v16, -v10
	v_rndne_f32_e32 v37, v10
	v_sub_f32_e32 v14, v14, v12
	v_fmac_f32_e32 v34, 0x32a5705f, v15
	v_sub_f32_e32 v9, v9, v35
	v_mul_f32_e32 v12, 0x3fb8aa3b, v19
	v_fma_f32 v38, 0x3fb8aa3b, v18, -v11
	v_rndne_f32_e32 v39, v11
	v_fmac_f32_e32 v36, 0x32a5705f, v16
	v_sub_f32_e32 v10, v10, v37
	v_add_f32_e32 v9, v9, v34
	v_mul_f32_e32 v30, 0x3fb8aa3b, v20
	v_fma_f32 v40, 0x3fb8aa3b, v19, -v12
	v_rndne_f32_e32 v41, v12
	v_fmac_f32_e32 v38, 0x32a5705f, v18
	v_sub_f32_e32 v11, v11, v39
	v_add_f32_e32 v10, v10, v36
	v_exp_f32_e32 v9, v9
	v_mul_f32_e32 v31, 0x3fb8aa3b, v13
	v_fma_f32 v42, 0x3fb8aa3b, v20, -v30
	v_rndne_f32_e32 v43, v30
	v_cvt_i32_f32_e32 v35, v35
	v_fmac_f32_e32 v40, 0x32a5705f, v19
	v_sub_f32_e32 v12, v12, v41
	v_add_f32_e32 v11, v11, v38
	v_exp_f32_e32 v10, v10
	v_mul_f32_e32 v32, 0x3fb8aa3b, v29
	v_fma_f32 v44, 0x3fb8aa3b, v13, -v31
	v_rndne_f32_e32 v45, v31
	v_cvt_i32_f32_e32 v37, v37
	v_fmac_f32_e32 v42, 0x32a5705f, v20
	v_sub_f32_e32 v30, v30, v43
	v_add_f32_e32 v12, v12, v40
	v_exp_f32_e32 v11, v11
	v_ldexp_f32 v9, v9, v35
	v_cmp_ngt_f32_e32 vcc_lo, 0xc2ce8ed0, v15
	v_mul_f32_e32 v33, 0x3fb8aa3b, v14
	v_fma_f32 v46, 0x3fb8aa3b, v29, -v32
	v_rndne_f32_e32 v47, v32
	v_cvt_i32_f32_e32 v39, v39
	v_fmac_f32_e32 v44, 0x32a5705f, v13
	v_sub_f32_e32 v31, v31, v45
	v_add_f32_e32 v30, v30, v42
	v_exp_f32_e32 v12, v12
	v_ldexp_f32 v10, v10, v37
	v_cndmask_b32_e32 v9, 0, v9, vcc_lo
	v_cmp_ngt_f32_e32 vcc_lo, 0xc2ce8ed0, v16
	v_fma_f32 v48, 0x3fb8aa3b, v14, -v33
	v_rndne_f32_e32 v49, v33
	v_cvt_i32_f32_e32 v41, v41
	v_fmac_f32_e32 v46, 0x32a5705f, v29
	v_sub_f32_e32 v32, v32, v47
	v_add_f32_e32 v31, v31, v44
	v_exp_f32_e32 v30, v30
	v_ldexp_f32 v11, v11, v39
	v_cndmask_b32_e32 v10, 0, v10, vcc_lo
	v_cmp_ngt_f32_e32 vcc_lo, 0xc2ce8ed0, v18
	v_cvt_i32_f32_e32 v43, v43
	v_fmac_f32_e32 v48, 0x32a5705f, v14
	v_sub_f32_e32 v33, v33, v49
	v_add_f32_e32 v32, v32, v46
	v_exp_f32_e32 v31, v31
	v_ldexp_f32 v12, v12, v41
	v_cndmask_b32_e32 v11, 0, v11, vcc_lo
	v_cmp_ngt_f32_e32 vcc_lo, 0xc2ce8ed0, v19
	v_cvt_i32_f32_e32 v45, v45
	v_add_f32_e32 v33, v33, v48
	v_exp_f32_e32 v32, v32
	v_ldexp_f32 v30, v30, v43
	v_cndmask_b32_e32 v12, 0, v12, vcc_lo
	v_cmp_ngt_f32_e32 vcc_lo, 0xc2ce8ed0, v20
	v_exp_f32_e32 v33, v33
	v_cvt_i32_f32_e32 v34, v47
	v_ldexp_f32 v31, v31, v45
	v_cvt_i32_f32_e32 v36, v49
	v_cndmask_b32_e32 v30, 0, v30, vcc_lo
	v_cmp_ngt_f32_e32 vcc_lo, 0xc2ce8ed0, v13
	v_ldexp_f32 v32, v32, v34
	v_cndmask_b32_e32 v31, 0, v31, vcc_lo
	v_cmp_ngt_f32_e32 vcc_lo, 0xc2ce8ed0, v29
	v_ldexp_f32 v33, v33, v36
	v_cndmask_b32_e32 v32, 0, v32, vcc_lo
	v_cmp_ngt_f32_e32 vcc_lo, 0xc2ce8ed0, v14
	v_cndmask_b32_e32 v33, 0, v33, vcc_lo
	v_cmp_nlt_f32_e32 vcc_lo, 0x42b17218, v15
	v_cndmask_b32_e32 v15, 0x7f800000, v9, vcc_lo
	v_cmp_nlt_f32_e32 vcc_lo, 0x42b17218, v16
	;; [unrolled: 2-line block ×3, first 2 shown]
	v_fmac_f32_e32 v9, v5, v15
	v_cndmask_b32_e32 v16, 0x7f800000, v11, vcc_lo
	v_cmp_nlt_f32_e32 vcc_lo, 0x42b17218, v19
	v_cvt_f16_f32_e32 v5, v15
	v_cndmask_b32_e32 v10, 0x7f800000, v12, vcc_lo
	v_cmp_nlt_f32_e32 vcc_lo, 0x42b17218, v20
	v_fmac_f32_e32 v10, v6, v16
	v_cndmask_b32_e32 v18, 0x7f800000, v30, vcc_lo
	v_cmp_nlt_f32_e32 vcc_lo, 0x42b17218, v13
	v_cvt_f16_f32_e32 v6, v16
	v_cndmask_b32_e32 v11, 0x7f800000, v31, vcc_lo
	v_cmp_nlt_f32_e32 vcc_lo, 0x42b17218, v29
	v_fmac_f32_e32 v11, v7, v18
	v_cndmask_b32_e32 v13, 0x7f800000, v32, vcc_lo
	v_cmp_nlt_f32_e32 vcc_lo, 0x42b17218, v14
	v_cvt_f16_f32_e32 v7, v18
	v_cvt_f16_f32_e32 v14, v13
	v_cndmask_b32_e32 v12, 0x7f800000, v33, vcc_lo
	v_mul_u32_u24_sdwa v15, v7, v17 dst_sel:DWORD dst_unused:UNUSED_PAD src0_sel:WORD_0 src1_sel:DWORD
	v_mov_b32_e32 v7, v11
	v_mul_u32_u24_sdwa v14, v14, v17 dst_sel:DWORD dst_unused:UNUSED_PAD src0_sel:WORD_0 src1_sel:DWORD
	v_fmac_f32_e32 v12, v8, v13
	v_mul_u32_u24_sdwa v8, v5, v17 dst_sel:DWORD dst_unused:UNUSED_PAD src0_sel:WORD_0 src1_sel:DWORD
	v_mul_u32_u24_sdwa v13, v6, v17 dst_sel:DWORD dst_unused:UNUSED_PAD src0_sel:WORD_0 src1_sel:DWORD
	v_mov_b32_e32 v5, v9
	v_mov_b32_e32 v6, v10
	v_pk_mul_f16 v21, v21, v15
	v_pk_mul_f16 v23, v23, v8
	;; [unrolled: 1-line block ×8, first 2 shown]
	v_mov_b32_e32 v8, v12
	s_mov_b32 s0, exec_lo
	v_cmpx_gt_i32_e64 s38, v85
	s_cbranch_execnz .LBB37_15
.LBB37_13:
	s_endpgm
.LBB37_14:
	v_mov_b32_e32 v12, v8
	v_mov_b32_e32 v11, v7
	;; [unrolled: 1-line block ×4, first 2 shown]
	s_mov_b32 s0, exec_lo
	v_cmpx_gt_i32_e64 s38, v85
	s_cbranch_execz .LBB37_13
.LBB37_15:
	s_load_dword s1, s[4:5], 0xd4
	v_mov_b32_e32 v16, 1.0
	s_waitcnt lgkmcnt(0)
	s_cmp_lg_u32 s1, 1
	s_cselect_b32 s3, -1, 0
	s_cmp_eq_u32 s1, 1
	s_cselect_b32 s4, -1, 0
	s_and_b32 vcc_lo, exec_lo, s3
	s_cbranch_vccnz .LBB37_17
; %bb.16:
	v_div_scale_f32 v13, null, v5, v5, 1.0
	v_rcp_f32_e32 v14, v13
	v_fma_f32 v15, -v13, v14, 1.0
	v_fmac_f32_e32 v14, v15, v14
	v_div_scale_f32 v15, vcc_lo, 1.0, v5, 1.0
	v_mul_f32_e32 v16, v15, v14
	v_fma_f32 v17, -v13, v16, v15
	v_fmac_f32_e32 v16, v17, v14
	v_fma_f32 v13, -v13, v16, v15
	v_div_fmas_f32 v13, v13, v14, v16
	v_div_fixup_f32 v16, v13, v5, 1.0
.LBB37_17:
	s_mul_i32 s2, s33, s38
	v_mov_b32_e32 v18, 0
	s_add_i32 s2, s2, s35
	v_cvt_f32_f16_sdwa v20, v28 dst_sel:DWORD dst_unused:UNUSED_PAD src0_sel:WORD_1
	v_add_nc_u32_e32 v5, s2, v84
	v_cmp_eq_u32_e32 vcc_lo, 0, v0
	v_cvt_f32_f16_e32 v0, v23
	v_mul_f32_e32 v20, v16, v20
	v_mul_lo_u32 v15, v5, s39
	s_and_b32 s3, vcc_lo, s3
	v_add_nc_u32_e32 v5, s40, v15
	v_mad_u64_u32 v[13:14], null, s1, v5, s[34:35]
	v_cvt_f32_f16_e32 v14, v28
	v_cvt_f32_f16_sdwa v5, v23 dst_sel:DWORD dst_unused:UNUSED_PAD src0_sel:WORD_1
	v_mul_f32_e32 v19, v16, v14
	v_lshl_add_u32 v17, v13, 7, v86
	v_lshlrev_b64 v[28:29], 2, v[17:18]
	v_mul_f32_e32 v17, v16, v0
	v_mul_f32_e32 v18, v16, v5
	v_add_co_u32 v28, s0, s28, v28
	v_add_co_ci_u32_e64 v29, null, s29, v29, s0
	global_store_dwordx4 v[28:29], v[17:20], off
	s_and_saveexec_b32 s0, s3
	s_cbranch_execz .LBB37_19
; %bb.18:
	v_ashrrev_i32_e32 v14, 31, v13
	v_mov_b32_e32 v0, v1
	v_mov_b32_e32 v1, v9
	v_lshlrev_b64 v[13:14], 3, v[13:14]
	v_add_co_u32 v13, vcc_lo, s30, v13
	v_add_co_ci_u32_e64 v14, null, s31, v14, vcc_lo
	global_store_dwordx2 v[13:14], v[0:1], off
.LBB37_19:
	s_or_b32 exec_lo, exec_lo, s0
	v_cndmask_b32_e64 v5, 0, 1, s4
	v_mov_b32_e32 v9, 1.0
	s_andn2_b32 vcc_lo, exec_lo, s4
	s_cbranch_vccnz .LBB37_21
; %bb.20:
	v_div_scale_f32 v0, null, v6, v6, 1.0
	v_rcp_f32_e32 v1, v0
	v_fma_f32 v9, -v0, v1, 1.0
	v_fmac_f32_e32 v1, v9, v1
	v_div_scale_f32 v9, vcc_lo, 1.0, v6, 1.0
	v_mul_f32_e32 v13, v9, v1
	v_fma_f32 v14, -v0, v13, v9
	v_fmac_f32_e32 v13, v14, v1
	v_fma_f32 v0, -v0, v13, v9
	v_div_fmas_f32 v0, v0, v1, v13
	v_div_fixup_f32 v9, v0, v6, 1.0
.LBB37_21:
	s_add_i32 s0, s40, 1
	v_mov_b32_e32 v14, 0
	v_add_nc_u32_e32 v0, s0, v15
	v_cvt_f32_f16_sdwa v6, v22 dst_sel:DWORD dst_unused:UNUSED_PAD src0_sel:WORD_1
	v_cvt_f32_f16_e32 v15, v27
	v_cvt_f32_f16_sdwa v16, v27 dst_sel:DWORD dst_unused:UNUSED_PAD src0_sel:WORD_1
	v_mad_u64_u32 v[0:1], null, s1, v0, s[34:35]
	v_cvt_f32_f16_e32 v1, v22
	v_mul_f32_e32 v15, v9, v15
	v_mul_f32_e32 v16, v9, v16
	v_lshl_add_u32 v13, v0, 7, v86
	v_lshlrev_b64 v[17:18], 2, v[13:14]
	v_mul_f32_e32 v13, v9, v1
	v_mul_f32_e32 v14, v9, v6
	v_add_co_u32 v17, vcc_lo, s28, v17
	v_add_co_ci_u32_e64 v18, null, s29, v18, vcc_lo
	global_store_dwordx4 v[17:18], v[13:16], off
	s_and_saveexec_b32 s4, s3
	s_cbranch_execz .LBB37_23
; %bb.22:
	v_ashrrev_i32_e32 v1, 31, v0
	v_mov_b32_e32 v9, v2
	v_lshlrev_b64 v[0:1], 3, v[0:1]
	v_add_co_u32 v0, vcc_lo, s30, v0
	v_add_co_ci_u32_e64 v1, null, s31, v1, vcc_lo
	global_store_dwordx2 v[0:1], v[9:10], off
.LBB37_23:
	s_or_b32 exec_lo, exec_lo, s4
	v_cmp_gt_i32_e32 vcc_lo, s38, v83
	s_and_b32 exec_lo, exec_lo, vcc_lo
	s_cbranch_execz .LBB37_13
; %bb.24:
	v_cmp_ne_u32_e32 vcc_lo, 1, v5
	v_mov_b32_e32 v2, 1.0
	s_cbranch_vccnz .LBB37_26
; %bb.25:
	v_div_scale_f32 v0, null, v7, v7, 1.0
	v_rcp_f32_e32 v1, v0
	v_fma_f32 v2, -v0, v1, 1.0
	v_fmac_f32_e32 v1, v2, v1
	v_div_scale_f32 v2, vcc_lo, 1.0, v7, 1.0
	v_mul_f32_e32 v6, v2, v1
	v_fma_f32 v9, -v0, v6, v2
	v_fmac_f32_e32 v6, v9, v1
	v_fma_f32 v0, -v0, v6, v2
	v_div_fmas_f32 v0, v0, v1, v6
	v_div_fixup_f32 v2, v0, v7, 1.0
.LBB37_26:
	v_add_nc_u32_e32 v0, s2, v82
	v_mov_b32_e32 v7, 0
	v_cvt_f32_f16_sdwa v9, v21 dst_sel:DWORD dst_unused:UNUSED_PAD src0_sel:WORD_1
	v_cvt_f32_f16_e32 v10, v26
	v_cvt_f32_f16_sdwa v16, v26 dst_sel:DWORD dst_unused:UNUSED_PAD src0_sel:WORD_1
	v_mad_u64_u32 v[0:1], null, v0, s39, s[40:41]
	v_mul_f32_e32 v14, v2, v9
	v_mul_f32_e32 v15, v2, v10
	;; [unrolled: 1-line block ×3, first 2 shown]
	v_mad_u64_u32 v[0:1], null, s1, v0, s[34:35]
	v_cvt_f32_f16_e32 v1, v21
	v_mul_f32_e32 v13, v2, v1
	v_lshl_add_u32 v6, v0, 7, v86
	v_lshlrev_b64 v[6:7], 2, v[6:7]
	v_add_co_u32 v1, vcc_lo, s28, v6
	v_add_co_ci_u32_e64 v2, null, s29, v7, vcc_lo
	global_store_dwordx4 v[1:2], v[13:16], off
	s_and_saveexec_b32 s4, s3
	s_cbranch_execz .LBB37_28
; %bb.27:
	v_ashrrev_i32_e32 v1, 31, v0
	v_mov_b32_e32 v10, v3
	v_lshlrev_b64 v[0:1], 3, v[0:1]
	v_add_co_u32 v0, vcc_lo, s30, v0
	v_add_co_ci_u32_e64 v1, null, s31, v1, vcc_lo
	global_store_dwordx2 v[0:1], v[10:11], off
.LBB37_28:
	s_or_b32 exec_lo, exec_lo, s4
	v_cmp_gt_i32_e32 vcc_lo, s38, v81
	s_and_b32 exec_lo, exec_lo, vcc_lo
	s_cbranch_execz .LBB37_13
; %bb.29:
	v_cmp_ne_u32_e32 vcc_lo, 1, v5
	v_mov_b32_e32 v2, 1.0
	s_cbranch_vccnz .LBB37_31
; %bb.30:
	v_div_scale_f32 v0, null, v8, v8, 1.0
	v_rcp_f32_e32 v1, v0
	v_fma_f32 v2, -v0, v1, 1.0
	v_fmac_f32_e32 v1, v2, v1
	v_div_scale_f32 v2, vcc_lo, 1.0, v8, 1.0
	v_mul_f32_e32 v3, v2, v1
	v_fma_f32 v5, -v0, v3, v2
	v_fmac_f32_e32 v3, v5, v1
	v_fma_f32 v0, -v0, v3, v2
	v_div_fmas_f32 v0, v0, v1, v3
	v_div_fixup_f32 v2, v0, v8, 1.0
.LBB37_31:
	v_add_nc_u32_e32 v0, s2, v80
	v_mov_b32_e32 v6, 0
	v_cvt_f32_f16_sdwa v3, v25 dst_sel:DWORD dst_unused:UNUSED_PAD src0_sel:WORD_1
	v_cvt_f32_f16_e32 v7, v24
	v_cvt_f32_f16_sdwa v8, v24 dst_sel:DWORD dst_unused:UNUSED_PAD src0_sel:WORD_1
	v_mad_u64_u32 v[0:1], null, v0, s39, s[0:1]
	v_mul_f32_e32 v7, v2, v7
	v_mul_f32_e32 v8, v2, v8
	v_mad_u64_u32 v[0:1], null, s1, v0, s[34:35]
	v_cvt_f32_f16_e32 v1, v25
	v_lshl_add_u32 v5, v0, 7, v86
	v_lshlrev_b64 v[9:10], 2, v[5:6]
	v_mul_f32_e32 v5, v2, v1
	v_mul_f32_e32 v6, v2, v3
	v_add_co_u32 v1, vcc_lo, s28, v9
	v_add_co_ci_u32_e64 v2, null, s29, v10, vcc_lo
	global_store_dwordx4 v[1:2], v[5:8], off
	s_and_b32 exec_lo, exec_lo, s3
	s_cbranch_execz .LBB37_13
; %bb.32:
	v_ashrrev_i32_e32 v1, 31, v0
	v_mov_b32_e32 v11, v4
	v_lshlrev_b64 v[0:1], 3, v[0:1]
	v_add_co_u32 v0, vcc_lo, s30, v0
	v_add_co_ci_u32_e64 v1, null, s31, v1, vcc_lo
	global_store_dwordx2 v[0:1], v[11:12], off
	s_endpgm
	.section	.rodata,"a",@progbits
	.p2align	6, 0x0
	.amdhsa_kernel _ZL15flash_attn_tileILi128ELi128ELi16ELi2ELb0EEvPKcS1_S1_S1_S1_PKiPfP15HIP_vector_typeIfLj2EEffffjfiS5_IjLj3EEiiiiiiiiiiiliiliiiiil
		.amdhsa_group_segment_fixed_size 34816
		.amdhsa_private_segment_fixed_size 0
		.amdhsa_kernarg_size 464
		.amdhsa_user_sgpr_count 6
		.amdhsa_user_sgpr_private_segment_buffer 1
		.amdhsa_user_sgpr_dispatch_ptr 0
		.amdhsa_user_sgpr_queue_ptr 0
		.amdhsa_user_sgpr_kernarg_segment_ptr 1
		.amdhsa_user_sgpr_dispatch_id 0
		.amdhsa_user_sgpr_flat_scratch_init 0
		.amdhsa_user_sgpr_private_segment_size 0
		.amdhsa_wavefront_size32 1
		.amdhsa_uses_dynamic_stack 0
		.amdhsa_system_sgpr_private_segment_wavefront_offset 0
		.amdhsa_system_sgpr_workgroup_id_x 1
		.amdhsa_system_sgpr_workgroup_id_y 1
		.amdhsa_system_sgpr_workgroup_id_z 1
		.amdhsa_system_sgpr_workgroup_info 0
		.amdhsa_system_vgpr_workitem_id 1
		.amdhsa_next_free_vgpr 217
		.amdhsa_next_free_sgpr 47
		.amdhsa_reserve_vcc 1
		.amdhsa_reserve_flat_scratch 0
		.amdhsa_float_round_mode_32 0
		.amdhsa_float_round_mode_16_64 0
		.amdhsa_float_denorm_mode_32 3
		.amdhsa_float_denorm_mode_16_64 3
		.amdhsa_dx10_clamp 1
		.amdhsa_ieee_mode 1
		.amdhsa_fp16_overflow 0
		.amdhsa_workgroup_processor_mode 1
		.amdhsa_memory_ordered 1
		.amdhsa_forward_progress 1
		.amdhsa_shared_vgpr_count 0
		.amdhsa_exception_fp_ieee_invalid_op 0
		.amdhsa_exception_fp_denorm_src 0
		.amdhsa_exception_fp_ieee_div_zero 0
		.amdhsa_exception_fp_ieee_overflow 0
		.amdhsa_exception_fp_ieee_underflow 0
		.amdhsa_exception_fp_ieee_inexact 0
		.amdhsa_exception_int_div_zero 0
	.end_amdhsa_kernel
	.section	.text._ZL15flash_attn_tileILi128ELi128ELi16ELi2ELb0EEvPKcS1_S1_S1_S1_PKiPfP15HIP_vector_typeIfLj2EEffffjfiS5_IjLj3EEiiiiiiiiiiiliiliiiiil,"axG",@progbits,_ZL15flash_attn_tileILi128ELi128ELi16ELi2ELb0EEvPKcS1_S1_S1_S1_PKiPfP15HIP_vector_typeIfLj2EEffffjfiS5_IjLj3EEiiiiiiiiiiiliiliiiiil,comdat
.Lfunc_end37:
	.size	_ZL15flash_attn_tileILi128ELi128ELi16ELi2ELb0EEvPKcS1_S1_S1_S1_PKiPfP15HIP_vector_typeIfLj2EEffffjfiS5_IjLj3EEiiiiiiiiiiiliiliiiiil, .Lfunc_end37-_ZL15flash_attn_tileILi128ELi128ELi16ELi2ELb0EEvPKcS1_S1_S1_S1_PKiPfP15HIP_vector_typeIfLj2EEffffjfiS5_IjLj3EEiiiiiiiiiiiliiliiiiil
                                        ; -- End function
	.set _ZL15flash_attn_tileILi128ELi128ELi16ELi2ELb0EEvPKcS1_S1_S1_S1_PKiPfP15HIP_vector_typeIfLj2EEffffjfiS5_IjLj3EEiiiiiiiiiiiliiliiiiil.num_vgpr, 217
	.set _ZL15flash_attn_tileILi128ELi128ELi16ELi2ELb0EEvPKcS1_S1_S1_S1_PKiPfP15HIP_vector_typeIfLj2EEffffjfiS5_IjLj3EEiiiiiiiiiiiliiliiiiil.num_agpr, 0
	.set _ZL15flash_attn_tileILi128ELi128ELi16ELi2ELb0EEvPKcS1_S1_S1_S1_PKiPfP15HIP_vector_typeIfLj2EEffffjfiS5_IjLj3EEiiiiiiiiiiiliiliiiiil.numbered_sgpr, 47
	.set _ZL15flash_attn_tileILi128ELi128ELi16ELi2ELb0EEvPKcS1_S1_S1_S1_PKiPfP15HIP_vector_typeIfLj2EEffffjfiS5_IjLj3EEiiiiiiiiiiiliiliiiiil.num_named_barrier, 0
	.set _ZL15flash_attn_tileILi128ELi128ELi16ELi2ELb0EEvPKcS1_S1_S1_S1_PKiPfP15HIP_vector_typeIfLj2EEffffjfiS5_IjLj3EEiiiiiiiiiiiliiliiiiil.private_seg_size, 0
	.set _ZL15flash_attn_tileILi128ELi128ELi16ELi2ELb0EEvPKcS1_S1_S1_S1_PKiPfP15HIP_vector_typeIfLj2EEffffjfiS5_IjLj3EEiiiiiiiiiiiliiliiiiil.uses_vcc, 1
	.set _ZL15flash_attn_tileILi128ELi128ELi16ELi2ELb0EEvPKcS1_S1_S1_S1_PKiPfP15HIP_vector_typeIfLj2EEffffjfiS5_IjLj3EEiiiiiiiiiiiliiliiiiil.uses_flat_scratch, 0
	.set _ZL15flash_attn_tileILi128ELi128ELi16ELi2ELb0EEvPKcS1_S1_S1_S1_PKiPfP15HIP_vector_typeIfLj2EEffffjfiS5_IjLj3EEiiiiiiiiiiiliiliiiiil.has_dyn_sized_stack, 0
	.set _ZL15flash_attn_tileILi128ELi128ELi16ELi2ELb0EEvPKcS1_S1_S1_S1_PKiPfP15HIP_vector_typeIfLj2EEffffjfiS5_IjLj3EEiiiiiiiiiiiliiliiiiil.has_recursion, 0
	.set _ZL15flash_attn_tileILi128ELi128ELi16ELi2ELb0EEvPKcS1_S1_S1_S1_PKiPfP15HIP_vector_typeIfLj2EEffffjfiS5_IjLj3EEiiiiiiiiiiiliiliiiiil.has_indirect_call, 0
	.section	.AMDGPU.csdata,"",@progbits
; Kernel info:
; codeLenInByte = 44584
; TotalNumSgprs: 49
; NumVgprs: 217
; ScratchSize: 0
; MemoryBound: 0
; FloatMode: 240
; IeeeMode: 1
; LDSByteSize: 34816 bytes/workgroup (compile time only)
; SGPRBlocks: 0
; VGPRBlocks: 27
; NumSGPRsForWavesPerEU: 49
; NumVGPRsForWavesPerEU: 217
; Occupancy: 4
; WaveLimiterHint : 1
; COMPUTE_PGM_RSRC2:SCRATCH_EN: 0
; COMPUTE_PGM_RSRC2:USER_SGPR: 6
; COMPUTE_PGM_RSRC2:TRAP_HANDLER: 0
; COMPUTE_PGM_RSRC2:TGID_X_EN: 1
; COMPUTE_PGM_RSRC2:TGID_Y_EN: 1
; COMPUTE_PGM_RSRC2:TGID_Z_EN: 1
; COMPUTE_PGM_RSRC2:TIDIG_COMP_CNT: 1
	.section	.text._ZL33flash_attn_stream_k_fixup_uniformILi128ELi16ELi2EEvPfPK15HIP_vector_typeIfLj2EEiiiiiiS1_IjLj3EES5_S5_,"axG",@progbits,_ZL33flash_attn_stream_k_fixup_uniformILi128ELi16ELi2EEvPfPK15HIP_vector_typeIfLj2EEiiiiiiS1_IjLj3EES5_S5_,comdat
	.globl	_ZL33flash_attn_stream_k_fixup_uniformILi128ELi16ELi2EEvPfPK15HIP_vector_typeIfLj2EEiiiiiiS1_IjLj3EES5_S5_ ; -- Begin function _ZL33flash_attn_stream_k_fixup_uniformILi128ELi16ELi2EEvPfPK15HIP_vector_typeIfLj2EEiiiiiiS1_IjLj3EES5_S5_
	.p2align	8
	.type	_ZL33flash_attn_stream_k_fixup_uniformILi128ELi16ELi2EEvPfPK15HIP_vector_typeIfLj2EEiiiiiiS1_IjLj3EES5_S5_,@function
_ZL33flash_attn_stream_k_fixup_uniformILi128ELi16ELi2EEvPfPK15HIP_vector_typeIfLj2EEiiiiiiS1_IjLj3EES5_S5_: ; @_ZL33flash_attn_stream_k_fixup_uniformILi128ELi16ELi2EEvPfPK15HIP_vector_typeIfLj2EEiiiiiiS1_IjLj3EES5_S5_
; %bb.0:
	s_clause 0x2
	s_load_dwordx8 s[12:19], s[4:5], 0x1c
	s_load_dwordx4 s[20:23], s[4:5], 0x3c
	s_load_dwordx2 s[10:11], s[4:5], 0x10
	s_waitcnt lgkmcnt(0)
	s_mul_hi_u32 s0, s15, s6
	s_add_i32 s0, s6, s0
	s_lshr_b32 s0, s0, s16
	s_mul_i32 s1, s0, s17
	s_sub_i32 s2, s6, s1
	s_mul_hi_u32 s1, s2, s18
	s_add_i32 s1, s2, s1
	s_lshr_b32 s1, s1, s19
	s_mul_i32 s3, s1, s20
	s_sub_i32 s2, s2, s3
	s_mul_hi_u32 s3, s2, s21
	s_add_i32 s3, s2, s3
	s_lshr_b32 s3, s3, s22
	s_mul_i32 s9, s3, s23
	s_lshl_b32 s15, s3, 1
	s_sub_i32 s9, s2, s9
	s_lshl_b32 s2, s9, 4
	s_add_i32 s2, s2, s7
	s_cmp_lt_i32 s2, s10
	s_cselect_b32 s2, -1, 0
	s_add_i32 s3, s15, s8
	s_cmp_lt_i32 s3, s13
	s_cselect_b32 s3, -1, 0
	s_and_b32 s2, s2, s3
	s_andn2_b32 vcc_lo, exec_lo, s2
	s_cbranch_vccnz .LBB38_6
; %bb.1:
	s_mul_i32 s0, s0, s10
	s_mul_i32 s10, s1, s13
	s_add_i32 s0, s0, s7
	s_mul_i32 s0, s0, s11
	s_add_i32 s13, s0, s8
	s_load_dwordx4 s[0:3], s[4:5], 0x0
	s_add_i32 s4, s13, s10
	s_mul_i32 s5, s11, s9
	s_add_i32 s4, s4, s15
	s_lshl_b32 s5, s5, 11
	s_lshl_b32 s4, s4, 7
	;; [unrolled: 1-line block ×3, first 2 shown]
	s_add_i32 s5, s5, s4
	s_mul_i32 s4, s14, s6
	v_or_b32_e32 v1, s5, v0
	s_add_i32 s11, s4, s14
	v_ashrrev_i32_e32 v2, 31, v1
	v_lshlrev_b64 v[1:2], 2, v[1:2]
	s_waitcnt lgkmcnt(0)
	v_add_co_u32 v1, vcc_lo, s0, v1
	v_add_co_ci_u32_e64 v2, null, s1, v2, vcc_lo
	s_add_i32 s0, s10, s8
	s_lshl_b32 s1, s11, 5
	s_add_i32 s0, s0, s1
	global_load_dword v5, v[1:2], off
	s_sub_i32 s0, s0, 32
	s_ashr_i32 s1, s0, 31
	s_lshl_b64 s[0:1], s[0:1], 3
	s_add_u32 s0, s2, s0
	s_addc_u32 s1, s3, s1
	s_add_i32 s5, s11, -2
	s_load_dword s13, s[0:1], 0x4
	s_cmp_lt_i32 s5, s4
	s_cbranch_scc1 .LBB38_4
; %bb.2:
	s_lshl_b32 s16, s12, 7
	s_load_dword s15, s[0:1], 0x0
	s_ashr_i32 s17, s16, 31
	s_waitcnt lgkmcnt(0)
	v_mov_b32_e32 v6, s13
	s_lshl_b64 s[0:1], s[16:17], 2
	s_add_u32 s5, s2, s0
	s_addc_u32 s9, s3, s1
	s_add_i32 s6, s6, 1
	s_lshl_b32 s0, s7, 8
	s_lshl_b32 s1, s8, 7
	s_mul_i32 s6, s14, s6
	s_add_i32 s0, s1, s0
	s_lshl_b32 s1, s6, 12
	s_add_i32 s0, s0, s1
	s_lshl_b32 s1, s6, 5
	v_or_b32_e32 v0, s0, v0
	s_lshl_b32 s0, s12, 5
	s_add_i32 s1, s8, s1
	s_add_i32 s6, s11, -1
	s_add_i32 s0, s1, s0
	v_add_nc_u32_e32 v3, 0xffffe000, v0
	v_mov_b32_e32 v0, s15
	s_add_i32 s0, s0, s10
	s_sub_i32 s0, s0, 64
.LBB38_3:                               ; =>This Inner Loop Header: Depth=1
	v_ashrrev_i32_e32 v4, 31, v3
	s_ashr_i32 s1, s0, 31
	s_lshl_b64 s[10:11], s[0:1], 3
	s_add_u32 s10, s2, s10
	v_lshlrev_b64 v[7:8], 2, v[3:4]
	s_addc_u32 s11, s3, s11
	v_add_nc_u32_e32 v3, 0xfffff000, v3
	s_add_i32 s6, s6, -1
	s_sub_i32 s0, s0, 32
	s_cmp_le_i32 s6, s4
	v_add_co_u32 v7, vcc_lo, s5, v7
	v_add_co_ci_u32_e64 v8, null, s9, v8, vcc_lo
	s_load_dwordx2 s[10:11], s[10:11], 0x0
	global_load_dword v4, v[7:8], off
	v_max_f32_e32 v7, v0, v0
	s_waitcnt lgkmcnt(0)
	v_max_f32_e64 v8, s10, s10
	v_max_f32_e32 v7, v7, v8
	v_sub_f32_e32 v8, s10, v7
	v_sub_f32_e32 v0, v0, v7
	v_mul_f32_e32 v9, 0x3fb8aa3b, v8
	v_mul_f32_e32 v12, 0x3fb8aa3b, v0
	v_cmp_ngt_f32_e32 vcc_lo, 0xc2ce8ed0, v8
	v_fma_f32 v10, 0x3fb8aa3b, v8, -v9
	v_rndne_f32_e32 v11, v9
	v_fma_f32 v13, 0x3fb8aa3b, v0, -v12
	v_rndne_f32_e32 v14, v12
	v_fmac_f32_e32 v10, 0x32a5705f, v8
	v_sub_f32_e32 v9, v9, v11
	v_fmac_f32_e32 v13, 0x32a5705f, v0
	v_cvt_i32_f32_e32 v11, v11
	v_add_f32_e32 v9, v9, v10
	v_sub_f32_e32 v10, v12, v14
	v_exp_f32_e32 v9, v9
	v_add_f32_e32 v10, v10, v13
	v_exp_f32_e32 v10, v10
	v_ldexp_f32 v9, v9, v11
	v_cvt_i32_f32_e32 v11, v14
	v_cndmask_b32_e32 v9, 0, v9, vcc_lo
	v_cmp_nlt_f32_e32 vcc_lo, 0x42b17218, v8
	v_ldexp_f32 v10, v10, v11
	v_mov_b32_e32 v11, v6
	v_cndmask_b32_e32 v9, 0x7f800000, v9, vcc_lo
	v_cmp_ngt_f32_e32 vcc_lo, 0xc2ce8ed0, v0
	v_cndmask_b32_e32 v10, 0, v10, vcc_lo
	v_cmp_le_f32_e32 vcc_lo, 0xc1a00000, v8
	v_cndmask_b32_e32 v8, 0, v9, vcc_lo
	v_cmp_nlt_f32_e32 vcc_lo, 0x42b17218, v0
	s_waitcnt vmcnt(1)
	v_mov_b32_e32 v9, v5
	v_cndmask_b32_e32 v5, 0x7f800000, v10, vcc_lo
	v_mul_f32_e32 v10, s11, v8
	v_cmp_le_f32_e32 vcc_lo, 0xc1a00000, v0
	v_mov_b32_e32 v0, v7
	v_mov_b32_e32 v6, v10
	v_cndmask_b32_e32 v12, 0, v5, vcc_lo
	v_fmac_f32_e32 v6, v11, v12
	s_waitcnt vmcnt(0)
	v_mul_f32_e32 v5, v4, v8
	v_fmac_f32_e32 v5, v9, v12
	s_cbranch_scc0 .LBB38_3
	s_branch .LBB38_5
.LBB38_4:
	s_waitcnt lgkmcnt(0)
	v_mov_b32_e32 v6, s13
.LBB38_5:
	s_waitcnt vmcnt(0)
	v_div_scale_f32 v0, null, v6, v6, v5
	v_rcp_f32_e32 v3, v0
	v_fma_f32 v4, -v0, v3, 1.0
	v_fmac_f32_e32 v3, v4, v3
	v_div_scale_f32 v4, vcc_lo, v5, v6, v5
	v_mul_f32_e32 v7, v4, v3
	v_fma_f32 v8, -v0, v7, v4
	v_fmac_f32_e32 v7, v8, v3
	v_fma_f32 v0, -v0, v7, v4
	v_div_fmas_f32 v0, v0, v3, v7
	v_div_fixup_f32 v0, v0, v6, v5
	global_store_dword v[1:2], v0, off
.LBB38_6:
	s_endpgm
	.section	.rodata,"a",@progbits
	.p2align	6, 0x0
	.amdhsa_kernel _ZL33flash_attn_stream_k_fixup_uniformILi128ELi16ELi2EEvPfPK15HIP_vector_typeIfLj2EEiiiiiiS1_IjLj3EES5_S5_
		.amdhsa_group_segment_fixed_size 0
		.amdhsa_private_segment_fixed_size 0
		.amdhsa_kernarg_size 76
		.amdhsa_user_sgpr_count 6
		.amdhsa_user_sgpr_private_segment_buffer 1
		.amdhsa_user_sgpr_dispatch_ptr 0
		.amdhsa_user_sgpr_queue_ptr 0
		.amdhsa_user_sgpr_kernarg_segment_ptr 1
		.amdhsa_user_sgpr_dispatch_id 0
		.amdhsa_user_sgpr_flat_scratch_init 0
		.amdhsa_user_sgpr_private_segment_size 0
		.amdhsa_wavefront_size32 1
		.amdhsa_uses_dynamic_stack 0
		.amdhsa_system_sgpr_private_segment_wavefront_offset 0
		.amdhsa_system_sgpr_workgroup_id_x 1
		.amdhsa_system_sgpr_workgroup_id_y 1
		.amdhsa_system_sgpr_workgroup_id_z 1
		.amdhsa_system_sgpr_workgroup_info 0
		.amdhsa_system_vgpr_workitem_id 0
		.amdhsa_next_free_vgpr 15
		.amdhsa_next_free_sgpr 24
		.amdhsa_reserve_vcc 1
		.amdhsa_reserve_flat_scratch 0
		.amdhsa_float_round_mode_32 0
		.amdhsa_float_round_mode_16_64 0
		.amdhsa_float_denorm_mode_32 3
		.amdhsa_float_denorm_mode_16_64 3
		.amdhsa_dx10_clamp 1
		.amdhsa_ieee_mode 1
		.amdhsa_fp16_overflow 0
		.amdhsa_workgroup_processor_mode 1
		.amdhsa_memory_ordered 1
		.amdhsa_forward_progress 1
		.amdhsa_shared_vgpr_count 0
		.amdhsa_exception_fp_ieee_invalid_op 0
		.amdhsa_exception_fp_denorm_src 0
		.amdhsa_exception_fp_ieee_div_zero 0
		.amdhsa_exception_fp_ieee_overflow 0
		.amdhsa_exception_fp_ieee_underflow 0
		.amdhsa_exception_fp_ieee_inexact 0
		.amdhsa_exception_int_div_zero 0
	.end_amdhsa_kernel
	.section	.text._ZL33flash_attn_stream_k_fixup_uniformILi128ELi16ELi2EEvPfPK15HIP_vector_typeIfLj2EEiiiiiiS1_IjLj3EES5_S5_,"axG",@progbits,_ZL33flash_attn_stream_k_fixup_uniformILi128ELi16ELi2EEvPfPK15HIP_vector_typeIfLj2EEiiiiiiS1_IjLj3EES5_S5_,comdat
.Lfunc_end38:
	.size	_ZL33flash_attn_stream_k_fixup_uniformILi128ELi16ELi2EEvPfPK15HIP_vector_typeIfLj2EEiiiiiiS1_IjLj3EES5_S5_, .Lfunc_end38-_ZL33flash_attn_stream_k_fixup_uniformILi128ELi16ELi2EEvPfPK15HIP_vector_typeIfLj2EEiiiiiiS1_IjLj3EES5_S5_
                                        ; -- End function
	.set _ZL33flash_attn_stream_k_fixup_uniformILi128ELi16ELi2EEvPfPK15HIP_vector_typeIfLj2EEiiiiiiS1_IjLj3EES5_S5_.num_vgpr, 15
	.set _ZL33flash_attn_stream_k_fixup_uniformILi128ELi16ELi2EEvPfPK15HIP_vector_typeIfLj2EEiiiiiiS1_IjLj3EES5_S5_.num_agpr, 0
	.set _ZL33flash_attn_stream_k_fixup_uniformILi128ELi16ELi2EEvPfPK15HIP_vector_typeIfLj2EEiiiiiiS1_IjLj3EES5_S5_.numbered_sgpr, 24
	.set _ZL33flash_attn_stream_k_fixup_uniformILi128ELi16ELi2EEvPfPK15HIP_vector_typeIfLj2EEiiiiiiS1_IjLj3EES5_S5_.num_named_barrier, 0
	.set _ZL33flash_attn_stream_k_fixup_uniformILi128ELi16ELi2EEvPfPK15HIP_vector_typeIfLj2EEiiiiiiS1_IjLj3EES5_S5_.private_seg_size, 0
	.set _ZL33flash_attn_stream_k_fixup_uniformILi128ELi16ELi2EEvPfPK15HIP_vector_typeIfLj2EEiiiiiiS1_IjLj3EES5_S5_.uses_vcc, 1
	.set _ZL33flash_attn_stream_k_fixup_uniformILi128ELi16ELi2EEvPfPK15HIP_vector_typeIfLj2EEiiiiiiS1_IjLj3EES5_S5_.uses_flat_scratch, 0
	.set _ZL33flash_attn_stream_k_fixup_uniformILi128ELi16ELi2EEvPfPK15HIP_vector_typeIfLj2EEiiiiiiS1_IjLj3EES5_S5_.has_dyn_sized_stack, 0
	.set _ZL33flash_attn_stream_k_fixup_uniformILi128ELi16ELi2EEvPfPK15HIP_vector_typeIfLj2EEiiiiiiS1_IjLj3EES5_S5_.has_recursion, 0
	.set _ZL33flash_attn_stream_k_fixup_uniformILi128ELi16ELi2EEvPfPK15HIP_vector_typeIfLj2EEiiiiiiS1_IjLj3EES5_S5_.has_indirect_call, 0
	.section	.AMDGPU.csdata,"",@progbits
; Kernel info:
; codeLenInByte = 848
; TotalNumSgprs: 26
; NumVgprs: 15
; ScratchSize: 0
; MemoryBound: 0
; FloatMode: 240
; IeeeMode: 1
; LDSByteSize: 0 bytes/workgroup (compile time only)
; SGPRBlocks: 0
; VGPRBlocks: 1
; NumSGPRsForWavesPerEU: 26
; NumVGPRsForWavesPerEU: 15
; Occupancy: 16
; WaveLimiterHint : 0
; COMPUTE_PGM_RSRC2:SCRATCH_EN: 0
; COMPUTE_PGM_RSRC2:USER_SGPR: 6
; COMPUTE_PGM_RSRC2:TRAP_HANDLER: 0
; COMPUTE_PGM_RSRC2:TGID_X_EN: 1
; COMPUTE_PGM_RSRC2:TGID_Y_EN: 1
; COMPUTE_PGM_RSRC2:TGID_Z_EN: 1
; COMPUTE_PGM_RSRC2:TIDIG_COMP_CNT: 0
	.section	.text._ZL33flash_attn_stream_k_fixup_generalILi128ELi16ELi2EEvPfPK15HIP_vector_typeIfLj2EEiiiiS1_IjLj3EES5_S5_S5_,"axG",@progbits,_ZL33flash_attn_stream_k_fixup_generalILi128ELi16ELi2EEvPfPK15HIP_vector_typeIfLj2EEiiiiS1_IjLj3EES5_S5_S5_,comdat
	.globl	_ZL33flash_attn_stream_k_fixup_generalILi128ELi16ELi2EEvPfPK15HIP_vector_typeIfLj2EEiiiiS1_IjLj3EES5_S5_S5_ ; -- Begin function _ZL33flash_attn_stream_k_fixup_generalILi128ELi16ELi2EEvPfPK15HIP_vector_typeIfLj2EEiiiiS1_IjLj3EES5_S5_S5_
	.p2align	8
	.type	_ZL33flash_attn_stream_k_fixup_generalILi128ELi16ELi2EEvPfPK15HIP_vector_typeIfLj2EEiiiiS1_IjLj3EES5_S5_S5_,@function
_ZL33flash_attn_stream_k_fixup_generalILi128ELi16ELi2EEvPfPK15HIP_vector_typeIfLj2EEiiiiS1_IjLj3EES5_S5_S5_: ; @_ZL33flash_attn_stream_k_fixup_generalILi128ELi16ELi2EEvPfPK15HIP_vector_typeIfLj2EEiiiiS1_IjLj3EES5_S5_S5_
; %bb.0:
	s_clause 0x1
	s_load_dwordx4 s[0:3], s[4:5], 0x10
	s_load_dword s9, s[4:5], 0x50
	s_mov_b32 s16, 0
	s_waitcnt lgkmcnt(0)
	s_mul_hi_i32 s17, s3, s6
	s_mul_i32 s18, s3, s6
	s_cmp_lg_u64 s[16:17], 0
	s_cbranch_scc0 .LBB39_21
; %bb.1:
	s_add_u32 s10, s9, 0
	s_addc_u32 s11, 0, 0
	s_xor_b64 s[10:11], s[10:11], 0
	v_cvt_f32_u32_e32 v1, s10
	v_cvt_f32_u32_e32 v2, s11
	s_sub_u32 s14, 0, s10
	s_subb_u32 s15, 0, s11
	v_fmamk_f32 v1, v2, 0x4f800000, v1
	v_rcp_f32_e32 v1, v1
	v_mul_f32_e32 v1, 0x5f7ffffc, v1
	v_mul_f32_e32 v2, 0x2f800000, v1
	v_trunc_f32_e32 v2, v2
	v_fmamk_f32 v1, v2, 0xcf800000, v1
	v_cvt_u32_f32_e32 v2, v2
	v_cvt_u32_f32_e32 v1, v1
	v_readfirstlane_b32 s12, v2
	v_readfirstlane_b32 s13, v1
	s_mul_i32 s19, s14, s12
	s_mul_hi_u32 s21, s14, s13
	s_mul_i32 s20, s15, s13
	s_add_i32 s19, s21, s19
	s_mul_i32 s22, s14, s13
	s_add_i32 s19, s19, s20
	s_mul_hi_u32 s21, s13, s22
	s_mul_i32 s24, s13, s19
	s_mul_hi_u32 s23, s12, s22
	s_mul_i32 s20, s12, s22
	s_mul_hi_u32 s22, s13, s19
	s_add_u32 s21, s21, s24
	s_addc_u32 s22, 0, s22
	s_mul_hi_u32 s25, s12, s19
	s_add_u32 s20, s21, s20
	s_mul_i32 s19, s12, s19
	s_addc_u32 s20, s22, s23
	s_addc_u32 s21, s25, 0
	s_add_u32 s19, s20, s19
	s_addc_u32 s20, 0, s21
	s_add_u32 s13, s13, s19
	s_cselect_b32 s19, -1, 0
	s_mul_hi_u32 s21, s14, s13
	s_cmp_lg_u32 s19, 0
	s_mul_i32 s19, s14, s13
	s_addc_u32 s12, s12, s20
	s_mul_i32 s15, s15, s13
	s_mul_i32 s14, s14, s12
	s_mul_hi_u32 s20, s13, s19
	s_add_i32 s14, s21, s14
	s_mul_hi_u32 s21, s12, s19
	s_add_i32 s14, s14, s15
	s_mul_i32 s15, s12, s19
	s_mul_i32 s23, s13, s14
	s_mul_hi_u32 s22, s13, s14
	s_add_u32 s20, s20, s23
	s_addc_u32 s22, 0, s22
	s_mul_hi_u32 s19, s12, s14
	s_add_u32 s15, s20, s15
	s_mul_i32 s14, s12, s14
	s_addc_u32 s15, s22, s21
	s_addc_u32 s19, s19, 0
	s_add_u32 s14, s15, s14
	s_addc_u32 s15, 0, s19
	s_add_u32 s19, s13, s14
	s_cselect_b32 s13, -1, 0
	s_cmp_lg_u32 s13, 0
	s_addc_u32 s20, s12, s15
	s_ashr_i32 s12, s17, 31
	s_add_u32 s14, s18, s12
	s_mov_b32 s13, s12
	s_addc_u32 s15, s17, s12
	s_xor_b64 s[14:15], s[14:15], s[12:13]
	s_mul_i32 s21, s14, s20
	s_mul_hi_u32 s22, s14, s19
	s_mul_hi_u32 s17, s14, s20
	;; [unrolled: 1-line block ×3, first 2 shown]
	s_mul_i32 s19, s15, s19
	s_add_u32 s21, s22, s21
	s_addc_u32 s17, 0, s17
	s_mul_hi_u32 s23, s15, s20
	s_add_u32 s19, s21, s19
	s_mul_i32 s20, s15, s20
	s_addc_u32 s17, s17, s24
	s_addc_u32 s19, s23, 0
	s_add_u32 s17, s17, s20
	s_addc_u32 s19, 0, s19
	s_mul_hi_u32 s20, s10, s17
	s_mul_i32 s21, s10, s19
	s_mul_i32 s22, s11, s17
	s_add_i32 s20, s20, s21
	s_mul_i32 s21, s10, s17
	s_add_i32 s20, s20, s22
	s_sub_i32 s22, s15, s20
	s_sub_u32 s14, s14, s21
	s_cselect_b32 s21, -1, 0
	s_cmp_lg_u32 s21, 0
	s_subb_u32 s22, s22, s11
	s_sub_u32 s23, s14, s10
	s_cselect_b32 s24, -1, 0
	s_cmp_lg_u32 s24, 0
	s_subb_u32 s22, s22, 0
	s_cmp_ge_u32 s22, s11
	s_cselect_b32 s24, -1, 0
	s_cmp_ge_u32 s23, s10
	s_cselect_b32 s23, -1, 0
	s_cmp_eq_u32 s22, s11
	s_cselect_b32 s22, s23, s24
	s_add_u32 s23, s17, 1
	s_addc_u32 s24, s19, 0
	s_add_u32 s25, s17, 2
	s_addc_u32 s26, s19, 0
	s_cmp_lg_u32 s22, 0
	s_cselect_b32 s22, s25, s23
	s_cselect_b32 s23, s26, s24
	s_cmp_lg_u32 s21, 0
	s_subb_u32 s15, s15, s20
	s_cmp_ge_u32 s15, s11
	s_cselect_b32 s20, -1, 0
	s_cmp_ge_u32 s14, s10
	s_cselect_b32 s10, -1, 0
	s_cmp_eq_u32 s15, s11
	s_cselect_b32 s10, s10, s20
	s_cmp_lg_u32 s10, 0
	s_cselect_b32 s11, s23, s19
	s_cselect_b32 s10, s22, s17
	s_xor_b64 s[12:13], s[12:13], 0
	s_xor_b64 s[10:11], s[10:11], s[12:13]
	s_sub_u32 s10, s10, s12
	s_load_dwordx4 s[12:15], s[4:5], 0x44
	s_andn2_b32 vcc_lo, exec_lo, s16
	s_cbranch_vccnz .LBB39_3
.LBB39_2:
	v_cvt_f32_u32_e32 v1, s9
	s_sub_i32 s11, 0, s9
	v_rcp_iflag_f32_e32 v1, v1
	v_mul_f32_e32 v1, 0x4f7ffffe, v1
	v_cvt_u32_f32_e32 v1, v1
	v_readfirstlane_b32 s10, v1
	s_mul_i32 s11, s11, s10
	s_mul_hi_u32 s11, s10, s11
	s_add_i32 s10, s10, s11
	s_mul_hi_u32 s10, s18, s10
	s_mul_i32 s11, s10, s9
	s_waitcnt lgkmcnt(0)
	s_add_i32 s15, s10, 1
	s_sub_i32 s11, s18, s11
	s_sub_i32 s16, s11, s9
	s_cmp_ge_u32 s11, s9
	s_cselect_b32 s10, s15, s10
	s_cselect_b32 s11, s16, s11
	s_add_i32 s15, s10, 1
	s_cmp_ge_u32 s11, s9
	s_cselect_b32 s10, s15, s10
.LBB39_3:
	s_add_i32 s11, s6, 1
	s_mov_b32 s16, 0
	s_mul_hi_i32 s17, s3, s11
	s_mul_i32 s11, s3, s11
	s_cmp_lg_u64 s[16:17], 0
	s_cbranch_scc0 .LBB39_22
; %bb.4:
	s_add_u32 s18, s9, 0
	s_addc_u32 s19, 0, 0
	s_xor_b64 s[18:19], s[18:19], 0
	v_cvt_f32_u32_e32 v1, s18
	v_cvt_f32_u32_e32 v2, s19
	s_sub_u32 s21, 0, s18
	s_subb_u32 s22, 0, s19
	v_fmamk_f32 v1, v2, 0x4f800000, v1
	v_rcp_f32_e32 v1, v1
	v_mul_f32_e32 v1, 0x5f7ffffc, v1
	v_mul_f32_e32 v2, 0x2f800000, v1
	v_trunc_f32_e32 v2, v2
	v_fmamk_f32 v1, v2, 0xcf800000, v1
	v_cvt_u32_f32_e32 v2, v2
	v_cvt_u32_f32_e32 v1, v1
	s_waitcnt lgkmcnt(0)
	v_readfirstlane_b32 s15, v2
	v_readfirstlane_b32 s20, v1
	s_mul_i32 s23, s21, s15
	s_mul_hi_u32 s25, s21, s20
	s_mul_i32 s24, s22, s20
	s_add_i32 s23, s25, s23
	s_mul_i32 s26, s21, s20
	s_add_i32 s23, s23, s24
	s_mul_hi_u32 s25, s20, s26
	s_mul_i32 s28, s20, s23
	s_mul_hi_u32 s27, s15, s26
	s_mul_i32 s24, s15, s26
	s_mul_hi_u32 s26, s20, s23
	s_add_u32 s25, s25, s28
	s_addc_u32 s26, 0, s26
	s_mul_hi_u32 s29, s15, s23
	s_add_u32 s24, s25, s24
	s_mul_i32 s23, s15, s23
	s_addc_u32 s24, s26, s27
	s_addc_u32 s25, s29, 0
	s_add_u32 s23, s24, s23
	s_addc_u32 s24, 0, s25
	s_add_u32 s20, s20, s23
	s_cselect_b32 s23, -1, 0
	s_mul_hi_u32 s25, s21, s20
	s_cmp_lg_u32 s23, 0
	s_mul_i32 s23, s21, s20
	s_addc_u32 s15, s15, s24
	s_mul_i32 s22, s22, s20
	s_mul_i32 s21, s21, s15
	s_mul_hi_u32 s24, s20, s23
	s_add_i32 s21, s25, s21
	s_mul_hi_u32 s25, s15, s23
	s_add_i32 s21, s21, s22
	s_mul_i32 s22, s15, s23
	s_mul_i32 s27, s20, s21
	s_mul_hi_u32 s26, s20, s21
	s_add_u32 s24, s24, s27
	s_addc_u32 s26, 0, s26
	s_mul_hi_u32 s23, s15, s21
	s_add_u32 s22, s24, s22
	s_mul_i32 s21, s15, s21
	s_addc_u32 s22, s26, s25
	s_addc_u32 s23, s23, 0
	s_add_u32 s21, s22, s21
	s_addc_u32 s22, 0, s23
	s_add_u32 s24, s20, s21
	s_cselect_b32 s20, -1, 0
	s_cmp_lg_u32 s20, 0
	s_addc_u32 s15, s15, s22
	s_ashr_i32 s20, s17, 31
	s_add_u32 s22, s11, s20
	s_mov_b32 s21, s20
	s_addc_u32 s23, s17, s20
	s_xor_b64 s[22:23], s[22:23], s[20:21]
	s_mul_i32 s25, s22, s15
	s_mul_hi_u32 s26, s22, s24
	s_mul_hi_u32 s17, s22, s15
	;; [unrolled: 1-line block ×3, first 2 shown]
	s_mul_i32 s24, s23, s24
	s_add_u32 s25, s26, s25
	s_addc_u32 s17, 0, s17
	s_mul_hi_u32 s27, s23, s15
	s_add_u32 s24, s25, s24
	s_mul_i32 s15, s23, s15
	s_addc_u32 s17, s17, s28
	s_addc_u32 s24, s27, 0
	s_add_u32 s15, s17, s15
	s_addc_u32 s17, 0, s24
	s_mul_hi_u32 s24, s18, s15
	s_mul_i32 s25, s18, s17
	s_mul_i32 s26, s19, s15
	s_add_i32 s24, s24, s25
	s_mul_i32 s25, s18, s15
	s_add_i32 s24, s24, s26
	s_sub_i32 s26, s23, s24
	s_sub_u32 s22, s22, s25
	s_cselect_b32 s25, -1, 0
	s_cmp_lg_u32 s25, 0
	s_subb_u32 s26, s26, s19
	s_sub_u32 s27, s22, s18
	s_cselect_b32 s28, -1, 0
	s_cmp_lg_u32 s28, 0
	s_subb_u32 s26, s26, 0
	s_cmp_ge_u32 s26, s19
	s_cselect_b32 s28, -1, 0
	s_cmp_ge_u32 s27, s18
	s_cselect_b32 s27, -1, 0
	s_cmp_eq_u32 s26, s19
	s_cselect_b32 s26, s27, s28
	s_add_u32 s27, s15, 1
	s_addc_u32 s28, s17, 0
	s_add_u32 s29, s15, 2
	s_addc_u32 s30, s17, 0
	s_cmp_lg_u32 s26, 0
	s_cselect_b32 s26, s29, s27
	s_cselect_b32 s27, s30, s28
	s_cmp_lg_u32 s25, 0
	s_subb_u32 s23, s23, s24
	s_cmp_ge_u32 s23, s19
	s_cselect_b32 s24, -1, 0
	s_cmp_ge_u32 s22, s18
	s_cselect_b32 s18, -1, 0
	s_cmp_eq_u32 s23, s19
	s_cselect_b32 s18, s18, s24
	s_cmp_lg_u32 s18, 0
	s_cselect_b32 s19, s27, s17
	s_cselect_b32 s18, s26, s15
	s_xor_b64 s[20:21], s[20:21], 0
	s_xor_b64 s[18:19], s[18:19], s[20:21]
	s_sub_u32 s18, s18, s20
	s_andn2_b32 vcc_lo, exec_lo, s16
	s_cbranch_vccnz .LBB39_6
.LBB39_5:
	v_cvt_f32_u32_e32 v1, s9
	s_sub_i32 s16, 0, s9
	v_rcp_iflag_f32_e32 v1, v1
	v_mul_f32_e32 v1, 0x4f7ffffe, v1
	v_cvt_u32_f32_e32 v1, v1
	s_waitcnt lgkmcnt(0)
	v_readfirstlane_b32 s15, v1
	s_mul_i32 s16, s16, s15
	s_mul_hi_u32 s16, s15, s16
	s_add_i32 s15, s15, s16
	s_mul_hi_u32 s15, s11, s15
	s_mul_i32 s16, s15, s9
	s_sub_i32 s11, s11, s16
	s_add_i32 s16, s15, 1
	s_sub_i32 s17, s11, s9
	s_cmp_ge_u32 s11, s9
	s_cselect_b32 s15, s16, s15
	s_cselect_b32 s11, s17, s11
	s_add_i32 s16, s15, 1
	s_cmp_ge_u32 s11, s9
	s_cselect_b32 s18, s16, s15
.LBB39_6:
	s_cmp_eq_u32 s10, s18
	s_waitcnt lgkmcnt(0)
	s_mul_hi_u32 s11, s10, s12
	s_cselect_b32 s15, -1, 0
	s_add_i32 s11, s11, s10
	s_lshr_b32 s11, s11, s13
	s_mul_i32 s16, s11, s14
	s_cmp_eq_u32 s16, s10
	s_mul_hi_u32 s16, s18, s12
	s_cselect_b32 s17, -1, 0
	s_add_i32 s16, s16, s18
	s_lshr_b32 s16, s16, s13
	s_cmp_eq_u32 s11, s16
	s_mul_i32 s16, s16, s14
	s_cselect_b32 s19, -1, 0
	s_cmp_lg_u32 s16, s18
	s_cselect_b32 s16, -1, 0
	s_or_b32 s15, s15, s17
	s_and_b32 s16, s19, s16
	s_or_b32 s15, s15, s16
	s_and_b32 vcc_lo, exec_lo, s15
	s_cbranch_vccnz .LBB39_24
; %bb.7:
	s_clause 0x1
	s_load_dwordx8 s[20:27], s[4:5], 0x20
	s_load_dword s16, s[4:5], 0x40
	s_waitcnt lgkmcnt(0)
	s_mul_hi_u32 s15, s10, s20
	s_add_i32 s15, s15, s10
	s_lshr_b32 s15, s15, s21
	s_mul_i32 s17, s15, s22
	s_sub_i32 s17, s10, s17
	s_mul_hi_u32 s18, s17, s23
	s_add_i32 s18, s17, s18
	s_lshr_b32 s22, s18, s24
	s_mul_i32 s18, s22, s25
	s_sub_i32 s17, s17, s18
	s_mul_hi_u32 s18, s17, s26
	s_add_i32 s18, s17, s18
	s_lshr_b32 s18, s18, s27
	s_mul_i32 s16, s18, s16
	s_lshl_b32 s24, s18, 1
	s_sub_i32 s16, s17, s16
	s_mul_hi_u32 s17, s16, s12
	s_add_i32 s16, s16, s17
	s_lshr_b32 s23, s16, s13
	s_lshl_b32 s16, s23, 4
	s_add_i32 s16, s16, s7
	s_cmp_lt_i32 s16, s0
	s_cselect_b32 s16, -1, 0
	s_add_i32 s17, s24, s8
	s_cmp_lt_i32 s17, s2
	s_cselect_b32 s17, -1, 0
	s_and_b32 s16, s16, s17
	s_andn2_b32 vcc_lo, exec_lo, s16
	s_cbranch_vccnz .LBB39_24
; %bb.8:
	s_load_dwordx4 s[16:19], s[4:5], 0x0
	s_mov_b32 s4, 0
	s_lshl_b32 s20, s9, 7
	s_mov_b32 s21, s4
	s_lshl_b32 s5, s7, 1
	s_lshl_b64 s[20:21], s[20:21], 2
	s_mul_i32 s0, s15, s0
	s_add_i32 s15, s5, s8
	s_mul_i32 s22, s22, s2
	v_cvt_f32_u32_e32 v4, s9
	v_rcp_iflag_f32_e32 v4, v4
	s_waitcnt lgkmcnt(0)
	s_add_u32 s20, s18, s20
	s_addc_u32 s21, s19, s21
	s_add_i32 s0, s0, s7
	s_mul_i32 s0, s0, s1
	s_mul_i32 s1, s1, s23
	s_add_i32 s0, s0, s8
	s_lshl_b32 s1, s1, 11
	s_add_i32 s0, s0, s22
	v_mul_f32_e32 v4, 0x4f7ffffe, v4
	s_add_i32 s0, s0, s24
	s_lshl_b32 s0, s0, 7
	s_add_i32 s1, s1, s0
	s_lshl_b32 s0, s6, 5
	v_or_b32_e32 v1, s1, v0
	s_add_i32 s0, s15, s0
	v_lshl_or_b32 v0, s15, 7, v0
	s_ashr_i32 s1, s0, 31
	v_cvt_u32_f32_e32 v4, v4
	v_ashrrev_i32_e32 v2, 31, v1
	s_lshl_b64 s[0:1], s[0:1], 3
	s_add_u32 s0, s18, s0
	s_addc_u32 s1, s19, s1
	v_lshlrev_b64 v[1:2], 2, v[1:2]
	s_load_dwordx2 s[0:1], s[0:1], 0x0
	s_add_i32 s8, s6, -1
	s_sub_i32 s2, 0, s9
	v_add_co_u32 v1, vcc_lo, s16, v1
	v_add_co_ci_u32_e64 v2, null, s17, v2, vcc_lo
	global_load_dword v3, v[1:2], off
	s_waitcnt lgkmcnt(0)
	v_mov_b32_e32 v5, s1
	v_mov_b32_e32 v6, s0
.LBB39_9:                               ; =>This Inner Loop Header: Depth=1
	s_mul_hi_i32 s5, s8, s3
	s_mul_i32 s6, s8, s3
	s_cmp_lg_u64 s[4:5], 0
	s_mov_b32 s7, -1
                                        ; implicit-def: $sgpr0_sgpr1
	s_cbranch_scc0 .LBB39_11
; %bb.10:                               ;   in Loop: Header=BB39_9 Depth=1
	s_add_u32 s0, s9, 0
	s_addc_u32 s1, 0, 0
	s_xor_b64 s[0:1], s[0:1], 0
	v_cvt_f32_u32_e32 v7, s0
	v_cvt_f32_u32_e32 v8, s1
	s_sub_u32 s17, 0, s0
	s_subb_u32 s22, 0, s1
	v_fmac_f32_e32 v7, 0x4f800000, v8
	v_rcp_f32_e32 v7, v7
	v_mul_f32_e32 v7, 0x5f7ffffc, v7
	v_mul_f32_e32 v8, 0x2f800000, v7
	v_trunc_f32_e32 v8, v8
	v_fmac_f32_e32 v7, 0xcf800000, v8
	v_cvt_u32_f32_e32 v8, v8
	v_cvt_u32_f32_e32 v7, v7
	v_readfirstlane_b32 s7, v8
	v_readfirstlane_b32 s16, v7
	s_mul_i32 s23, s17, s7
	s_mul_hi_u32 s25, s17, s16
	s_mul_i32 s24, s22, s16
	s_add_i32 s23, s25, s23
	s_mul_i32 s26, s17, s16
	s_add_i32 s23, s23, s24
	s_mul_hi_u32 s25, s16, s26
	s_mul_i32 s28, s16, s23
	s_mul_hi_u32 s27, s7, s26
	s_mul_i32 s24, s7, s26
	s_mul_hi_u32 s26, s16, s23
	s_add_u32 s25, s25, s28
	s_addc_u32 s26, 0, s26
	s_mul_hi_u32 s29, s7, s23
	s_add_u32 s24, s25, s24
	s_mul_i32 s23, s7, s23
	s_addc_u32 s24, s26, s27
	s_addc_u32 s25, s29, 0
	s_add_u32 s23, s24, s23
	s_addc_u32 s24, 0, s25
	s_add_u32 s16, s16, s23
	s_cselect_b32 s23, -1, 0
	s_mul_hi_u32 s25, s17, s16
	s_cmp_lg_u32 s23, 0
	s_mul_i32 s23, s17, s16
	s_addc_u32 s7, s7, s24
	s_mul_i32 s22, s22, s16
	s_mul_i32 s17, s17, s7
	s_mul_hi_u32 s24, s16, s23
	s_add_i32 s17, s25, s17
	s_mul_hi_u32 s25, s7, s23
	s_add_i32 s17, s17, s22
	s_mul_i32 s22, s7, s23
	s_mul_i32 s27, s16, s17
	s_mul_hi_u32 s26, s16, s17
	s_add_u32 s24, s24, s27
	s_addc_u32 s26, 0, s26
	s_mul_hi_u32 s23, s7, s17
	s_add_u32 s22, s24, s22
	s_mul_i32 s17, s7, s17
	s_addc_u32 s22, s26, s25
	s_addc_u32 s23, s23, 0
	s_add_u32 s17, s22, s17
	s_addc_u32 s22, 0, s23
	s_add_u32 s24, s16, s17
	s_cselect_b32 s16, -1, 0
	s_cmp_lg_u32 s16, 0
	s_addc_u32 s7, s7, s22
	s_ashr_i32 s16, s5, 31
	s_add_u32 s22, s6, s16
	s_mov_b32 s17, s16
	s_addc_u32 s23, s5, s16
	s_xor_b64 s[22:23], s[22:23], s[16:17]
	s_mul_i32 s25, s22, s7
	s_mul_hi_u32 s26, s22, s24
	s_mul_hi_u32 s5, s22, s7
	s_mul_hi_u32 s28, s23, s24
	s_mul_i32 s24, s23, s24
	s_add_u32 s25, s26, s25
	s_addc_u32 s5, 0, s5
	s_mul_hi_u32 s27, s23, s7
	s_add_u32 s24, s25, s24
	s_mul_i32 s7, s23, s7
	s_addc_u32 s5, s5, s28
	s_addc_u32 s24, s27, 0
	s_add_u32 s5, s5, s7
	s_addc_u32 s7, 0, s24
	s_mul_hi_u32 s24, s0, s5
	s_mul_i32 s25, s0, s7
	s_mul_i32 s26, s1, s5
	s_add_i32 s24, s24, s25
	s_mul_i32 s25, s0, s5
	s_add_i32 s24, s24, s26
	s_sub_i32 s26, s23, s24
	s_sub_u32 s22, s22, s25
	s_cselect_b32 s25, -1, 0
	s_cmp_lg_u32 s25, 0
	s_subb_u32 s26, s26, s1
	s_sub_u32 s27, s22, s0
	s_cselect_b32 s28, -1, 0
	s_cmp_lg_u32 s28, 0
	s_subb_u32 s26, s26, 0
	s_cmp_ge_u32 s26, s1
	s_cselect_b32 s28, -1, 0
	s_cmp_ge_u32 s27, s0
	s_cselect_b32 s27, -1, 0
	s_cmp_eq_u32 s26, s1
	s_cselect_b32 s26, s27, s28
	s_add_u32 s27, s5, 1
	s_addc_u32 s28, s7, 0
	s_add_u32 s29, s5, 2
	s_addc_u32 s30, s7, 0
	s_cmp_lg_u32 s26, 0
	s_cselect_b32 s26, s29, s27
	s_cselect_b32 s27, s30, s28
	s_cmp_lg_u32 s25, 0
	s_subb_u32 s23, s23, s24
	s_cmp_ge_u32 s23, s1
	s_cselect_b32 s24, -1, 0
	s_cmp_ge_u32 s22, s0
	s_cselect_b32 s0, -1, 0
	s_cmp_eq_u32 s23, s1
	s_cselect_b32 s0, s0, s24
	s_cmp_lg_u32 s0, 0
	s_cselect_b32 s1, s27, s7
	s_cselect_b32 s0, s26, s5
	s_xor_b64 s[16:17], s[16:17], 0
	s_mov_b32 s7, 0
	s_xor_b64 s[0:1], s[0:1], s[16:17]
	s_sub_u32 s0, s0, s16
.LBB39_11:                              ;   in Loop: Header=BB39_9 Depth=1
	s_andn2_b32 vcc_lo, exec_lo, s7
	s_cbranch_vccnz .LBB39_13
; %bb.12:                               ;   in Loop: Header=BB39_9 Depth=1
	v_readfirstlane_b32 s0, v4
	s_mul_i32 s1, s2, s0
	s_mul_hi_u32 s1, s0, s1
	s_add_i32 s0, s0, s1
	s_mul_hi_u32 s0, s6, s0
	s_mul_i32 s1, s0, s9
	s_add_i32 s5, s0, 1
	s_sub_i32 s1, s6, s1
	s_sub_i32 s6, s1, s9
	s_cmp_ge_u32 s1, s9
	s_cselect_b32 s0, s5, s0
	s_cselect_b32 s1, s6, s1
	s_add_i32 s5, s0, 1
	s_cmp_ge_u32 s1, s9
	s_cselect_b32 s0, s5, s0
.LBB39_13:                              ;   in Loop: Header=BB39_9 Depth=1
	s_cmp_lg_u32 s10, s0
	s_mov_b32 s6, -1
                                        ; implicit-def: $sgpr5
                                        ; implicit-def: $vgpr8
                                        ; implicit-def: $vgpr7
                                        ; implicit-def: $vgpr9
                                        ; implicit-def: $sgpr1
                                        ; implicit-def: $sgpr16
	s_cbranch_scc0 .LBB39_18
; %bb.14:                               ;   in Loop: Header=BB39_9 Depth=1
	s_add_i32 s1, s8, s9
	s_mov_b32 s7, s4
	s_lshl_b32 s1, s1, 5
	s_mov_b32 s16, s10
	s_add_i32 s6, s1, s15
	s_mul_hi_u32 s1, s0, s12
	s_lshl_b64 s[6:7], s[6:7], 3
	s_add_u32 s6, s18, s6
	s_addc_u32 s7, s19, s7
	s_add_i32 s1, s1, s0
	s_lshr_b32 s1, s1, s13
	s_mul_i32 s5, s1, s14
	s_cmp_eq_u32 s5, s0
	s_cselect_b32 s5, -1, 0
	s_cmp_lt_u32 s1, s11
	s_cselect_b32 s1, -1, 0
	s_or_b32 s1, s1, s5
	s_mov_b32 s5, -1
	s_and_b32 vcc_lo, exec_lo, s1
	s_mov_b32 s1, s8
	s_cbranch_vccnz .LBB39_16
; %bb.15:                               ;   in Loop: Header=BB39_9 Depth=1
	s_add_i32 s1, s8, -1
	s_mov_b32 s5, 0
	s_mov_b32 s16, s0
.LBB39_16:                              ;   in Loop: Header=BB39_9 Depth=1
	v_lshl_add_u32 v7, s8, 12, v0
	s_load_dwordx2 s[6:7], s[6:7], 0x0
	v_ashrrev_i32_e32 v8, 31, v7
	v_lshlrev_b64 v[7:8], 2, v[7:8]
	v_add_co_u32 v7, vcc_lo, s20, v7
	v_add_co_ci_u32_e64 v8, null, s21, v8, vcc_lo
	s_waitcnt lgkmcnt(0)
	v_max_f32_e64 v9, s6, s6
	global_load_dword v8, v[7:8], off
	v_max_f32_e32 v7, v6, v6
	v_max_f32_e32 v7, v7, v9
	v_sub_f32_e32 v9, s6, v7
	v_sub_f32_e32 v10, v6, v7
	v_mul_f32_e32 v11, 0x3fb8aa3b, v9
	v_mul_f32_e32 v12, 0x3fb8aa3b, v10
	v_cmp_ngt_f32_e32 vcc_lo, 0xc2ce8ed0, v9
	v_fma_f32 v13, 0x3fb8aa3b, v9, -v11
	v_rndne_f32_e32 v14, v11
	v_fma_f32 v15, 0x3fb8aa3b, v10, -v12
	v_rndne_f32_e32 v16, v12
	v_fmac_f32_e32 v13, 0x32a5705f, v9
	v_sub_f32_e32 v11, v11, v14
	v_fmac_f32_e32 v15, 0x32a5705f, v10
	v_sub_f32_e32 v12, v12, v16
	v_add_f32_e32 v11, v11, v13
	v_cvt_i32_f32_e32 v13, v14
	v_add_f32_e32 v12, v12, v15
	v_cvt_i32_f32_e32 v14, v16
	v_exp_f32_e32 v11, v11
	v_exp_f32_e32 v12, v12
	v_ldexp_f32 v11, v11, v13
	v_ldexp_f32 v12, v12, v14
	v_cndmask_b32_e32 v11, 0, v11, vcc_lo
	v_cmp_ngt_f32_e32 vcc_lo, 0xc2ce8ed0, v10
	v_cndmask_b32_e32 v12, 0, v12, vcc_lo
	v_cmp_nlt_f32_e32 vcc_lo, 0x42b17218, v9
	v_cndmask_b32_e32 v11, 0x7f800000, v11, vcc_lo
	v_cmp_nlt_f32_e32 vcc_lo, 0x42b17218, v10
	v_cndmask_b32_e32 v12, 0x7f800000, v12, vcc_lo
	v_cmp_le_f32_e32 vcc_lo, 0xc1a00000, v9
	v_cndmask_b32_e32 v9, 0, v11, vcc_lo
	v_cmp_le_f32_e32 vcc_lo, 0xc1a00000, v10
	v_cndmask_b32_e32 v10, 0, v12, vcc_lo
	s_waitcnt vmcnt(0)
	v_mul_f32_e32 v8, v8, v9
	v_mul_f32_e32 v9, s7, v9
	v_fmac_f32_e32 v8, v3, v10
	v_fmac_f32_e32 v9, v5, v10
	s_cbranch_execz .LBB39_19
.LBB39_17:                              ;   in Loop: Header=BB39_9 Depth=1
	s_andn2_b32 vcc_lo, exec_lo, s5
	s_cbranch_vccnz .LBB39_20
	s_branch .LBB39_23
.LBB39_18:                              ;   in Loop: Header=BB39_9 Depth=1
	s_andn2_b32 vcc_lo, exec_lo, s6
	s_cbranch_vccnz .LBB39_17
.LBB39_19:                              ;   in Loop: Header=BB39_9 Depth=1
	v_mov_b32_e32 v9, v5
	v_mov_b32_e32 v7, v6
	s_waitcnt vmcnt(0)
	v_mov_b32_e32 v8, v3
	s_add_i32 s1, s8, -1
	s_mov_b32 s16, s10
	s_cbranch_execz .LBB39_23
.LBB39_20:                              ;   in Loop: Header=BB39_9 Depth=1
	v_mov_b32_e32 v5, v9
	v_mov_b32_e32 v6, v7
	s_waitcnt vmcnt(0)
	v_mov_b32_e32 v3, v8
	s_mov_b32 s10, s16
	s_mov_b32 s8, s1
	s_branch .LBB39_9
.LBB39_21:
                                        ; implicit-def: $sgpr10_sgpr11
	s_load_dwordx4 s[12:15], s[4:5], 0x44
	s_branch .LBB39_2
.LBB39_22:
                                        ; implicit-def: $sgpr18_sgpr19
	s_branch .LBB39_5
.LBB39_23:
	v_div_scale_f32 v0, null, v9, v9, v8
	s_waitcnt vmcnt(0)
	v_rcp_f32_e32 v3, v0
	v_fma_f32 v4, -v0, v3, 1.0
	v_fmac_f32_e32 v3, v4, v3
	v_div_scale_f32 v4, vcc_lo, v8, v9, v8
	v_mul_f32_e32 v5, v4, v3
	v_fma_f32 v6, -v0, v5, v4
	v_fmac_f32_e32 v5, v6, v3
	v_fma_f32 v0, -v0, v5, v4
	v_div_fmas_f32 v0, v0, v3, v5
	v_div_fixup_f32 v0, v0, v9, v8
	global_store_dword v[1:2], v0, off
.LBB39_24:
	s_endpgm
	.section	.rodata,"a",@progbits
	.p2align	6, 0x0
	.amdhsa_kernel _ZL33flash_attn_stream_k_fixup_generalILi128ELi16ELi2EEvPfPK15HIP_vector_typeIfLj2EEiiiiS1_IjLj3EES5_S5_S5_
		.amdhsa_group_segment_fixed_size 0
		.amdhsa_private_segment_fixed_size 0
		.amdhsa_kernarg_size 336
		.amdhsa_user_sgpr_count 6
		.amdhsa_user_sgpr_private_segment_buffer 1
		.amdhsa_user_sgpr_dispatch_ptr 0
		.amdhsa_user_sgpr_queue_ptr 0
		.amdhsa_user_sgpr_kernarg_segment_ptr 1
		.amdhsa_user_sgpr_dispatch_id 0
		.amdhsa_user_sgpr_flat_scratch_init 0
		.amdhsa_user_sgpr_private_segment_size 0
		.amdhsa_wavefront_size32 1
		.amdhsa_uses_dynamic_stack 0
		.amdhsa_system_sgpr_private_segment_wavefront_offset 0
		.amdhsa_system_sgpr_workgroup_id_x 1
		.amdhsa_system_sgpr_workgroup_id_y 1
		.amdhsa_system_sgpr_workgroup_id_z 1
		.amdhsa_system_sgpr_workgroup_info 0
		.amdhsa_system_vgpr_workitem_id 0
		.amdhsa_next_free_vgpr 17
		.amdhsa_next_free_sgpr 31
		.amdhsa_reserve_vcc 1
		.amdhsa_reserve_flat_scratch 0
		.amdhsa_float_round_mode_32 0
		.amdhsa_float_round_mode_16_64 0
		.amdhsa_float_denorm_mode_32 3
		.amdhsa_float_denorm_mode_16_64 3
		.amdhsa_dx10_clamp 1
		.amdhsa_ieee_mode 1
		.amdhsa_fp16_overflow 0
		.amdhsa_workgroup_processor_mode 1
		.amdhsa_memory_ordered 1
		.amdhsa_forward_progress 1
		.amdhsa_shared_vgpr_count 0
		.amdhsa_exception_fp_ieee_invalid_op 0
		.amdhsa_exception_fp_denorm_src 0
		.amdhsa_exception_fp_ieee_div_zero 0
		.amdhsa_exception_fp_ieee_overflow 0
		.amdhsa_exception_fp_ieee_underflow 0
		.amdhsa_exception_fp_ieee_inexact 0
		.amdhsa_exception_int_div_zero 0
	.end_amdhsa_kernel
	.section	.text._ZL33flash_attn_stream_k_fixup_generalILi128ELi16ELi2EEvPfPK15HIP_vector_typeIfLj2EEiiiiS1_IjLj3EES5_S5_S5_,"axG",@progbits,_ZL33flash_attn_stream_k_fixup_generalILi128ELi16ELi2EEvPfPK15HIP_vector_typeIfLj2EEiiiiS1_IjLj3EES5_S5_S5_,comdat
.Lfunc_end39:
	.size	_ZL33flash_attn_stream_k_fixup_generalILi128ELi16ELi2EEvPfPK15HIP_vector_typeIfLj2EEiiiiS1_IjLj3EES5_S5_S5_, .Lfunc_end39-_ZL33flash_attn_stream_k_fixup_generalILi128ELi16ELi2EEvPfPK15HIP_vector_typeIfLj2EEiiiiS1_IjLj3EES5_S5_S5_
                                        ; -- End function
	.set _ZL33flash_attn_stream_k_fixup_generalILi128ELi16ELi2EEvPfPK15HIP_vector_typeIfLj2EEiiiiS1_IjLj3EES5_S5_S5_.num_vgpr, 17
	.set _ZL33flash_attn_stream_k_fixup_generalILi128ELi16ELi2EEvPfPK15HIP_vector_typeIfLj2EEiiiiS1_IjLj3EES5_S5_S5_.num_agpr, 0
	.set _ZL33flash_attn_stream_k_fixup_generalILi128ELi16ELi2EEvPfPK15HIP_vector_typeIfLj2EEiiiiS1_IjLj3EES5_S5_S5_.numbered_sgpr, 31
	.set _ZL33flash_attn_stream_k_fixup_generalILi128ELi16ELi2EEvPfPK15HIP_vector_typeIfLj2EEiiiiS1_IjLj3EES5_S5_S5_.num_named_barrier, 0
	.set _ZL33flash_attn_stream_k_fixup_generalILi128ELi16ELi2EEvPfPK15HIP_vector_typeIfLj2EEiiiiS1_IjLj3EES5_S5_S5_.private_seg_size, 0
	.set _ZL33flash_attn_stream_k_fixup_generalILi128ELi16ELi2EEvPfPK15HIP_vector_typeIfLj2EEiiiiS1_IjLj3EES5_S5_S5_.uses_vcc, 1
	.set _ZL33flash_attn_stream_k_fixup_generalILi128ELi16ELi2EEvPfPK15HIP_vector_typeIfLj2EEiiiiS1_IjLj3EES5_S5_S5_.uses_flat_scratch, 0
	.set _ZL33flash_attn_stream_k_fixup_generalILi128ELi16ELi2EEvPfPK15HIP_vector_typeIfLj2EEiiiiS1_IjLj3EES5_S5_S5_.has_dyn_sized_stack, 0
	.set _ZL33flash_attn_stream_k_fixup_generalILi128ELi16ELi2EEvPfPK15HIP_vector_typeIfLj2EEiiiiS1_IjLj3EES5_S5_S5_.has_recursion, 0
	.set _ZL33flash_attn_stream_k_fixup_generalILi128ELi16ELi2EEvPfPK15HIP_vector_typeIfLj2EEiiiiS1_IjLj3EES5_S5_S5_.has_indirect_call, 0
	.section	.AMDGPU.csdata,"",@progbits
; Kernel info:
; codeLenInByte = 2944
; TotalNumSgprs: 33
; NumVgprs: 17
; ScratchSize: 0
; MemoryBound: 0
; FloatMode: 240
; IeeeMode: 1
; LDSByteSize: 0 bytes/workgroup (compile time only)
; SGPRBlocks: 0
; VGPRBlocks: 2
; NumSGPRsForWavesPerEU: 33
; NumVGPRsForWavesPerEU: 17
; Occupancy: 16
; WaveLimiterHint : 0
; COMPUTE_PGM_RSRC2:SCRATCH_EN: 0
; COMPUTE_PGM_RSRC2:USER_SGPR: 6
; COMPUTE_PGM_RSRC2:TRAP_HANDLER: 0
; COMPUTE_PGM_RSRC2:TGID_X_EN: 1
; COMPUTE_PGM_RSRC2:TGID_Y_EN: 1
; COMPUTE_PGM_RSRC2:TGID_Z_EN: 1
; COMPUTE_PGM_RSRC2:TIDIG_COMP_CNT: 0
	.section	.text._ZL15flash_attn_tileILi128ELi128ELi8ELi2ELb0EEvPKcS1_S1_S1_S1_PKiPfP15HIP_vector_typeIfLj2EEffffjfiS5_IjLj3EEiiiiiiiiiiiliiliiiiil,"axG",@progbits,_ZL15flash_attn_tileILi128ELi128ELi8ELi2ELb0EEvPKcS1_S1_S1_S1_PKiPfP15HIP_vector_typeIfLj2EEffffjfiS5_IjLj3EEiiiiiiiiiiiliiliiiiil,comdat
	.globl	_ZL15flash_attn_tileILi128ELi128ELi8ELi2ELb0EEvPKcS1_S1_S1_S1_PKiPfP15HIP_vector_typeIfLj2EEffffjfiS5_IjLj3EEiiiiiiiiiiiliiliiiiil ; -- Begin function _ZL15flash_attn_tileILi128ELi128ELi8ELi2ELb0EEvPKcS1_S1_S1_S1_PKiPfP15HIP_vector_typeIfLj2EEffffjfiS5_IjLj3EEiiiiiiiiiiiliiliiiiil
	.p2align	8
	.type	_ZL15flash_attn_tileILi128ELi128ELi8ELi2ELb0EEvPKcS1_S1_S1_S1_PKiPfP15HIP_vector_typeIfLj2EEffffjfiS5_IjLj3EEiiiiiiiiiiiliiliiiiil,@function
_ZL15flash_attn_tileILi128ELi128ELi8ELi2ELb0EEvPKcS1_S1_S1_S1_PKiPfP15HIP_vector_typeIfLj2EEffffjfiS5_IjLj3EEiiiiiiiiiiiliiliiiiil: ; @_ZL15flash_attn_tileILi128ELi128ELi8ELi2ELb0EEvPKcS1_S1_S1_S1_PKiPfP15HIP_vector_typeIfLj2EEffffjfiS5_IjLj3EEiiiiiiiiiiiliiliiiiil
; %bb.0:
	s_clause 0x1
	s_load_dwordx4 s[24:27], s[4:5], 0x5c
	s_load_dwordx2 s[34:35], s[4:5], 0x80
	s_mov_b32 s28, s7
	s_mov_b64 s[36:37], 0
	s_waitcnt lgkmcnt(0)
	s_lshr_b32 s0, s27, 31
	s_add_i32 s0, s27, s0
	s_ashr_i32 s0, s0, 1
	v_cvt_f32_u32_e32 v2, s0
	s_sub_i32 s2, 0, s0
	v_rcp_iflag_f32_e32 v2, v2
	v_mul_f32_e32 v2, 0x4f7ffffe, v2
	v_cvt_u32_f32_e32 v2, v2
	v_readfirstlane_b32 s1, v2
	s_mul_i32 s2, s2, s1
	s_mul_hi_u32 s2, s1, s2
	s_add_i32 s1, s1, s2
	s_mul_hi_u32 s1, s8, s1
	s_mul_i32 s2, s1, s0
	s_add_i32 s3, s1, 1
	s_sub_i32 s2, s8, s2
	s_sub_i32 s7, s2, s0
	s_cmp_ge_u32 s2, s0
	s_cselect_b32 s1, s3, s1
	s_cselect_b32 s2, s7, s2
	s_add_i32 s3, s1, 1
	s_cmp_ge_u32 s2, s0
	s_cselect_b32 s29, s3, s1
	s_abs_i32 s0, s35
	s_lshl_b32 s3, s8, 1
	v_cvt_f32_u32_e32 v2, s0
	s_sub_i32 s2, 0, s0
	s_abs_i32 s8, s27
	s_mul_i32 s7, s29, s27
	v_rcp_iflag_f32_e32 v2, v2
	s_sub_i32 s30, s3, s7
	v_mul_f32_e32 v2, 0x4f7ffffe, v2
	v_cvt_u32_f32_e32 v2, v2
	v_readfirstlane_b32 s1, v2
	s_mul_i32 s2, s2, s1
	s_mul_hi_u32 s2, s1, s2
	s_add_i32 s1, s1, s2
	s_xor_b32 s2, s27, s35
	s_mul_hi_u32 s1, s8, s1
	s_ashr_i32 s2, s2, 31
	s_mul_i32 s3, s1, s0
	s_add_i32 s7, s1, 1
	s_sub_i32 s3, s8, s3
	s_sub_i32 s8, s3, s0
	s_cmp_ge_u32 s3, s0
	s_cselect_b32 s1, s7, s1
	s_cselect_b32 s3, s8, s3
	s_add_i32 s7, s1, 1
	s_cmp_ge_u32 s3, s0
	s_clause 0x1
	s_load_dwordx16 s[8:23], s[4:5], 0x0
	s_load_dwordx2 s[38:39], s[4:5], 0xb8
	s_cselect_b32 s0, s7, s1
	s_xor_b32 s0, s0, s2
	s_sub_i32 s31, s0, s2
	s_abs_i32 s7, s31
	v_cvt_f32_u32_e32 v2, s7
	v_rcp_iflag_f32_e32 v2, v2
	s_waitcnt lgkmcnt(0)
	s_cmp_eq_u64 s[14:15], 0
	v_mul_f32_e32 v2, 0x4f7ffffe, v2
	v_cvt_u32_f32_e32 v2, v2
	v_readfirstlane_b32 s33, v2
	s_cbranch_scc1 .LBB40_2
; %bb.1:
	s_abs_i32 s2, s38
	s_abs_i32 s3, s29
	v_cvt_f32_u32_e32 v2, s2
	s_sub_i32 s1, 0, s2
	v_rcp_iflag_f32_e32 v2, v2
	v_mul_f32_e32 v2, 0x4f7ffffe, v2
	v_cvt_u32_f32_e32 v2, v2
	v_readfirstlane_b32 s0, v2
	s_mul_i32 s1, s1, s0
	s_mul_hi_u32 s1, s0, s1
	s_add_i32 s0, s0, s1
	s_mul_hi_u32 s35, s3, s0
	s_load_dwordx2 s[0:1], s[4:5], 0xc8
	s_mul_i32 s35, s35, s2
	s_sub_i32 s3, s3, s35
	s_ashr_i32 s35, s29, 31
	s_sub_i32 s36, s3, s2
	s_cmp_ge_u32 s3, s2
	s_cselect_b32 s3, s36, s3
	s_sub_i32 s36, s3, s2
	s_cmp_ge_u32 s3, s2
	s_cselect_b32 s2, s36, s3
	s_xor_b32 s2, s2, s35
	s_sub_i32 s2, s2, s35
	s_ashr_i32 s3, s2, 31
	s_waitcnt lgkmcnt(0)
	s_mul_hi_u32 s35, s0, s2
	s_mul_i32 s3, s0, s3
	s_mul_i32 s1, s1, s2
	s_add_i32 s3, s35, s3
	s_mul_i32 s0, s0, s2
	s_add_i32 s3, s3, s1
	s_add_u32 s36, s14, s0
	s_addc_u32 s37, s15, s3
.LBB40_2:
	v_lshl_add_u32 v2, s6, 3, v1
	s_load_dwordx4 s[0:3], s[4:5], 0x70
	v_lshlrev_b32_e32 v55, 3, v0
	v_mul_hi_u32 v3, s24, v2
	v_add_nc_u32_e32 v3, v2, v3
	v_lshrrev_b32_e32 v3, s25, v3
	s_waitcnt lgkmcnt(0)
	s_mul_i32 s3, s29, s2
	s_mul_i32 s14, s30, s1
	v_mul_lo_u32 v3, v3, s26
	s_ashr_i32 s15, s3, 31
	s_add_u32 s3, s8, s3
	s_addc_u32 s8, s9, s15
	s_ashr_i32 s9, s14, 31
	s_add_u32 s14, s3, s14
	s_mov_b32 s2, s0
	s_addc_u32 s15, s8, s9
	v_sub_nc_u32_e32 v3, v2, v3
	s_ashr_i32 s3, s0, 31
	s_lshr_b64 s[8:9], s[2:3], 2
	s_lshr_b32 s0, s3, 2
	v_mad_u64_u32 v[4:5], null, s8, v3, 0
	v_mad_u64_u32 v[5:6], null, s0, v3, v[5:6]
	v_lshlrev_b32_e32 v6, 4, v0
	s_ashr_i32 s0, s1, 31
	s_and_b32 s1, s1, -4
	s_cmp_eq_u64 s[18:19], 0
	v_lshlrev_b64 v[4:5], 2, v[4:5]
	v_add_co_u32 v4, vcc_lo, s14, v4
	v_add_co_ci_u32_e64 v5, null, s15, v5, vcc_lo
	v_add_co_u32 v4, vcc_lo, v4, v6
	v_add_co_ci_u32_e64 v5, null, 0, v5, vcc_lo
	global_load_dwordx4 v[6:9], v[4:5], off
	v_add_co_u32 v4, vcc_lo, v4, s1
	v_add_co_ci_u32_e64 v5, null, s0, v5, vcc_lo
	s_load_dword s0, s[4:5], 0x40
	global_load_dwordx4 v[10:13], v[4:5], off
	v_lshlrev_b32_e32 v5, 9, v1
	v_add_nc_u32_e32 v56, 0x9800, v5
	s_waitcnt vmcnt(1) lgkmcnt(0)
	v_fma_mixlo_f16 v4, s0, v7, 0
	v_fma_mixlo_f16 v6, s0, v6, 0
	;; [unrolled: 1-line block ×4, first 2 shown]
	v_lshlrev_b32_e32 v4, 16, v4
	v_and_b32_e32 v6, 0xffff, v6
	v_and_b32_e32 v7, 0xffff, v7
	s_waitcnt vmcnt(0)
	v_fma_mixlo_f16 v9, s0, v11, 0
	v_fma_mixlo_f16 v10, s0, v10, 0
	;; [unrolled: 1-line block ×4, first 2 shown]
	v_lshlrev_b32_e32 v8, 16, v8
	v_lshlrev_b32_e32 v9, 16, v9
	v_and_b32_e32 v10, 0xffff, v10
	v_or_b32_e32 v4, v4, v6
	v_lshlrev_b32_e32 v12, 16, v12
	v_and_b32_e32 v11, 0xffff, v11
	v_add_nc_u32_e32 v13, v56, v55
	v_or_b32_e32 v10, v9, v10
	v_or3_b32 v7, v8, v7, 0
	v_or3_b32 v6, 0, 0, v4
	;; [unrolled: 1-line block ×4, first 2 shown]
	ds_write2_b64 v13, v[6:7], v[8:9] offset1:32
	s_waitcnt lgkmcnt(0)
	s_barrier
	buffer_gl0_inv
	s_cbranch_scc1 .LBB40_4
; %bb.3:
	s_load_dword s0, s[4:5], 0xd0
	s_mov_b32 s1, 0
	s_waitcnt lgkmcnt(0)
	s_mul_i32 s0, s0, s29
	s_add_i32 s0, s0, s6
	s_lshl_b64 s[0:1], s[0:1], 2
	s_add_u32 s0, s18, s0
	s_addc_u32 s1, s19, s1
	s_load_dword s34, s[0:1], 0x0
.LBB40_4:
	v_mbcnt_lo_u32_b32 v57, -1, 0
	s_lshl_b32 s14, s28, 7
	s_waitcnt lgkmcnt(0)
	s_cmp_lt_i32 s14, s34
	s_cbranch_scc1 .LBB40_7
; %bb.5:
	v_mbcnt_lo_u32_b32 v4, -1, 0
	v_mov_b32_e32 v58, 32
	v_xor_b32_e32 v63, 16, v4
	v_xor_b32_e32 v62, 8, v4
	;; [unrolled: 1-line block ×5, first 2 shown]
	v_lshlrev_b32_e32 v54, 2, v0
	s_cbranch_execz .LBB40_8
; %bb.6:
	v_mov_b32_e32 v102, 0
	v_mov_b32_e32 v38, 0
	;; [unrolled: 1-line block ×8, first 2 shown]
	s_branch .LBB40_11
.LBB40_7:
                                        ; implicit-def: $vgpr4
                                        ; implicit-def: $vgpr58
                                        ; implicit-def: $vgpr63
                                        ; implicit-def: $vgpr62
                                        ; implicit-def: $vgpr61
                                        ; implicit-def: $vgpr60
                                        ; implicit-def: $vgpr59
	v_lshlrev_b32_e32 v54, 2, v0
.LBB40_8:
	s_clause 0x1
	s_load_dwordx4 s[0:3], s[4:5], 0x98
	s_load_dwordx2 s[8:9], s[4:5], 0x8c
	s_sub_i32 s6, 0, s7
	s_ashr_i32 s38, s29, 31
	s_mul_i32 s6, s6, s33
	s_abs_i32 s19, s30
	s_mul_hi_u32 s6, s33, s6
	s_ashr_i32 s35, s30, 31
	s_add_i32 s33, s33, s6
	s_ashr_i32 s31, s31, 31
	s_mul_hi_u32 s33, s19, s33
	s_load_dwordx2 s[24:25], s[4:5], 0xa8
	s_ashr_i32 s6, s39, 1
	s_mul_i32 s39, s33, s7
	v_lshrrev_b32_e32 v4, 4, v0
	v_and_b32_e32 v39, 60, v54
	v_add_nc_u32_e32 v73, 0x8800, v5
	v_mov_b32_e32 v100, 0
	v_mul_u32_u24_e32 v64, 0x110, v0
	v_lshl_add_u32 v4, v1, 1, v4
	s_waitcnt lgkmcnt(0)
	s_ashr_i32 s15, s2, 2
	s_ashr_i32 s18, s8, 2
	s_mul_hi_u32 s2, s0, s29
	s_mul_i32 s8, s0, s38
	s_mul_i32 s1, s1, s29
	s_add_i32 s2, s2, s8
	s_mul_i32 s0, s0, s29
	s_add_i32 s2, s2, s1
	s_add_u32 s0, s10, s0
	s_addc_u32 s1, s11, s2
	s_sub_i32 s8, s19, s39
	s_xor_b32 s2, s35, s31
	s_add_i32 s10, s33, 1
	s_sub_i32 s11, s8, s7
	s_cmp_ge_u32 s8, s7
	v_mul_lo_u32 v6, s18, v4
	s_cselect_b32 s10, s10, s33
	s_cselect_b32 s8, s11, s8
	s_add_i32 s11, s10, 1
	s_cmp_ge_u32 s8, s7
	s_mul_hi_u32 s8, s24, s29
	s_cselect_b32 s7, s11, s10
	s_mul_i32 s10, s24, s38
	s_xor_b32 s7, s7, s2
	v_mul_lo_u32 v20, s15, v4
	s_sub_i32 s2, s7, s2
	s_mul_i32 s7, s25, s29
	s_mul_i32 s9, s2, s9
	;; [unrolled: 1-line block ×3, first 2 shown]
	s_ashr_i32 s19, s9, 31
	s_add_u32 s11, s0, s9
	s_addc_u32 s19, s1, s19
	s_add_i32 s0, s8, s10
	s_mul_i32 s2, s2, s3
	s_add_i32 s0, s0, s7
	s_add_u32 s1, s12, s24
	s_addc_u32 s0, s13, s0
	s_ashr_i32 s3, s2, 31
	s_add_u32 s24, s1, s2
	s_addc_u32 s25, s0, s3
	s_lshl_b32 s0, s18, 4
	s_lshl_b32 s1, s15, 4
	v_add_nc_u32_e32 v8, s0, v6
	v_add_nc_u32_e32 v22, s1, v20
	v_lshlrev_b32_e32 v7, 2, v39
	v_ashrrev_i32_e32 v21, 31, v20
	v_mov_b32_e32 v36, 0xfeffffff
	v_add_nc_u32_e32 v10, s0, v8
	v_add_nc_u32_e32 v24, s1, v22
	v_mad_u32_u24 v1, 0x110, v4, v7
	v_lshl_or_b32 v65, v4, 8, v7
	v_ashrrev_i32_e32 v7, 31, v6
	v_add_nc_u32_e32 v12, s0, v10
	v_add_nc_u32_e32 v26, s1, v24
	v_ashrrev_i32_e32 v9, 31, v8
	v_ashrrev_i32_e32 v11, 31, v10
	v_ashrrev_i32_e32 v23, 31, v22
	v_add_nc_u32_e32 v14, s0, v12
	v_add_nc_u32_e32 v30, s1, v26
	v_ashrrev_i32_e32 v13, 31, v12
	v_ashrrev_i32_e32 v25, 31, v24
	;; [unrolled: 5-line block ×3, first 2 shown]
	v_mad_u64_u32 v[3:4], null, v3, s6, v[0:1]
	v_add_nc_u32_e32 v18, s0, v16
	v_add_nc_u32_e32 v34, s1, v32
	v_ashrrev_i32_e32 v17, 31, v16
	v_ashrrev_i32_e32 v33, 31, v32
	v_lshlrev_b64 v[4:5], 2, v[6:7]
	v_add_nc_u32_e32 v28, s0, v18
	v_add_nc_u32_e32 v37, s1, v34
	v_ashrrev_i32_e32 v19, 31, v18
	v_ashrrev_i32_e32 v35, 31, v34
	v_lshlrev_b64 v[6:7], 2, v[8:9]
	v_ashrrev_i32_e32 v29, 31, v28
	v_ashrrev_i32_e32 v38, 31, v37
	v_lshlrev_b64 v[8:9], 2, v[10:11]
	v_lshlrev_b64 v[10:11], 2, v[12:13]
	;; [unrolled: 1-line block ×14, first 2 shown]
	v_add_nc_u32_e32 v66, 0x1100, v1
	v_add_nc_u32_e32 v67, 0x2200, v1
	;; [unrolled: 1-line block ×14, first 2 shown]
	v_lshlrev_b32_e32 v81, 2, v39
	v_mov_b32_e32 v58, 32
	v_xor_b32_e32 v63, 16, v57
	v_xor_b32_e32 v62, 8, v57
	v_xor_b32_e32 v61, 4, v57
	v_xor_b32_e32 v60, 2, v57
	v_xor_b32_e32 v59, 1, v57
	v_add_nc_u32_e32 v82, v73, v54
	v_mov_b32_e32 v83, 0x10001
	v_add_nc_u32_e32 v84, 0x800, v55
	v_add_nc_u32_e32 v85, 0x1000, v55
	;; [unrolled: 1-line block ×15, first 2 shown]
	v_mov_b32_e32 v101, 0
	v_mov_b32_e32 v103, 0
	;; [unrolled: 1-line block ×6, first 2 shown]
	s_add_u32 s12, s4, 0xd0
	s_addc_u32 s13, s5, 0
.LBB40_9:                               ; =>This Inner Loop Header: Depth=1
	v_cmp_gt_i32_e32 vcc_lo, 32, v63
	v_mov_b32_e32 v104, v37
	v_mov_b32_e32 v99, v40
	s_mul_hi_i32 s1, s14, s18
	s_mul_i32 s0, s14, s18
	v_cndmask_b32_e32 v37, v57, v63, vcc_lo
	v_cmp_gt_i32_e32 vcc_lo, 32, v62
	s_lshl_b64 s[0:1], s[0:1], 2
	v_mov_b32_e32 v105, v36
	v_add_nc_u32_e32 v36, s14, v3
	s_mul_hi_i32 s3, s14, s15
	v_cndmask_b32_e32 v39, v57, v62, vcc_lo
	v_cmp_gt_i32_e32 vcc_lo, 32, v61
	s_mul_i32 s2, s14, s15
	s_add_u32 s8, s11, s0
	v_mov_b32_e32 v114, v38
	s_addc_u32 s9, s19, s1
	v_cndmask_b32_e32 v40, v57, v61, vcc_lo
	v_cmp_gt_i32_e32 vcc_lo, 32, v60
	v_lshlrev_b32_e32 v118, 2, v39
	s_lshl_b64 s[38:39], s[2:3], 2
	v_add_co_u32 v39, s0, s8, v8
	v_cndmask_b32_e32 v41, v57, v60, vcc_lo
	v_cmp_gt_i32_e32 vcc_lo, 32, v59
	v_lshlrev_b32_e32 v117, 2, v40
	v_add_co_u32 v40, s1, s8, v10
	v_lshlrev_b32_e32 v116, 2, v41
	v_cndmask_b32_e32 v42, v57, v59, vcc_lo
	v_add_co_u32 v38, vcc_lo, s8, v6
	v_add_co_u32 v41, s2, s8, v12
	v_lshlrev_b32_e32 v115, 2, v42
	v_add_co_u32 v42, s3, s8, v14
	v_add_co_u32 v43, s6, s8, v16
	;; [unrolled: 1-line block ×4, first 2 shown]
	v_lshlrev_b32_e32 v119, 2, v37
	v_ashrrev_i32_e32 v37, 31, v36
	v_add_co_ci_u32_e64 v46, null, s9, v5, s8
	s_add_u32 s8, s24, s38
	v_add_co_ci_u32_e64 v47, null, s9, v7, vcc_lo
	v_add_co_ci_u32_e64 v48, null, s9, v9, s0
	v_add_co_ci_u32_e64 v49, null, s9, v11, s1
	;; [unrolled: 1-line block ×6, first 2 shown]
	s_addc_u32 s9, s25, s39
	v_add_co_u32 v126, vcc_lo, s8, v20
	v_add_co_u32 v127, s0, s8, v22
	v_add_co_u32 v130, s1, s8, v24
	;; [unrolled: 1-line block ×7, first 2 shown]
	v_add_co_ci_u32_e64 v152, null, s9, v35, s8
	v_add_co_u32 v120, s8, v45, v81
	v_lshlrev_b64 v[52:53], 1, v[36:37]
	v_add_co_ci_u32_e64 v37, null, s9, v21, vcc_lo
	v_add_co_u32 v124, vcc_lo, v38, v81
	v_add_co_ci_u32_e64 v142, null, s9, v23, s0
	v_add_co_ci_u32_e64 v143, null, s9, v25, s1
	;; [unrolled: 1-line block ×6, first 2 shown]
	v_add_co_u32 v128, s0, v39, v81
	v_add_co_ci_u32_e64 v121, null, 0, v46, s8
	v_add_co_u32 v132, s1, v40, v81
	v_add_co_u32 v136, s2, v41, v81
	;; [unrolled: 1-line block ×4, first 2 shown]
	v_add_co_ci_u32_e64 v125, null, 0, v47, vcc_lo
	v_add_co_u32 v148, s7, v44, v81
	v_add_co_ci_u32_e64 v129, null, 0, v48, s0
	v_add_co_ci_u32_e64 v133, null, 0, v49, s1
	;; [unrolled: 1-line block ×5, first 2 shown]
	v_add_co_u32 v48, vcc_lo, v127, v81
	v_add_co_u32 v46, s0, v130, v81
	v_add_co_u32 v44, s1, v131, v81
	;; [unrolled: 1-line block ×5, first 2 shown]
	v_add_co_ci_u32_e64 v149, null, 0, v123, s7
	v_add_co_u32 v36, s7, v139, v81
	v_add_co_u32 v50, s8, v126, v81
	v_add_co_ci_u32_e64 v49, null, 0, v142, vcc_lo
	v_add_co_ci_u32_e64 v47, null, 0, v143, s0
	v_add_co_ci_u32_e64 v45, null, 0, v146, s1
	;; [unrolled: 1-line block ×5, first 2 shown]
	s_clause 0x7
	global_load_dwordx4 v[120:123], v[120:121], off
	global_load_dwordx4 v[124:127], v[124:125], off
	;; [unrolled: 1-line block ×8, first 2 shown]
	v_mov_b32_e32 v106, 0
	v_mov_b32_e32 v107, 0
	;; [unrolled: 1-line block ×8, first 2 shown]
	v_add_co_u32 v52, vcc_lo, s36, v52
	v_add_co_ci_u32_e64 v53, null, s37, v53, vcc_lo
	v_add_co_ci_u32_e64 v51, null, 0, v37, s8
	v_add_co_ci_u32_e64 v37, null, 0, v152, s7
	s_waitcnt vmcnt(7)
	ds_write_b128 v1, v[120:123]
	s_waitcnt vmcnt(6)
	ds_write_b128 v66, v[124:127]
	s_waitcnt vmcnt(5)
	ds_write_b128 v67, v[128:131]
	s_waitcnt vmcnt(4)
	ds_write_b128 v68, v[132:135]
	s_waitcnt vmcnt(3)
	ds_write_b128 v69, v[136:139]
	s_waitcnt vmcnt(2)
	ds_write_b128 v70, v[140:143]
	s_waitcnt vmcnt(1)
	ds_write_b128 v71, v[144:147]
	s_waitcnt vmcnt(0)
	ds_write_b128 v72, v[148:151]
	s_waitcnt lgkmcnt(0)
	s_barrier
	buffer_gl0_inv
	ds_read_b128 v[120:123], v64
	ds_read_b128 v[124:127], v56
	ds_read_b128 v[128:131], v56 offset:256
	ds_read_b128 v[132:135], v64 offset:8704
	;; [unrolled: 1-line block ×4, first 2 shown]
	s_waitcnt lgkmcnt(4)
	;;#ASMSTART
	v_dot2_f32_f16 v106, v120, v124, v106
	;;#ASMEND
	;;#ASMSTART
	v_dot2_f32_f16 v106, v121, v125, v106
	;;#ASMEND
	;;#ASMSTART
	v_dot2_f32_f16 v106, v122, v126, v106
	;;#ASMEND
	;;#ASMSTART
	v_dot2_f32_f16 v106, v123, v127, v106
	;;#ASMEND
	s_waitcnt lgkmcnt(3)
	;;#ASMSTART
	v_dot2_f32_f16 v107, v120, v128, v107
	;;#ASMEND
	;;#ASMSTART
	v_dot2_f32_f16 v107, v121, v129, v107
	;;#ASMEND
	;;#ASMSTART
	v_dot2_f32_f16 v107, v122, v130, v107
	;;#ASMEND
	;;#ASMSTART
	v_dot2_f32_f16 v107, v123, v131, v107
	;;#ASMEND
	;; [unrolled: 13-line block ×3, first 2 shown]
	;;#ASMSTART
	v_dot2_f32_f16 v109, v132, v128, v109
	;;#ASMEND
	;;#ASMSTART
	v_dot2_f32_f16 v109, v133, v129, v109
	;;#ASMEND
	;; [unrolled: 3-line block ×4, first 2 shown]
	s_waitcnt lgkmcnt(1)
	;;#ASMSTART
	v_dot2_f32_f16 v110, v136, v124, v110
	;;#ASMEND
	;;#ASMSTART
	v_dot2_f32_f16 v110, v137, v125, v110
	;;#ASMEND
	;; [unrolled: 3-line block ×8, first 2 shown]
	s_waitcnt lgkmcnt(0)
	;;#ASMSTART
	v_dot2_f32_f16 v112, v140, v124, v112
	;;#ASMEND
	;;#ASMSTART
	v_dot2_f32_f16 v112, v141, v125, v112
	;;#ASMEND
	;; [unrolled: 3-line block ×8, first 2 shown]
	ds_read_b128 v[120:123], v64 offset:16
	ds_read_b128 v[124:127], v56 offset:16
	;; [unrolled: 1-line block ×6, first 2 shown]
	s_waitcnt lgkmcnt(4)
	;;#ASMSTART
	v_dot2_f32_f16 v106, v120, v124, v106
	;;#ASMEND
	;;#ASMSTART
	v_dot2_f32_f16 v106, v121, v125, v106
	;;#ASMEND
	;;#ASMSTART
	v_dot2_f32_f16 v106, v122, v126, v106
	;;#ASMEND
	;;#ASMSTART
	v_dot2_f32_f16 v106, v123, v127, v106
	;;#ASMEND
	s_waitcnt lgkmcnt(3)
	;;#ASMSTART
	v_dot2_f32_f16 v107, v120, v128, v107
	;;#ASMEND
	;;#ASMSTART
	v_dot2_f32_f16 v107, v121, v129, v107
	;;#ASMEND
	;;#ASMSTART
	v_dot2_f32_f16 v107, v122, v130, v107
	;;#ASMEND
	;;#ASMSTART
	v_dot2_f32_f16 v107, v123, v131, v107
	;;#ASMEND
	;; [unrolled: 13-line block ×3, first 2 shown]
	;;#ASMSTART
	v_dot2_f32_f16 v109, v132, v128, v109
	;;#ASMEND
	;;#ASMSTART
	v_dot2_f32_f16 v109, v133, v129, v109
	;;#ASMEND
	;; [unrolled: 3-line block ×4, first 2 shown]
	s_waitcnt lgkmcnt(1)
	;;#ASMSTART
	v_dot2_f32_f16 v110, v136, v124, v110
	;;#ASMEND
	;;#ASMSTART
	v_dot2_f32_f16 v110, v137, v125, v110
	;;#ASMEND
	;; [unrolled: 3-line block ×8, first 2 shown]
	s_waitcnt lgkmcnt(0)
	;;#ASMSTART
	v_dot2_f32_f16 v112, v140, v124, v112
	;;#ASMEND
	;;#ASMSTART
	v_dot2_f32_f16 v112, v141, v125, v112
	;;#ASMEND
	;; [unrolled: 3-line block ×8, first 2 shown]
	ds_read_b128 v[120:123], v64 offset:32
	ds_read_b128 v[124:127], v56 offset:32
	;; [unrolled: 1-line block ×6, first 2 shown]
	s_waitcnt lgkmcnt(4)
	;;#ASMSTART
	v_dot2_f32_f16 v106, v120, v124, v106
	;;#ASMEND
	;;#ASMSTART
	v_dot2_f32_f16 v106, v121, v125, v106
	;;#ASMEND
	;;#ASMSTART
	v_dot2_f32_f16 v106, v122, v126, v106
	;;#ASMEND
	;;#ASMSTART
	v_dot2_f32_f16 v106, v123, v127, v106
	;;#ASMEND
	s_waitcnt lgkmcnt(3)
	;;#ASMSTART
	v_dot2_f32_f16 v107, v120, v128, v107
	;;#ASMEND
	;;#ASMSTART
	v_dot2_f32_f16 v107, v121, v129, v107
	;;#ASMEND
	;;#ASMSTART
	v_dot2_f32_f16 v107, v122, v130, v107
	;;#ASMEND
	;;#ASMSTART
	v_dot2_f32_f16 v107, v123, v131, v107
	;;#ASMEND
	;; [unrolled: 13-line block ×3, first 2 shown]
	;;#ASMSTART
	v_dot2_f32_f16 v109, v132, v128, v109
	;;#ASMEND
	;;#ASMSTART
	v_dot2_f32_f16 v109, v133, v129, v109
	;;#ASMEND
	;; [unrolled: 3-line block ×4, first 2 shown]
	s_waitcnt lgkmcnt(1)
	;;#ASMSTART
	v_dot2_f32_f16 v110, v136, v124, v110
	;;#ASMEND
	;;#ASMSTART
	v_dot2_f32_f16 v110, v137, v125, v110
	;;#ASMEND
	;; [unrolled: 3-line block ×8, first 2 shown]
	s_waitcnt lgkmcnt(0)
	;;#ASMSTART
	v_dot2_f32_f16 v112, v140, v124, v112
	;;#ASMEND
	;;#ASMSTART
	v_dot2_f32_f16 v112, v141, v125, v112
	;;#ASMEND
	;; [unrolled: 3-line block ×8, first 2 shown]
	ds_read_b128 v[120:123], v64 offset:48
	ds_read_b128 v[124:127], v56 offset:48
	;; [unrolled: 1-line block ×6, first 2 shown]
	s_waitcnt lgkmcnt(4)
	;;#ASMSTART
	v_dot2_f32_f16 v106, v120, v124, v106
	;;#ASMEND
	;;#ASMSTART
	v_dot2_f32_f16 v106, v121, v125, v106
	;;#ASMEND
	;;#ASMSTART
	v_dot2_f32_f16 v106, v122, v126, v106
	;;#ASMEND
	;;#ASMSTART
	v_dot2_f32_f16 v106, v123, v127, v106
	;;#ASMEND
	s_waitcnt lgkmcnt(3)
	;;#ASMSTART
	v_dot2_f32_f16 v107, v120, v128, v107
	;;#ASMEND
	;;#ASMSTART
	v_dot2_f32_f16 v107, v121, v129, v107
	;;#ASMEND
	;;#ASMSTART
	v_dot2_f32_f16 v107, v122, v130, v107
	;;#ASMEND
	;;#ASMSTART
	v_dot2_f32_f16 v107, v123, v131, v107
	;;#ASMEND
	;; [unrolled: 13-line block ×3, first 2 shown]
	;;#ASMSTART
	v_dot2_f32_f16 v109, v132, v128, v109
	;;#ASMEND
	;;#ASMSTART
	v_dot2_f32_f16 v109, v133, v129, v109
	;;#ASMEND
	;; [unrolled: 3-line block ×4, first 2 shown]
	s_waitcnt lgkmcnt(1)
	;;#ASMSTART
	v_dot2_f32_f16 v110, v136, v124, v110
	;;#ASMEND
	;;#ASMSTART
	v_dot2_f32_f16 v110, v137, v125, v110
	;;#ASMEND
	;; [unrolled: 3-line block ×8, first 2 shown]
	s_waitcnt lgkmcnt(0)
	;;#ASMSTART
	v_dot2_f32_f16 v112, v140, v124, v112
	;;#ASMEND
	;;#ASMSTART
	v_dot2_f32_f16 v112, v141, v125, v112
	;;#ASMEND
	;; [unrolled: 3-line block ×8, first 2 shown]
	ds_read_b128 v[120:123], v64 offset:64
	ds_read_b128 v[124:127], v56 offset:64
	;; [unrolled: 1-line block ×6, first 2 shown]
	s_waitcnt lgkmcnt(4)
	;;#ASMSTART
	v_dot2_f32_f16 v106, v120, v124, v106
	;;#ASMEND
	;;#ASMSTART
	v_dot2_f32_f16 v106, v121, v125, v106
	;;#ASMEND
	;;#ASMSTART
	v_dot2_f32_f16 v106, v122, v126, v106
	;;#ASMEND
	;;#ASMSTART
	v_dot2_f32_f16 v106, v123, v127, v106
	;;#ASMEND
	s_waitcnt lgkmcnt(3)
	;;#ASMSTART
	v_dot2_f32_f16 v107, v120, v128, v107
	;;#ASMEND
	;;#ASMSTART
	v_dot2_f32_f16 v107, v121, v129, v107
	;;#ASMEND
	;;#ASMSTART
	v_dot2_f32_f16 v107, v122, v130, v107
	;;#ASMEND
	;;#ASMSTART
	v_dot2_f32_f16 v107, v123, v131, v107
	;;#ASMEND
	;; [unrolled: 13-line block ×3, first 2 shown]
	;;#ASMSTART
	v_dot2_f32_f16 v109, v132, v128, v109
	;;#ASMEND
	;;#ASMSTART
	v_dot2_f32_f16 v109, v133, v129, v109
	;;#ASMEND
	;; [unrolled: 3-line block ×4, first 2 shown]
	s_waitcnt lgkmcnt(1)
	;;#ASMSTART
	v_dot2_f32_f16 v110, v136, v124, v110
	;;#ASMEND
	;;#ASMSTART
	v_dot2_f32_f16 v110, v137, v125, v110
	;;#ASMEND
	;; [unrolled: 3-line block ×8, first 2 shown]
	s_waitcnt lgkmcnt(0)
	;;#ASMSTART
	v_dot2_f32_f16 v112, v140, v124, v112
	;;#ASMEND
	;;#ASMSTART
	v_dot2_f32_f16 v112, v141, v125, v112
	;;#ASMEND
	;; [unrolled: 3-line block ×8, first 2 shown]
	ds_read_b128 v[120:123], v64 offset:80
	ds_read_b128 v[124:127], v56 offset:80
	;; [unrolled: 1-line block ×6, first 2 shown]
	s_waitcnt lgkmcnt(4)
	;;#ASMSTART
	v_dot2_f32_f16 v106, v120, v124, v106
	;;#ASMEND
	;;#ASMSTART
	v_dot2_f32_f16 v106, v121, v125, v106
	;;#ASMEND
	;;#ASMSTART
	v_dot2_f32_f16 v106, v122, v126, v106
	;;#ASMEND
	;;#ASMSTART
	v_dot2_f32_f16 v106, v123, v127, v106
	;;#ASMEND
	s_waitcnt lgkmcnt(3)
	;;#ASMSTART
	v_dot2_f32_f16 v107, v120, v128, v107
	;;#ASMEND
	;;#ASMSTART
	v_dot2_f32_f16 v107, v121, v129, v107
	;;#ASMEND
	;;#ASMSTART
	v_dot2_f32_f16 v107, v122, v130, v107
	;;#ASMEND
	;;#ASMSTART
	v_dot2_f32_f16 v107, v123, v131, v107
	;;#ASMEND
	;; [unrolled: 13-line block ×3, first 2 shown]
	;;#ASMSTART
	v_dot2_f32_f16 v109, v132, v128, v109
	;;#ASMEND
	;;#ASMSTART
	v_dot2_f32_f16 v109, v133, v129, v109
	;;#ASMEND
	;; [unrolled: 3-line block ×4, first 2 shown]
	s_waitcnt lgkmcnt(1)
	;;#ASMSTART
	v_dot2_f32_f16 v110, v136, v124, v110
	;;#ASMEND
	;;#ASMSTART
	v_dot2_f32_f16 v110, v137, v125, v110
	;;#ASMEND
	;; [unrolled: 3-line block ×8, first 2 shown]
	s_waitcnt lgkmcnt(0)
	;;#ASMSTART
	v_dot2_f32_f16 v112, v140, v124, v112
	;;#ASMEND
	;;#ASMSTART
	v_dot2_f32_f16 v112, v141, v125, v112
	;;#ASMEND
	;; [unrolled: 3-line block ×8, first 2 shown]
	ds_read_b128 v[120:123], v64 offset:96
	ds_read_b128 v[124:127], v56 offset:96
	ds_read_b128 v[128:131], v56 offset:352
	ds_read_b128 v[132:135], v64 offset:8800
	ds_read_b128 v[136:139], v64 offset:17504
	ds_read_b128 v[140:143], v64 offset:26208
	s_waitcnt lgkmcnt(4)
	;;#ASMSTART
	v_dot2_f32_f16 v106, v120, v124, v106
	;;#ASMEND
	;;#ASMSTART
	v_dot2_f32_f16 v106, v121, v125, v106
	;;#ASMEND
	;;#ASMSTART
	v_dot2_f32_f16 v106, v122, v126, v106
	;;#ASMEND
	;;#ASMSTART
	v_dot2_f32_f16 v106, v123, v127, v106
	;;#ASMEND
	s_waitcnt lgkmcnt(3)
	;;#ASMSTART
	v_dot2_f32_f16 v107, v120, v128, v107
	;;#ASMEND
	;;#ASMSTART
	v_dot2_f32_f16 v107, v121, v129, v107
	;;#ASMEND
	;;#ASMSTART
	v_dot2_f32_f16 v107, v122, v130, v107
	;;#ASMEND
	;;#ASMSTART
	v_dot2_f32_f16 v107, v123, v131, v107
	;;#ASMEND
	;; [unrolled: 13-line block ×3, first 2 shown]
	;;#ASMSTART
	v_dot2_f32_f16 v109, v132, v128, v109
	;;#ASMEND
	;;#ASMSTART
	v_dot2_f32_f16 v109, v133, v129, v109
	;;#ASMEND
	;; [unrolled: 3-line block ×4, first 2 shown]
	s_waitcnt lgkmcnt(1)
	;;#ASMSTART
	v_dot2_f32_f16 v110, v136, v124, v110
	;;#ASMEND
	;;#ASMSTART
	v_dot2_f32_f16 v110, v137, v125, v110
	;;#ASMEND
	;; [unrolled: 3-line block ×8, first 2 shown]
	s_waitcnt lgkmcnt(0)
	;;#ASMSTART
	v_dot2_f32_f16 v112, v140, v124, v112
	;;#ASMEND
	;;#ASMSTART
	v_dot2_f32_f16 v112, v141, v125, v112
	;;#ASMEND
	;; [unrolled: 3-line block ×8, first 2 shown]
	ds_read_b128 v[120:123], v64 offset:112
	ds_read_b128 v[124:127], v56 offset:112
	;; [unrolled: 1-line block ×6, first 2 shown]
	s_waitcnt lgkmcnt(4)
	;;#ASMSTART
	v_dot2_f32_f16 v106, v120, v124, v106
	;;#ASMEND
	;;#ASMSTART
	v_dot2_f32_f16 v106, v121, v125, v106
	;;#ASMEND
	;;#ASMSTART
	v_dot2_f32_f16 v106, v122, v126, v106
	;;#ASMEND
	;;#ASMSTART
	v_dot2_f32_f16 v106, v123, v127, v106
	;;#ASMEND
	s_waitcnt lgkmcnt(3)
	;;#ASMSTART
	v_dot2_f32_f16 v107, v120, v128, v107
	;;#ASMEND
	;;#ASMSTART
	v_dot2_f32_f16 v107, v121, v129, v107
	;;#ASMEND
	;;#ASMSTART
	v_dot2_f32_f16 v107, v122, v130, v107
	;;#ASMEND
	;;#ASMSTART
	v_dot2_f32_f16 v107, v123, v131, v107
	;;#ASMEND
	;; [unrolled: 13-line block ×3, first 2 shown]
	;;#ASMSTART
	v_dot2_f32_f16 v109, v132, v128, v109
	;;#ASMEND
	;;#ASMSTART
	v_dot2_f32_f16 v109, v133, v129, v109
	;;#ASMEND
	;; [unrolled: 3-line block ×4, first 2 shown]
	s_waitcnt lgkmcnt(1)
	;;#ASMSTART
	v_dot2_f32_f16 v110, v136, v124, v110
	;;#ASMEND
	;;#ASMSTART
	v_dot2_f32_f16 v110, v137, v125, v110
	;;#ASMEND
	;;#ASMSTART
	v_dot2_f32_f16 v110, v138, v126, v110
	;;#ASMEND
	;;#ASMSTART
	v_dot2_f32_f16 v110, v139, v127, v110
	;;#ASMEND
	;;#ASMSTART
	v_dot2_f32_f16 v111, v136, v128, v111
	;;#ASMEND
	;;#ASMSTART
	v_dot2_f32_f16 v111, v137, v129, v111
	;;#ASMEND
	;;#ASMSTART
	v_dot2_f32_f16 v111, v138, v130, v111
	;;#ASMEND
	;;#ASMSTART
	v_dot2_f32_f16 v111, v139, v131, v111
	;;#ASMEND
	s_waitcnt lgkmcnt(0)
	;;#ASMSTART
	v_dot2_f32_f16 v112, v140, v124, v112
	;;#ASMEND
	;;#ASMSTART
	v_dot2_f32_f16 v112, v141, v125, v112
	;;#ASMEND
	;; [unrolled: 3-line block ×8, first 2 shown]
	ds_read_b128 v[120:123], v64 offset:128
	ds_read_b128 v[124:127], v56 offset:128
	;; [unrolled: 1-line block ×6, first 2 shown]
	s_waitcnt lgkmcnt(4)
	;;#ASMSTART
	v_dot2_f32_f16 v106, v120, v124, v106
	;;#ASMEND
	;;#ASMSTART
	v_dot2_f32_f16 v106, v121, v125, v106
	;;#ASMEND
	;;#ASMSTART
	v_dot2_f32_f16 v106, v122, v126, v106
	;;#ASMEND
	;;#ASMSTART
	v_dot2_f32_f16 v106, v123, v127, v106
	;;#ASMEND
	s_waitcnt lgkmcnt(3)
	;;#ASMSTART
	v_dot2_f32_f16 v107, v120, v128, v107
	;;#ASMEND
	;;#ASMSTART
	v_dot2_f32_f16 v107, v121, v129, v107
	;;#ASMEND
	;;#ASMSTART
	v_dot2_f32_f16 v107, v122, v130, v107
	;;#ASMEND
	;;#ASMSTART
	v_dot2_f32_f16 v107, v123, v131, v107
	;;#ASMEND
	;; [unrolled: 13-line block ×3, first 2 shown]
	;;#ASMSTART
	v_dot2_f32_f16 v109, v132, v128, v109
	;;#ASMEND
	;;#ASMSTART
	v_dot2_f32_f16 v109, v133, v129, v109
	;;#ASMEND
	;; [unrolled: 3-line block ×4, first 2 shown]
	s_waitcnt lgkmcnt(1)
	;;#ASMSTART
	v_dot2_f32_f16 v110, v136, v124, v110
	;;#ASMEND
	;;#ASMSTART
	v_dot2_f32_f16 v110, v137, v125, v110
	;;#ASMEND
	;; [unrolled: 3-line block ×8, first 2 shown]
	s_waitcnt lgkmcnt(0)
	;;#ASMSTART
	v_dot2_f32_f16 v112, v140, v124, v112
	;;#ASMEND
	;;#ASMSTART
	v_dot2_f32_f16 v112, v141, v125, v112
	;;#ASMEND
	;; [unrolled: 3-line block ×8, first 2 shown]
	ds_read_b128 v[120:123], v64 offset:144
	ds_read_b128 v[124:127], v56 offset:144
	;; [unrolled: 1-line block ×6, first 2 shown]
	s_waitcnt lgkmcnt(4)
	;;#ASMSTART
	v_dot2_f32_f16 v106, v120, v124, v106
	;;#ASMEND
	;;#ASMSTART
	v_dot2_f32_f16 v106, v121, v125, v106
	;;#ASMEND
	;;#ASMSTART
	v_dot2_f32_f16 v106, v122, v126, v106
	;;#ASMEND
	;;#ASMSTART
	v_dot2_f32_f16 v106, v123, v127, v106
	;;#ASMEND
	s_waitcnt lgkmcnt(3)
	;;#ASMSTART
	v_dot2_f32_f16 v107, v120, v128, v107
	;;#ASMEND
	;;#ASMSTART
	v_dot2_f32_f16 v107, v121, v129, v107
	;;#ASMEND
	;;#ASMSTART
	v_dot2_f32_f16 v107, v122, v130, v107
	;;#ASMEND
	;;#ASMSTART
	v_dot2_f32_f16 v107, v123, v131, v107
	;;#ASMEND
	;; [unrolled: 13-line block ×3, first 2 shown]
	;;#ASMSTART
	v_dot2_f32_f16 v109, v132, v128, v109
	;;#ASMEND
	;;#ASMSTART
	v_dot2_f32_f16 v109, v133, v129, v109
	;;#ASMEND
	;; [unrolled: 3-line block ×4, first 2 shown]
	s_waitcnt lgkmcnt(1)
	;;#ASMSTART
	v_dot2_f32_f16 v110, v136, v124, v110
	;;#ASMEND
	;;#ASMSTART
	v_dot2_f32_f16 v110, v137, v125, v110
	;;#ASMEND
	;; [unrolled: 3-line block ×8, first 2 shown]
	s_waitcnt lgkmcnt(0)
	;;#ASMSTART
	v_dot2_f32_f16 v112, v140, v124, v112
	;;#ASMEND
	;;#ASMSTART
	v_dot2_f32_f16 v112, v141, v125, v112
	;;#ASMEND
	;; [unrolled: 3-line block ×8, first 2 shown]
	ds_read_b128 v[120:123], v64 offset:160
	ds_read_b128 v[124:127], v56 offset:160
	;; [unrolled: 1-line block ×6, first 2 shown]
	s_waitcnt lgkmcnt(4)
	;;#ASMSTART
	v_dot2_f32_f16 v106, v120, v124, v106
	;;#ASMEND
	;;#ASMSTART
	v_dot2_f32_f16 v106, v121, v125, v106
	;;#ASMEND
	;;#ASMSTART
	v_dot2_f32_f16 v106, v122, v126, v106
	;;#ASMEND
	;;#ASMSTART
	v_dot2_f32_f16 v106, v123, v127, v106
	;;#ASMEND
	s_waitcnt lgkmcnt(3)
	;;#ASMSTART
	v_dot2_f32_f16 v107, v120, v128, v107
	;;#ASMEND
	;;#ASMSTART
	v_dot2_f32_f16 v107, v121, v129, v107
	;;#ASMEND
	;;#ASMSTART
	v_dot2_f32_f16 v107, v122, v130, v107
	;;#ASMEND
	;;#ASMSTART
	v_dot2_f32_f16 v107, v123, v131, v107
	;;#ASMEND
	;; [unrolled: 13-line block ×3, first 2 shown]
	;;#ASMSTART
	v_dot2_f32_f16 v109, v132, v128, v109
	;;#ASMEND
	;;#ASMSTART
	v_dot2_f32_f16 v109, v133, v129, v109
	;;#ASMEND
	;; [unrolled: 3-line block ×4, first 2 shown]
	s_waitcnt lgkmcnt(1)
	;;#ASMSTART
	v_dot2_f32_f16 v110, v136, v124, v110
	;;#ASMEND
	;;#ASMSTART
	v_dot2_f32_f16 v110, v137, v125, v110
	;;#ASMEND
	;;#ASMSTART
	v_dot2_f32_f16 v110, v138, v126, v110
	;;#ASMEND
	;;#ASMSTART
	v_dot2_f32_f16 v110, v139, v127, v110
	;;#ASMEND
	;;#ASMSTART
	v_dot2_f32_f16 v111, v136, v128, v111
	;;#ASMEND
	;;#ASMSTART
	v_dot2_f32_f16 v111, v137, v129, v111
	;;#ASMEND
	;;#ASMSTART
	v_dot2_f32_f16 v111, v138, v130, v111
	;;#ASMEND
	;;#ASMSTART
	v_dot2_f32_f16 v111, v139, v131, v111
	;;#ASMEND
	s_waitcnt lgkmcnt(0)
	;;#ASMSTART
	v_dot2_f32_f16 v112, v140, v124, v112
	;;#ASMEND
	;;#ASMSTART
	v_dot2_f32_f16 v112, v141, v125, v112
	;;#ASMEND
	;; [unrolled: 3-line block ×8, first 2 shown]
	ds_read_b128 v[120:123], v64 offset:176
	ds_read_b128 v[124:127], v56 offset:176
	;; [unrolled: 1-line block ×6, first 2 shown]
	s_waitcnt lgkmcnt(4)
	;;#ASMSTART
	v_dot2_f32_f16 v106, v120, v124, v106
	;;#ASMEND
	;;#ASMSTART
	v_dot2_f32_f16 v106, v121, v125, v106
	;;#ASMEND
	;;#ASMSTART
	v_dot2_f32_f16 v106, v122, v126, v106
	;;#ASMEND
	;;#ASMSTART
	v_dot2_f32_f16 v106, v123, v127, v106
	;;#ASMEND
	s_waitcnt lgkmcnt(3)
	;;#ASMSTART
	v_dot2_f32_f16 v107, v120, v128, v107
	;;#ASMEND
	;;#ASMSTART
	v_dot2_f32_f16 v107, v121, v129, v107
	;;#ASMEND
	;;#ASMSTART
	v_dot2_f32_f16 v107, v122, v130, v107
	;;#ASMEND
	;;#ASMSTART
	v_dot2_f32_f16 v107, v123, v131, v107
	;;#ASMEND
	;; [unrolled: 13-line block ×3, first 2 shown]
	;;#ASMSTART
	v_dot2_f32_f16 v109, v132, v128, v109
	;;#ASMEND
	;;#ASMSTART
	v_dot2_f32_f16 v109, v133, v129, v109
	;;#ASMEND
	;;#ASMSTART
	v_dot2_f32_f16 v109, v134, v130, v109
	;;#ASMEND
	;;#ASMSTART
	v_dot2_f32_f16 v109, v135, v131, v109
	;;#ASMEND
	s_waitcnt lgkmcnt(1)
	;;#ASMSTART
	v_dot2_f32_f16 v110, v136, v124, v110
	;;#ASMEND
	;;#ASMSTART
	v_dot2_f32_f16 v110, v137, v125, v110
	;;#ASMEND
	;; [unrolled: 3-line block ×8, first 2 shown]
	s_waitcnt lgkmcnt(0)
	;;#ASMSTART
	v_dot2_f32_f16 v112, v140, v124, v112
	;;#ASMEND
	;;#ASMSTART
	v_dot2_f32_f16 v112, v141, v125, v112
	;;#ASMEND
	;; [unrolled: 3-line block ×8, first 2 shown]
	ds_read_b128 v[120:123], v64 offset:192
	ds_read_b128 v[124:127], v56 offset:192
	;; [unrolled: 1-line block ×6, first 2 shown]
	s_waitcnt lgkmcnt(4)
	;;#ASMSTART
	v_dot2_f32_f16 v106, v120, v124, v106
	;;#ASMEND
	;;#ASMSTART
	v_dot2_f32_f16 v106, v121, v125, v106
	;;#ASMEND
	;;#ASMSTART
	v_dot2_f32_f16 v106, v122, v126, v106
	;;#ASMEND
	;;#ASMSTART
	v_dot2_f32_f16 v106, v123, v127, v106
	;;#ASMEND
	s_waitcnt lgkmcnt(3)
	;;#ASMSTART
	v_dot2_f32_f16 v107, v120, v128, v107
	;;#ASMEND
	;;#ASMSTART
	v_dot2_f32_f16 v107, v121, v129, v107
	;;#ASMEND
	;;#ASMSTART
	v_dot2_f32_f16 v107, v122, v130, v107
	;;#ASMEND
	;;#ASMSTART
	v_dot2_f32_f16 v107, v123, v131, v107
	;;#ASMEND
	;; [unrolled: 13-line block ×3, first 2 shown]
	;;#ASMSTART
	v_dot2_f32_f16 v109, v132, v128, v109
	;;#ASMEND
	;;#ASMSTART
	v_dot2_f32_f16 v109, v133, v129, v109
	;;#ASMEND
	;; [unrolled: 3-line block ×4, first 2 shown]
	s_waitcnt lgkmcnt(1)
	;;#ASMSTART
	v_dot2_f32_f16 v110, v136, v124, v110
	;;#ASMEND
	;;#ASMSTART
	v_dot2_f32_f16 v110, v137, v125, v110
	;;#ASMEND
	;; [unrolled: 3-line block ×8, first 2 shown]
	s_waitcnt lgkmcnt(0)
	;;#ASMSTART
	v_dot2_f32_f16 v112, v140, v124, v112
	;;#ASMEND
	;;#ASMSTART
	v_dot2_f32_f16 v112, v141, v125, v112
	;;#ASMEND
	;; [unrolled: 3-line block ×8, first 2 shown]
	ds_read_b128 v[120:123], v64 offset:208
	ds_read_b128 v[124:127], v56 offset:208
	;; [unrolled: 1-line block ×6, first 2 shown]
	s_waitcnt lgkmcnt(4)
	;;#ASMSTART
	v_dot2_f32_f16 v106, v120, v124, v106
	;;#ASMEND
	;;#ASMSTART
	v_dot2_f32_f16 v106, v121, v125, v106
	;;#ASMEND
	;;#ASMSTART
	v_dot2_f32_f16 v106, v122, v126, v106
	;;#ASMEND
	;;#ASMSTART
	v_dot2_f32_f16 v106, v123, v127, v106
	;;#ASMEND
	s_waitcnt lgkmcnt(3)
	;;#ASMSTART
	v_dot2_f32_f16 v107, v120, v128, v107
	;;#ASMEND
	;;#ASMSTART
	v_dot2_f32_f16 v107, v121, v129, v107
	;;#ASMEND
	;;#ASMSTART
	v_dot2_f32_f16 v107, v122, v130, v107
	;;#ASMEND
	;;#ASMSTART
	v_dot2_f32_f16 v107, v123, v131, v107
	;;#ASMEND
	s_waitcnt lgkmcnt(2)
	;;#ASMSTART
	v_dot2_f32_f16 v108, v132, v124, v108
	;;#ASMEND
	;;#ASMSTART
	v_dot2_f32_f16 v108, v133, v125, v108
	;;#ASMEND
	;;#ASMSTART
	v_dot2_f32_f16 v108, v134, v126, v108
	;;#ASMEND
	;;#ASMSTART
	v_dot2_f32_f16 v108, v135, v127, v108
	;;#ASMEND
	;;#ASMSTART
	v_dot2_f32_f16 v109, v132, v128, v109
	;;#ASMEND
	;;#ASMSTART
	v_dot2_f32_f16 v109, v133, v129, v109
	;;#ASMEND
	;; [unrolled: 3-line block ×4, first 2 shown]
	s_waitcnt lgkmcnt(1)
	;;#ASMSTART
	v_dot2_f32_f16 v110, v136, v124, v110
	;;#ASMEND
	;;#ASMSTART
	v_dot2_f32_f16 v110, v137, v125, v110
	;;#ASMEND
	;; [unrolled: 3-line block ×8, first 2 shown]
	s_waitcnt lgkmcnt(0)
	;;#ASMSTART
	v_dot2_f32_f16 v112, v140, v124, v112
	;;#ASMEND
	;;#ASMSTART
	v_dot2_f32_f16 v112, v141, v125, v112
	;;#ASMEND
	;; [unrolled: 3-line block ×8, first 2 shown]
	ds_read_b128 v[120:123], v64 offset:224
	ds_read_b128 v[124:127], v56 offset:224
	;; [unrolled: 1-line block ×6, first 2 shown]
	s_waitcnt lgkmcnt(4)
	;;#ASMSTART
	v_dot2_f32_f16 v106, v120, v124, v106
	;;#ASMEND
	;;#ASMSTART
	v_dot2_f32_f16 v106, v121, v125, v106
	;;#ASMEND
	;;#ASMSTART
	v_dot2_f32_f16 v106, v122, v126, v106
	;;#ASMEND
	;;#ASMSTART
	v_dot2_f32_f16 v106, v123, v127, v106
	;;#ASMEND
	s_waitcnt lgkmcnt(3)
	;;#ASMSTART
	v_dot2_f32_f16 v107, v120, v128, v107
	;;#ASMEND
	;;#ASMSTART
	v_dot2_f32_f16 v107, v121, v129, v107
	;;#ASMEND
	;;#ASMSTART
	v_dot2_f32_f16 v107, v122, v130, v107
	;;#ASMEND
	;;#ASMSTART
	v_dot2_f32_f16 v107, v123, v131, v107
	;;#ASMEND
	;; [unrolled: 13-line block ×3, first 2 shown]
	;;#ASMSTART
	v_dot2_f32_f16 v109, v132, v128, v109
	;;#ASMEND
	;;#ASMSTART
	v_dot2_f32_f16 v109, v133, v129, v109
	;;#ASMEND
	;; [unrolled: 3-line block ×4, first 2 shown]
	s_waitcnt lgkmcnt(1)
	;;#ASMSTART
	v_dot2_f32_f16 v110, v136, v124, v110
	;;#ASMEND
	;;#ASMSTART
	v_dot2_f32_f16 v110, v137, v125, v110
	;;#ASMEND
	;; [unrolled: 3-line block ×8, first 2 shown]
	s_waitcnt lgkmcnt(0)
	;;#ASMSTART
	v_dot2_f32_f16 v112, v140, v124, v112
	;;#ASMEND
	;;#ASMSTART
	v_dot2_f32_f16 v112, v141, v125, v112
	;;#ASMEND
	;; [unrolled: 3-line block ×8, first 2 shown]
	ds_read_b128 v[120:123], v64 offset:240
	ds_read_b128 v[124:127], v56 offset:240
	;; [unrolled: 1-line block ×6, first 2 shown]
	s_waitcnt lgkmcnt(4)
	;;#ASMSTART
	v_dot2_f32_f16 v106, v120, v124, v106
	;;#ASMEND
	;;#ASMSTART
	v_dot2_f32_f16 v106, v121, v125, v106
	;;#ASMEND
	;;#ASMSTART
	v_dot2_f32_f16 v106, v122, v126, v106
	;;#ASMEND
	;;#ASMSTART
	v_dot2_f32_f16 v106, v123, v127, v106
	;;#ASMEND
	s_waitcnt lgkmcnt(3)
	;;#ASMSTART
	v_dot2_f32_f16 v107, v120, v128, v107
	;;#ASMEND
	;;#ASMSTART
	v_dot2_f32_f16 v107, v121, v129, v107
	;;#ASMEND
	;;#ASMSTART
	v_dot2_f32_f16 v107, v122, v130, v107
	;;#ASMEND
	;;#ASMSTART
	v_dot2_f32_f16 v107, v123, v131, v107
	;;#ASMEND
	;; [unrolled: 13-line block ×3, first 2 shown]
	;;#ASMSTART
	v_dot2_f32_f16 v109, v132, v128, v109
	;;#ASMEND
	;;#ASMSTART
	v_dot2_f32_f16 v109, v133, v129, v109
	;;#ASMEND
	;; [unrolled: 3-line block ×4, first 2 shown]
	s_waitcnt lgkmcnt(1)
	;;#ASMSTART
	v_dot2_f32_f16 v110, v136, v124, v110
	;;#ASMEND
	;;#ASMSTART
	v_dot2_f32_f16 v110, v137, v125, v110
	;;#ASMEND
	;; [unrolled: 3-line block ×8, first 2 shown]
	s_waitcnt lgkmcnt(0)
	;;#ASMSTART
	v_dot2_f32_f16 v112, v140, v124, v112
	;;#ASMEND
	;;#ASMSTART
	v_dot2_f32_f16 v112, v141, v125, v112
	;;#ASMEND
	;; [unrolled: 3-line block ×8, first 2 shown]
	s_clause 0x3
	global_load_ushort v144, v[52:53], off
	global_load_ushort v145, v[52:53], off offset:64
	global_load_ushort v146, v[52:53], off offset:128
	;; [unrolled: 1-line block ×3, first 2 shown]
	s_waitcnt vmcnt(0)
	s_barrier
	buffer_gl0_inv
	s_clause 0x7
	global_load_dwordx4 v[50:53], v[50:51], off
	global_load_dwordx4 v[120:123], v[48:49], off
	;; [unrolled: 1-line block ×8, first 2 shown]
	v_cvt_f32_f16_e32 v36, v144
	v_cvt_f32_f16_e32 v37, v145
	;; [unrolled: 1-line block ×4, first 2 shown]
	v_add_f32_e32 v40, v106, v36
	v_add_f32_e32 v41, v108, v37
	;; [unrolled: 1-line block ×14, first 2 shown]
	v_max3_f32 v36, v105, v36, v37
	v_add_f32_e32 v110, 0x40051340, v38
	v_add_f32_e32 v111, 0x40051340, v39
	v_max3_f32 v37, v104, v108, v109
	v_max3_f32 v36, v36, v106, v107
	;; [unrolled: 1-line block ×3, first 2 shown]
	ds_bpermute_b32 v106, v119, v36
	ds_bpermute_b32 v107, v119, v37
	s_waitcnt lgkmcnt(1)
	v_max_f32_e32 v106, v106, v106
	s_waitcnt lgkmcnt(0)
	v_max_f32_e32 v107, v107, v107
	v_max_f32_e32 v36, v36, v106
	v_max_f32_e32 v37, v37, v107
	ds_bpermute_b32 v106, v118, v36
	ds_bpermute_b32 v107, v118, v37
	s_waitcnt lgkmcnt(1)
	v_max_f32_e32 v106, v106, v106
	s_waitcnt lgkmcnt(0)
	v_max_f32_e32 v107, v107, v107
	v_max_f32_e32 v36, v36, v106
	v_max_f32_e32 v37, v37, v107
	;; [unrolled: 8-line block ×5, first 2 shown]
	v_sub_f32_e32 v40, v40, v36
	v_sub_f32_e32 v41, v41, v36
	;; [unrolled: 1-line block ×7, first 2 shown]
	v_mul_f32_e32 v106, 0x3fb8aa3b, v40
	v_mul_f32_e32 v107, 0x3fb8aa3b, v41
	v_sub_f32_e32 v38, v38, v37
	v_sub_f32_e32 v39, v39, v37
	;; [unrolled: 1-line block ×3, first 2 shown]
	v_mul_f32_e32 v108, 0x3fb8aa3b, v42
	v_mul_f32_e32 v109, 0x3fb8aa3b, v43
	;; [unrolled: 1-line block ×5, first 2 shown]
	v_fma_f32 v117, 0x3fb8aa3b, v40, -v106
	v_rndne_f32_e32 v118, v106
	v_fma_f32 v119, 0x3fb8aa3b, v41, -v107
	v_rndne_f32_e32 v144, v107
	v_mul_f32_e32 v113, 0x3fb8aa3b, v38
	v_mul_f32_e32 v115, 0x3fb8aa3b, v39
	;; [unrolled: 1-line block ×3, first 2 shown]
	v_fma_f32 v145, 0x3fb8aa3b, v42, -v108
	v_rndne_f32_e32 v146, v108
	v_fma_f32 v147, 0x3fb8aa3b, v43, -v109
	v_rndne_f32_e32 v148, v109
	v_fma_f32 v149, 0x3fb8aa3b, v105, -v110
	v_rndne_f32_e32 v150, v110
	v_fma_f32 v151, 0x3fb8aa3b, v44, -v111
	v_rndne_f32_e32 v152, v111
	v_fma_f32 v153, 0x3fb8aa3b, v45, -v112
	v_rndne_f32_e32 v154, v112
	v_fmac_f32_e32 v117, 0x32a5705f, v40
	v_sub_f32_e32 v106, v106, v118
	v_fmac_f32_e32 v119, 0x32a5705f, v41
	v_sub_f32_e32 v107, v107, v144
	v_fma_f32 v155, 0x3fb8aa3b, v38, -v113
	v_rndne_f32_e32 v156, v113
	v_fma_f32 v157, 0x3fb8aa3b, v39, -v115
	v_rndne_f32_e32 v158, v115
	v_add_f32_e32 v106, v106, v117
	v_fma_f32 v117, 0x3fb8aa3b, v104, -v116
	v_add_f32_e32 v107, v107, v119
	v_rndne_f32_e32 v119, v116
	v_fmac_f32_e32 v145, 0x32a5705f, v42
	v_sub_f32_e32 v108, v108, v146
	v_fmac_f32_e32 v147, 0x32a5705f, v43
	v_sub_f32_e32 v109, v109, v148
	;; [unrolled: 2-line block ×8, first 2 shown]
	v_add_f32_e32 v108, v108, v145
	v_add_f32_e32 v109, v109, v147
	;; [unrolled: 1-line block ×8, first 2 shown]
	v_exp_f32_e32 v106, v106
	v_exp_f32_e32 v107, v107
	v_exp_f32_e32 v108, v108
	v_exp_f32_e32 v109, v109
	v_exp_f32_e32 v110, v110
	v_exp_f32_e32 v111, v111
	v_exp_f32_e32 v112, v112
	v_exp_f32_e32 v113, v113
	v_exp_f32_e32 v115, v115
	v_cvt_i32_f32_e32 v118, v118
	v_cvt_i32_f32_e32 v144, v144
	;; [unrolled: 1-line block ×7, first 2 shown]
	v_exp_f32_e32 v116, v116
	v_cvt_i32_f32_e32 v156, v156
	v_cvt_i32_f32_e32 v158, v158
	;; [unrolled: 1-line block ×3, first 2 shown]
	v_ldexp_f32 v106, v106, v118
	v_ldexp_f32 v107, v107, v144
	v_cmp_ngt_f32_e32 vcc_lo, 0xc2ce8ed0, v41
	v_ldexp_f32 v108, v108, v146
	v_cmp_ngt_f32_e64 s0, 0xc2ce8ed0, v42
	v_ldexp_f32 v109, v109, v148
	v_cmp_ngt_f32_e64 s1, 0xc2ce8ed0, v43
	v_ldexp_f32 v110, v110, v150
	v_cmp_ngt_f32_e64 s2, 0xc2ce8ed0, v105
	v_ldexp_f32 v111, v111, v152
	v_cmp_ngt_f32_e64 s3, 0xc2ce8ed0, v44
	v_ldexp_f32 v112, v112, v154
	v_cmp_ngt_f32_e64 s6, 0xc2ce8ed0, v45
	v_cmp_ngt_f32_e64 s10, 0xc2ce8ed0, v40
	v_ldexp_f32 v113, v113, v156
	v_cmp_ngt_f32_e64 s7, 0xc2ce8ed0, v38
	v_ldexp_f32 v115, v115, v158
	v_cmp_ngt_f32_e64 s8, 0xc2ce8ed0, v39
	v_ldexp_f32 v116, v116, v119
	v_cmp_ngt_f32_e64 s9, 0xc2ce8ed0, v104
	v_cndmask_b32_e64 v106, 0, v106, s10
	v_cndmask_b32_e32 v107, 0, v107, vcc_lo
	v_cmp_nlt_f32_e32 vcc_lo, 0x42b17218, v41
	v_cndmask_b32_e64 v41, 0, v108, s0
	v_cmp_nlt_f32_e64 s0, 0x42b17218, v42
	v_cndmask_b32_e64 v42, 0, v109, s1
	v_cmp_nlt_f32_e64 s1, 0x42b17218, v43
	;; [unrolled: 2-line block ×5, first 2 shown]
	v_cmp_nlt_f32_e64 s10, 0x42b17218, v40
	v_cndmask_b32_e64 v45, 0, v113, s7
	v_cmp_nlt_f32_e64 s7, 0x42b17218, v38
	v_cndmask_b32_e64 v108, 0, v115, s8
	;; [unrolled: 2-line block ×4, first 2 shown]
	v_cndmask_b32_e32 v106, 0x7f800000, v107, vcc_lo
	v_cndmask_b32_e64 v40, 0x7f800000, v42, s1
	v_cndmask_b32_e64 v38, 0x7f800000, v43, s2
	v_cndmask_b32_e64 v42, 0x7f800000, v105, s3
	v_cndmask_b32_e64 v43, 0x7f800000, v44, s6
	v_cndmask_b32_e64 v107, 0x7f800000, v41, s0
	v_cndmask_b32_e64 v44, 0x7f800000, v45, s7
	v_cndmask_b32_e64 v41, 0x7f800000, v108, s8
	v_cvt_f16_f32_e32 v45, v104
	v_add_f32_e32 v104, v104, v106
	v_cvt_f16_f32_e32 v105, v106
	v_cvt_f16_f32_e32 v110, v42
	v_add_f32_e32 v111, v42, v43
	v_cvt_f16_f32_e32 v43, v43
	v_cvt_f16_f32_e32 v106, v107
	;; [unrolled: 1-line block ×5, first 2 shown]
	v_add_f32_e32 v42, v107, v104
	v_pack_b32_f16 v45, v45, v110
	v_pack_b32_f16 v104, v105, v43
	;; [unrolled: 1-line block ×4, first 2 shown]
	v_add_f32_e32 v43, v44, v111
	ds_write2_b32 v82, v45, v104 offset1:32
	ds_write2_b32 v82, v105, v106 offset0:64 offset1:96
	s_waitcnt vmcnt(7)
	ds_write_b128 v65, v[50:53]
	s_waitcnt vmcnt(6)
	ds_write_b128 v74, v[120:123]
	s_waitcnt vmcnt(5)
	ds_write_b128 v75, v[46:49]
	s_waitcnt vmcnt(4)
	ds_write_b128 v76, v[124:127]
	s_waitcnt vmcnt(3)
	ds_write_b128 v77, v[128:131]
	s_waitcnt vmcnt(2)
	ds_write_b128 v78, v[132:135]
	s_waitcnt vmcnt(1)
	ds_write_b128 v79, v[136:139]
	s_waitcnt vmcnt(0)
	ds_write_b128 v80, v[140:143]
	s_waitcnt lgkmcnt(0)
	s_barrier
	buffer_gl0_inv
	ds_read_b128 v[44:47], v73
	v_cndmask_b32_e64 v39, 0x7f800000, v39, s9
	ds_read2_b64 v[48:51], v55 offset1:32
	v_cvt_f16_f32_e32 v109, v38
	v_add_f32_e32 v40, v40, v42
	v_add_f32_e32 v185, v41, v43
	v_cvt_f16_f32_e32 v115, v39
	v_mul_u32_u24_sdwa v112, v109, v83 dst_sel:DWORD dst_unused:UNUSED_PAD src0_sel:WORD_0 src1_sel:DWORD
	v_fmac_f32_e32 v40, v99, v38
	v_mul_u32_u24_sdwa v111, v115, v83 dst_sel:DWORD dst_unused:UNUSED_PAD src0_sel:WORD_0 src1_sel:DWORD
	v_pk_mul_f16 v52, v103, v112
	ds_read2_b64 v[103:106], v55 offset0:64 offset1:96
	ds_read2_b64 v[107:110], v55 offset0:128 offset1:160
	ds_read_b128 v[115:118], v73 offset:16
	ds_read2_b64 v[119:122], v55 offset0:192 offset1:224
	ds_read2_b64 v[123:126], v84 offset1:32
	ds_read2_b64 v[127:130], v84 offset0:64 offset1:96
	ds_read2_b64 v[131:134], v84 offset0:128 offset1:160
	ds_read_b128 v[135:138], v73 offset:32
	ds_read_b128 v[139:142], v73 offset:48
	ds_read2_b64 v[143:146], v84 offset0:192 offset1:224
	ds_read2_b64 v[147:150], v85 offset1:32
	ds_read_b128 v[151:154], v73 offset:64
	ds_read2_b64 v[155:158], v85 offset0:64 offset1:96
	v_pk_mul_f16 v53, v100, v111
	s_waitcnt lgkmcnt(14)
	v_mul_u32_u24_sdwa v100, v44, v83 dst_sel:DWORD dst_unused:UNUSED_PAD src0_sel:WORD_0 src1_sel:DWORD
	v_mul_u32_u24_sdwa v44, v44, v83 dst_sel:DWORD dst_unused:UNUSED_PAD src0_sel:WORD_1 src1_sel:DWORD
	s_waitcnt lgkmcnt(13)
	v_pk_mul_f16 v113, v48, v100
	v_pk_fma_f16 v52, v49, v100, v52
	v_pk_fma_f16 v49, v49, v44, v53
	v_pk_mul_f16 v44, v48, v44
	v_pk_fma_f16 v102, v102, v112, v113
	v_mul_u32_u24_sdwa v112, v45, v83 dst_sel:DWORD dst_unused:UNUSED_PAD src0_sel:WORD_0 src1_sel:DWORD
	v_mul_u32_u24_sdwa v45, v45, v83 dst_sel:DWORD dst_unused:UNUSED_PAD src0_sel:WORD_1 src1_sel:DWORD
	v_pk_fma_f16 v44, v101, v111, v44
	v_mul_u32_u24_sdwa v111, v46, v83 dst_sel:DWORD dst_unused:UNUSED_PAD src0_sel:WORD_1 src1_sel:DWORD
	v_mul_u32_u24_sdwa v113, v47, v83 dst_sel:DWORD dst_unused:UNUSED_PAD src0_sel:WORD_1 src1_sel:DWORD
	v_pk_fma_f16 v52, v51, v112, v52
	v_pk_fma_f16 v53, v51, v45, v49
	;; [unrolled: 1-line block ×4, first 2 shown]
	v_mul_u32_u24_sdwa v102, v46, v83 dst_sel:DWORD dst_unused:UNUSED_PAD src0_sel:WORD_0 src1_sel:DWORD
	v_mul_u32_u24_sdwa v112, v47, v83 dst_sel:DWORD dst_unused:UNUSED_PAD src0_sel:WORD_0 src1_sel:DWORD
	s_waitcnt lgkmcnt(12)
	v_pk_fma_f16 v53, v104, v111, v53
	ds_read_b128 v[44:47], v73 offset:80
	v_pk_fma_f16 v101, v103, v111, v101
	v_pk_fma_f16 v52, v104, v102, v52
	;; [unrolled: 1-line block ×4, first 2 shown]
	s_waitcnt lgkmcnt(11)
	v_mul_u32_u24_sdwa v111, v115, v83 dst_sel:DWORD dst_unused:UNUSED_PAD src0_sel:WORD_1 src1_sel:DWORD
	ds_read2_b64 v[48:51], v85 offset0:128 offset1:160
	v_pk_fma_f16 v52, v106, v112, v52
	v_pk_fma_f16 v104, v105, v112, v100
	;; [unrolled: 1-line block ×3, first 2 shown]
	v_mul_u32_u24_sdwa v106, v115, v83 dst_sel:DWORD dst_unused:UNUSED_PAD src0_sel:WORD_0 src1_sel:DWORD
	v_mul_u32_u24_sdwa v112, v116, v83 dst_sel:DWORD dst_unused:UNUSED_PAD src0_sel:WORD_0 src1_sel:DWORD
	v_mul_u32_u24_sdwa v113, v116, v83 dst_sel:DWORD dst_unused:UNUSED_PAD src0_sel:WORD_1 src1_sel:DWORD
	v_pk_fma_f16 v53, v108, v111, v53
	v_pk_fma_f16 v105, v107, v111, v105
	;; [unrolled: 1-line block ×4, first 2 shown]
	v_mul_u32_u24_sdwa v115, v117, v83 dst_sel:DWORD dst_unused:UNUSED_PAD src0_sel:WORD_0 src1_sel:DWORD
	v_pk_fma_f16 v53, v110, v113, v53
	v_pk_fma_f16 v113, v109, v113, v105
	;; [unrolled: 1-line block ×4, first 2 shown]
	v_mul_u32_u24_sdwa v116, v117, v83 dst_sel:DWORD dst_unused:UNUSED_PAD src0_sel:WORD_1 src1_sel:DWORD
	v_mul_u32_u24_sdwa v117, v118, v83 dst_sel:DWORD dst_unused:UNUSED_PAD src0_sel:WORD_0 src1_sel:DWORD
	v_mul_u32_u24_sdwa v118, v118, v83 dst_sel:DWORD dst_unused:UNUSED_PAD src0_sel:WORD_1 src1_sel:DWORD
	s_waitcnt lgkmcnt(11)
	v_pk_fma_f16 v52, v120, v115, v52
	v_pk_fma_f16 v112, v119, v115, v112
	;; [unrolled: 1-line block ×4, first 2 shown]
	s_waitcnt lgkmcnt(7)
	v_mul_u32_u24_sdwa v119, v135, v83 dst_sel:DWORD dst_unused:UNUSED_PAD src0_sel:WORD_0 src1_sel:DWORD
	v_pk_fma_f16 v52, v122, v117, v52
	v_pk_fma_f16 v112, v121, v117, v112
	;; [unrolled: 1-line block ×4, first 2 shown]
	v_mul_u32_u24_sdwa v120, v135, v83 dst_sel:DWORD dst_unused:UNUSED_PAD src0_sel:WORD_1 src1_sel:DWORD
	v_mul_u32_u24_sdwa v121, v136, v83 dst_sel:DWORD dst_unused:UNUSED_PAD src0_sel:WORD_0 src1_sel:DWORD
	v_mul_u32_u24_sdwa v122, v136, v83 dst_sel:DWORD dst_unused:UNUSED_PAD src0_sel:WORD_1 src1_sel:DWORD
	v_pk_fma_f16 v52, v124, v119, v52
	v_pk_fma_f16 v112, v123, v119, v112
	;; [unrolled: 1-line block ×4, first 2 shown]
	v_mul_u32_u24_sdwa v135, v137, v83 dst_sel:DWORD dst_unused:UNUSED_PAD src0_sel:WORD_0 src1_sel:DWORD
	v_pk_fma_f16 v52, v126, v121, v52
	v_pk_fma_f16 v112, v125, v121, v112
	;; [unrolled: 1-line block ×4, first 2 shown]
	v_mul_u32_u24_sdwa v136, v137, v83 dst_sel:DWORD dst_unused:UNUSED_PAD src0_sel:WORD_1 src1_sel:DWORD
	v_mul_u32_u24_sdwa v137, v138, v83 dst_sel:DWORD dst_unused:UNUSED_PAD src0_sel:WORD_0 src1_sel:DWORD
	v_mul_u32_u24_sdwa v138, v138, v83 dst_sel:DWORD dst_unused:UNUSED_PAD src0_sel:WORD_1 src1_sel:DWORD
	v_pk_fma_f16 v52, v128, v135, v52
	v_pk_fma_f16 v112, v127, v135, v112
	v_pk_fma_f16 v53, v128, v136, v53
	v_pk_fma_f16 v113, v127, v136, v113
	s_waitcnt lgkmcnt(6)
	v_mul_u32_u24_sdwa v135, v139, v83 dst_sel:DWORD dst_unused:UNUSED_PAD src0_sel:WORD_0 src1_sel:DWORD
	v_pk_fma_f16 v52, v130, v137, v52
	v_pk_fma_f16 v112, v129, v137, v112
	;; [unrolled: 1-line block ×4, first 2 shown]
	v_mul_u32_u24_sdwa v136, v139, v83 dst_sel:DWORD dst_unused:UNUSED_PAD src0_sel:WORD_1 src1_sel:DWORD
	v_mul_u32_u24_sdwa v137, v140, v83 dst_sel:DWORD dst_unused:UNUSED_PAD src0_sel:WORD_0 src1_sel:DWORD
	v_mul_u32_u24_sdwa v138, v140, v83 dst_sel:DWORD dst_unused:UNUSED_PAD src0_sel:WORD_1 src1_sel:DWORD
	v_pk_fma_f16 v52, v132, v135, v52
	v_pk_fma_f16 v112, v131, v135, v112
	;; [unrolled: 1-line block ×4, first 2 shown]
	v_mul_u32_u24_sdwa v139, v141, v83 dst_sel:DWORD dst_unused:UNUSED_PAD src0_sel:WORD_0 src1_sel:DWORD
	v_pk_fma_f16 v52, v134, v137, v52
	v_pk_fma_f16 v112, v133, v137, v112
	v_pk_fma_f16 v53, v134, v138, v53
	v_pk_fma_f16 v113, v133, v138, v113
	v_mul_u32_u24_sdwa v140, v141, v83 dst_sel:DWORD dst_unused:UNUSED_PAD src0_sel:WORD_1 src1_sel:DWORD
	v_mul_u32_u24_sdwa v141, v142, v83 dst_sel:DWORD dst_unused:UNUSED_PAD src0_sel:WORD_0 src1_sel:DWORD
	v_mul_u32_u24_sdwa v142, v142, v83 dst_sel:DWORD dst_unused:UNUSED_PAD src0_sel:WORD_1 src1_sel:DWORD
	s_waitcnt lgkmcnt(5)
	v_pk_fma_f16 v52, v144, v139, v52
	v_pk_fma_f16 v112, v143, v139, v112
	;; [unrolled: 1-line block ×4, first 2 shown]
	s_waitcnt lgkmcnt(3)
	v_mul_u32_u24_sdwa v143, v151, v83 dst_sel:DWORD dst_unused:UNUSED_PAD src0_sel:WORD_0 src1_sel:DWORD
	v_pk_fma_f16 v52, v146, v141, v52
	v_pk_fma_f16 v112, v145, v141, v112
	v_pk_fma_f16 v53, v146, v142, v53
	v_pk_fma_f16 v113, v145, v142, v113
	v_mul_u32_u24_sdwa v144, v151, v83 dst_sel:DWORD dst_unused:UNUSED_PAD src0_sel:WORD_1 src1_sel:DWORD
	v_mul_u32_u24_sdwa v145, v152, v83 dst_sel:DWORD dst_unused:UNUSED_PAD src0_sel:WORD_0 src1_sel:DWORD
	v_mul_u32_u24_sdwa v146, v152, v83 dst_sel:DWORD dst_unused:UNUSED_PAD src0_sel:WORD_1 src1_sel:DWORD
	v_pk_fma_f16 v52, v148, v143, v52
	v_pk_fma_f16 v112, v147, v143, v112
	;; [unrolled: 1-line block ×4, first 2 shown]
	v_mul_u32_u24_sdwa v151, v153, v83 dst_sel:DWORD dst_unused:UNUSED_PAD src0_sel:WORD_0 src1_sel:DWORD
	v_pk_fma_f16 v52, v150, v145, v52
	v_pk_fma_f16 v112, v149, v145, v112
	;; [unrolled: 1-line block ×4, first 2 shown]
	v_mul_u32_u24_sdwa v152, v153, v83 dst_sel:DWORD dst_unused:UNUSED_PAD src0_sel:WORD_1 src1_sel:DWORD
	ds_read2_b64 v[100:103], v85 offset0:192 offset1:224
	v_mul_u32_u24_sdwa v153, v154, v83 dst_sel:DWORD dst_unused:UNUSED_PAD src0_sel:WORD_0 src1_sel:DWORD
	v_mul_u32_u24_sdwa v154, v154, v83 dst_sel:DWORD dst_unused:UNUSED_PAD src0_sel:WORD_1 src1_sel:DWORD
	s_waitcnt lgkmcnt(3)
	v_pk_fma_f16 v52, v156, v151, v52
	v_pk_fma_f16 v53, v156, v152, v53
	;; [unrolled: 1-line block ×4, first 2 shown]
	ds_read_b128 v[108:111], v73 offset:96
	v_pk_fma_f16 v52, v158, v153, v52
	v_pk_fma_f16 v53, v158, v154, v53
	;; [unrolled: 1-line block ×4, first 2 shown]
	s_waitcnt lgkmcnt(3)
	v_mul_u32_u24_sdwa v155, v44, v83 dst_sel:DWORD dst_unused:UNUSED_PAD src0_sel:WORD_0 src1_sel:DWORD
	v_mul_u32_u24_sdwa v44, v44, v83 dst_sel:DWORD dst_unused:UNUSED_PAD src0_sel:WORD_1 src1_sel:DWORD
	ds_read2_b64 v[104:107], v86 offset1:32
	v_mul_u32_u24_sdwa v156, v45, v83 dst_sel:DWORD dst_unused:UNUSED_PAD src0_sel:WORD_0 src1_sel:DWORD
	v_mul_u32_u24_sdwa v45, v45, v83 dst_sel:DWORD dst_unused:UNUSED_PAD src0_sel:WORD_1 src1_sel:DWORD
	s_waitcnt lgkmcnt(3)
	v_pk_fma_f16 v52, v49, v155, v52
	v_pk_fma_f16 v49, v49, v44, v53
	;; [unrolled: 1-line block ×4, first 2 shown]
	v_mul_u32_u24_sdwa v155, v46, v83 dst_sel:DWORD dst_unused:UNUSED_PAD src0_sel:WORD_0 src1_sel:DWORD
	v_pk_fma_f16 v52, v51, v156, v52
	v_pk_fma_f16 v112, v51, v45, v49
	;; [unrolled: 1-line block ×4, first 2 shown]
	v_mul_u32_u24_sdwa v156, v46, v83 dst_sel:DWORD dst_unused:UNUSED_PAD src0_sel:WORD_1 src1_sel:DWORD
	ds_read2_b64 v[115:118], v86 offset0:64 offset1:96
	v_mul_u32_u24_sdwa v157, v47, v83 dst_sel:DWORD dst_unused:UNUSED_PAD src0_sel:WORD_0 src1_sel:DWORD
	v_mul_u32_u24_sdwa v158, v47, v83 dst_sel:DWORD dst_unused:UNUSED_PAD src0_sel:WORD_1 src1_sel:DWORD
	s_waitcnt lgkmcnt(3)
	v_pk_fma_f16 v52, v101, v155, v52
	v_pk_fma_f16 v101, v101, v156, v112
	;; [unrolled: 1-line block ×4, first 2 shown]
	ds_read_b128 v[123:126], v73 offset:112
	ds_read_b128 v[135:138], v73 offset:128
	v_pk_fma_f16 v52, v103, v157, v52
	v_pk_fma_f16 v112, v103, v158, v101
	;; [unrolled: 1-line block ×4, first 2 shown]
	s_waitcnt lgkmcnt(4)
	v_mul_u32_u24_sdwa v155, v108, v83 dst_sel:DWORD dst_unused:UNUSED_PAD src0_sel:WORD_0 src1_sel:DWORD
	v_mul_u32_u24_sdwa v108, v108, v83 dst_sel:DWORD dst_unused:UNUSED_PAD src0_sel:WORD_1 src1_sel:DWORD
	ds_read2_b64 v[119:122], v86 offset0:128 offset1:160
	v_mul_u32_u24_sdwa v156, v109, v83 dst_sel:DWORD dst_unused:UNUSED_PAD src0_sel:WORD_0 src1_sel:DWORD
	v_mul_u32_u24_sdwa v109, v109, v83 dst_sel:DWORD dst_unused:UNUSED_PAD src0_sel:WORD_1 src1_sel:DWORD
	s_waitcnt lgkmcnt(4)
	v_pk_fma_f16 v52, v105, v155, v52
	v_pk_fma_f16 v105, v105, v108, v112
	;; [unrolled: 1-line block ×4, first 2 shown]
	v_mul_u32_u24_sdwa v155, v110, v83 dst_sel:DWORD dst_unused:UNUSED_PAD src0_sel:WORD_0 src1_sel:DWORD
	v_pk_fma_f16 v52, v107, v156, v52
	v_pk_fma_f16 v112, v107, v109, v105
	;; [unrolled: 1-line block ×4, first 2 shown]
	v_mul_u32_u24_sdwa v156, v110, v83 dst_sel:DWORD dst_unused:UNUSED_PAD src0_sel:WORD_1 src1_sel:DWORD
	ds_read2_b64 v[127:130], v86 offset0:192 offset1:224
	v_mul_u32_u24_sdwa v157, v111, v83 dst_sel:DWORD dst_unused:UNUSED_PAD src0_sel:WORD_0 src1_sel:DWORD
	v_mul_u32_u24_sdwa v158, v111, v83 dst_sel:DWORD dst_unused:UNUSED_PAD src0_sel:WORD_1 src1_sel:DWORD
	s_waitcnt lgkmcnt(4)
	v_pk_fma_f16 v52, v116, v155, v52
	v_pk_fma_f16 v112, v116, v156, v112
	;; [unrolled: 1-line block ×4, first 2 shown]
	s_waitcnt lgkmcnt(3)
	v_mul_u32_u24_sdwa v155, v123, v83 dst_sel:DWORD dst_unused:UNUSED_PAD src0_sel:WORD_0 src1_sel:DWORD
	v_pk_fma_f16 v52, v118, v157, v52
	v_pk_fma_f16 v112, v118, v158, v112
	v_pk_fma_f16 v53, v117, v157, v53
	v_pk_fma_f16 v113, v117, v158, v113
	v_mul_u32_u24_sdwa v123, v123, v83 dst_sel:DWORD dst_unused:UNUSED_PAD src0_sel:WORD_1 src1_sel:DWORD
	ds_read2_b64 v[131:134], v87 offset1:32
	v_mul_u32_u24_sdwa v156, v124, v83 dst_sel:DWORD dst_unused:UNUSED_PAD src0_sel:WORD_0 src1_sel:DWORD
	v_mul_u32_u24_sdwa v124, v124, v83 dst_sel:DWORD dst_unused:UNUSED_PAD src0_sel:WORD_1 src1_sel:DWORD
	s_waitcnt lgkmcnt(2)
	v_pk_fma_f16 v52, v120, v155, v52
	v_pk_fma_f16 v112, v120, v123, v112
	;; [unrolled: 1-line block ×4, first 2 shown]
	v_mul_u32_u24_sdwa v155, v125, v83 dst_sel:DWORD dst_unused:UNUSED_PAD src0_sel:WORD_0 src1_sel:DWORD
	v_pk_fma_f16 v52, v122, v156, v52
	v_pk_fma_f16 v112, v122, v124, v112
	;; [unrolled: 1-line block ×4, first 2 shown]
	v_mul_u32_u24_sdwa v156, v125, v83 dst_sel:DWORD dst_unused:UNUSED_PAD src0_sel:WORD_1 src1_sel:DWORD
	ds_read2_b64 v[139:142], v87 offset0:64 offset1:96
	v_mul_u32_u24_sdwa v157, v126, v83 dst_sel:DWORD dst_unused:UNUSED_PAD src0_sel:WORD_0 src1_sel:DWORD
	v_mul_u32_u24_sdwa v158, v126, v83 dst_sel:DWORD dst_unused:UNUSED_PAD src0_sel:WORD_1 src1_sel:DWORD
	s_waitcnt lgkmcnt(2)
	v_pk_fma_f16 v52, v128, v155, v52
	v_pk_fma_f16 v112, v128, v156, v112
	;; [unrolled: 1-line block ×4, first 2 shown]
	ds_read_b128 v[147:150], v73 offset:144
	ds_read_b128 v[44:47], v73 offset:160
	v_pk_fma_f16 v52, v130, v157, v52
	v_pk_fma_f16 v112, v130, v158, v112
	;; [unrolled: 1-line block ×4, first 2 shown]
	v_mul_u32_u24_sdwa v155, v135, v83 dst_sel:DWORD dst_unused:UNUSED_PAD src0_sel:WORD_0 src1_sel:DWORD
	v_mul_u32_u24_sdwa v135, v135, v83 dst_sel:DWORD dst_unused:UNUSED_PAD src0_sel:WORD_1 src1_sel:DWORD
	ds_read2_b64 v[143:146], v87 offset0:128 offset1:160
	v_mul_u32_u24_sdwa v156, v136, v83 dst_sel:DWORD dst_unused:UNUSED_PAD src0_sel:WORD_0 src1_sel:DWORD
	v_mul_u32_u24_sdwa v136, v136, v83 dst_sel:DWORD dst_unused:UNUSED_PAD src0_sel:WORD_1 src1_sel:DWORD
	s_waitcnt lgkmcnt(4)
	v_pk_fma_f16 v52, v132, v155, v52
	v_pk_fma_f16 v112, v132, v135, v112
	;; [unrolled: 1-line block ×4, first 2 shown]
	v_mul_u32_u24_sdwa v155, v137, v83 dst_sel:DWORD dst_unused:UNUSED_PAD src0_sel:WORD_0 src1_sel:DWORD
	v_pk_fma_f16 v52, v134, v156, v52
	v_pk_fma_f16 v112, v134, v136, v112
	;; [unrolled: 1-line block ×4, first 2 shown]
	v_mul_u32_u24_sdwa v156, v137, v83 dst_sel:DWORD dst_unused:UNUSED_PAD src0_sel:WORD_1 src1_sel:DWORD
	ds_read2_b64 v[151:154], v87 offset0:192 offset1:224
	v_mul_u32_u24_sdwa v157, v138, v83 dst_sel:DWORD dst_unused:UNUSED_PAD src0_sel:WORD_0 src1_sel:DWORD
	v_mul_u32_u24_sdwa v158, v138, v83 dst_sel:DWORD dst_unused:UNUSED_PAD src0_sel:WORD_1 src1_sel:DWORD
	s_waitcnt lgkmcnt(4)
	v_pk_fma_f16 v52, v140, v155, v52
	v_pk_fma_f16 v112, v140, v156, v112
	;; [unrolled: 1-line block ×4, first 2 shown]
	s_waitcnt lgkmcnt(3)
	v_mul_u32_u24_sdwa v155, v147, v83 dst_sel:DWORD dst_unused:UNUSED_PAD src0_sel:WORD_0 src1_sel:DWORD
	v_pk_fma_f16 v52, v142, v157, v52
	v_pk_fma_f16 v112, v142, v158, v112
	;; [unrolled: 1-line block ×4, first 2 shown]
	v_mul_u32_u24_sdwa v147, v147, v83 dst_sel:DWORD dst_unused:UNUSED_PAD src0_sel:WORD_1 src1_sel:DWORD
	ds_read2_b64 v[48:51], v88 offset1:32
	v_mul_u32_u24_sdwa v156, v148, v83 dst_sel:DWORD dst_unused:UNUSED_PAD src0_sel:WORD_0 src1_sel:DWORD
	v_mul_u32_u24_sdwa v148, v148, v83 dst_sel:DWORD dst_unused:UNUSED_PAD src0_sel:WORD_1 src1_sel:DWORD
	s_waitcnt lgkmcnt(2)
	v_pk_fma_f16 v52, v144, v155, v52
	v_pk_fma_f16 v112, v144, v147, v112
	;; [unrolled: 1-line block ×4, first 2 shown]
	v_mul_u32_u24_sdwa v155, v149, v83 dst_sel:DWORD dst_unused:UNUSED_PAD src0_sel:WORD_0 src1_sel:DWORD
	v_pk_fma_f16 v52, v146, v156, v52
	v_pk_fma_f16 v112, v146, v148, v112
	;; [unrolled: 1-line block ×4, first 2 shown]
	v_mul_u32_u24_sdwa v156, v149, v83 dst_sel:DWORD dst_unused:UNUSED_PAD src0_sel:WORD_1 src1_sel:DWORD
	ds_read2_b64 v[100:103], v88 offset0:64 offset1:96
	v_mul_u32_u24_sdwa v157, v150, v83 dst_sel:DWORD dst_unused:UNUSED_PAD src0_sel:WORD_0 src1_sel:DWORD
	v_mul_u32_u24_sdwa v158, v150, v83 dst_sel:DWORD dst_unused:UNUSED_PAD src0_sel:WORD_1 src1_sel:DWORD
	s_waitcnt lgkmcnt(2)
	v_pk_fma_f16 v52, v152, v155, v52
	v_pk_fma_f16 v112, v152, v156, v112
	;; [unrolled: 1-line block ×4, first 2 shown]
	ds_read_b128 v[108:111], v73 offset:176
	ds_read_b128 v[123:126], v73 offset:192
	v_pk_fma_f16 v52, v154, v157, v52
	v_pk_fma_f16 v112, v154, v158, v112
	;; [unrolled: 1-line block ×4, first 2 shown]
	v_mul_u32_u24_sdwa v155, v44, v83 dst_sel:DWORD dst_unused:UNUSED_PAD src0_sel:WORD_0 src1_sel:DWORD
	v_mul_u32_u24_sdwa v44, v44, v83 dst_sel:DWORD dst_unused:UNUSED_PAD src0_sel:WORD_1 src1_sel:DWORD
	ds_read2_b64 v[104:107], v88 offset0:128 offset1:160
	v_mul_u32_u24_sdwa v156, v45, v83 dst_sel:DWORD dst_unused:UNUSED_PAD src0_sel:WORD_0 src1_sel:DWORD
	v_mul_u32_u24_sdwa v45, v45, v83 dst_sel:DWORD dst_unused:UNUSED_PAD src0_sel:WORD_1 src1_sel:DWORD
	s_waitcnt lgkmcnt(4)
	v_pk_fma_f16 v52, v49, v155, v52
	v_pk_fma_f16 v49, v49, v44, v112
	;; [unrolled: 1-line block ×4, first 2 shown]
	v_mul_u32_u24_sdwa v155, v46, v83 dst_sel:DWORD dst_unused:UNUSED_PAD src0_sel:WORD_0 src1_sel:DWORD
	v_pk_fma_f16 v52, v51, v156, v52
	v_pk_fma_f16 v112, v51, v45, v49
	;; [unrolled: 1-line block ×4, first 2 shown]
	v_mul_u32_u24_sdwa v156, v46, v83 dst_sel:DWORD dst_unused:UNUSED_PAD src0_sel:WORD_1 src1_sel:DWORD
	ds_read2_b64 v[115:118], v88 offset0:192 offset1:224
	v_mul_u32_u24_sdwa v157, v47, v83 dst_sel:DWORD dst_unused:UNUSED_PAD src0_sel:WORD_0 src1_sel:DWORD
	v_mul_u32_u24_sdwa v158, v47, v83 dst_sel:DWORD dst_unused:UNUSED_PAD src0_sel:WORD_1 src1_sel:DWORD
	s_waitcnt lgkmcnt(4)
	v_pk_fma_f16 v52, v101, v155, v52
	v_pk_fma_f16 v53, v100, v155, v53
	;; [unrolled: 1-line block ×4, first 2 shown]
	s_waitcnt lgkmcnt(3)
	v_mul_u32_u24_sdwa v155, v108, v83 dst_sel:DWORD dst_unused:UNUSED_PAD src0_sel:WORD_0 src1_sel:DWORD
	v_mul_u32_u24_sdwa v108, v108, v83 dst_sel:DWORD dst_unused:UNUSED_PAD src0_sel:WORD_1 src1_sel:DWORD
	v_pk_fma_f16 v52, v103, v157, v52
	v_pk_fma_f16 v53, v102, v157, v53
	;; [unrolled: 1-line block ×4, first 2 shown]
	ds_read2_b64 v[119:122], v89 offset1:32
	v_mul_u32_u24_sdwa v112, v109, v83 dst_sel:DWORD dst_unused:UNUSED_PAD src0_sel:WORD_0 src1_sel:DWORD
	v_mul_u32_u24_sdwa v109, v109, v83 dst_sel:DWORD dst_unused:UNUSED_PAD src0_sel:WORD_1 src1_sel:DWORD
	s_waitcnt lgkmcnt(2)
	v_pk_fma_f16 v52, v105, v155, v52
	v_pk_fma_f16 v53, v104, v155, v53
	;; [unrolled: 1-line block ×4, first 2 shown]
	v_mul_u32_u24_sdwa v157, v110, v83 dst_sel:DWORD dst_unused:UNUSED_PAD src0_sel:WORD_0 src1_sel:DWORD
	v_mul_u32_u24_sdwa v110, v110, v83 dst_sel:DWORD dst_unused:UNUSED_PAD src0_sel:WORD_1 src1_sel:DWORD
	v_pk_fma_f16 v52, v107, v112, v52
	v_pk_fma_f16 v53, v106, v112, v53
	;; [unrolled: 1-line block ×4, first 2 shown]
	ds_read2_b64 v[127:130], v89 offset0:64 offset1:96
	v_mul_u32_u24_sdwa v158, v111, v83 dst_sel:DWORD dst_unused:UNUSED_PAD src0_sel:WORD_0 src1_sel:DWORD
	v_mul_u32_u24_sdwa v111, v111, v83 dst_sel:DWORD dst_unused:UNUSED_PAD src0_sel:WORD_1 src1_sel:DWORD
	s_waitcnt lgkmcnt(2)
	v_pk_fma_f16 v52, v116, v157, v52
	v_pk_fma_f16 v53, v115, v157, v53
	;; [unrolled: 1-line block ×4, first 2 shown]
	ds_read_b128 v[135:138], v73 offset:208
	ds_read_b128 v[147:150], v73 offset:224
	;; [unrolled: 1-line block ×3, first 2 shown]
	v_mul_u32_u24_sdwa v155, v123, v83 dst_sel:DWORD dst_unused:UNUSED_PAD src0_sel:WORD_0 src1_sel:DWORD
	v_mul_u32_u24_sdwa v113, v123, v83 dst_sel:DWORD dst_unused:UNUSED_PAD src0_sel:WORD_1 src1_sel:DWORD
	v_pk_fma_f16 v52, v118, v158, v52
	v_pk_fma_f16 v53, v117, v158, v53
	;; [unrolled: 1-line block ×4, first 2 shown]
	ds_read2_b64 v[131:134], v89 offset0:128 offset1:160
	v_mul_u32_u24_sdwa v112, v124, v83 dst_sel:DWORD dst_unused:UNUSED_PAD src0_sel:WORD_0 src1_sel:DWORD
	v_mul_u32_u24_sdwa v123, v124, v83 dst_sel:DWORD dst_unused:UNUSED_PAD src0_sel:WORD_1 src1_sel:DWORD
	s_waitcnt lgkmcnt(5)
	v_pk_fma_f16 v52, v120, v155, v52
	v_pk_fma_f16 v53, v119, v155, v53
	;; [unrolled: 1-line block ×4, first 2 shown]
	v_mul_u32_u24_sdwa v124, v125, v83 dst_sel:DWORD dst_unused:UNUSED_PAD src0_sel:WORD_0 src1_sel:DWORD
	v_mul_u32_u24_sdwa v125, v125, v83 dst_sel:DWORD dst_unused:UNUSED_PAD src0_sel:WORD_1 src1_sel:DWORD
	ds_read_b128 v[108:111], v73 offset:256
	v_pk_fma_f16 v52, v122, v112, v52
	v_pk_fma_f16 v53, v121, v112, v53
	;; [unrolled: 1-line block ×4, first 2 shown]
	ds_read2_b64 v[139:142], v89 offset0:192 offset1:224
	v_mul_u32_u24_sdwa v156, v126, v83 dst_sel:DWORD dst_unused:UNUSED_PAD src0_sel:WORD_0 src1_sel:DWORD
	v_mul_u32_u24_sdwa v126, v126, v83 dst_sel:DWORD dst_unused:UNUSED_PAD src0_sel:WORD_1 src1_sel:DWORD
	s_waitcnt lgkmcnt(6)
	v_pk_fma_f16 v52, v128, v124, v52
	v_pk_fma_f16 v53, v127, v124, v53
	;; [unrolled: 1-line block ×4, first 2 shown]
	s_waitcnt lgkmcnt(5)
	v_mul_u32_u24_sdwa v157, v135, v83 dst_sel:DWORD dst_unused:UNUSED_PAD src0_sel:WORD_0 src1_sel:DWORD
	v_mul_u32_u24_sdwa v135, v135, v83 dst_sel:DWORD dst_unused:UNUSED_PAD src0_sel:WORD_1 src1_sel:DWORD
	s_waitcnt lgkmcnt(4)
	v_mul_u32_u24_sdwa v122, v149, v83 dst_sel:DWORD dst_unused:UNUSED_PAD src0_sel:WORD_0 src1_sel:DWORD
	v_mul_u32_u24_sdwa v123, v149, v83 dst_sel:DWORD dst_unused:UNUSED_PAD src0_sel:WORD_1 src1_sel:DWORD
	;; [unrolled: 3-line block ×3, first 2 shown]
	v_pk_fma_f16 v52, v130, v156, v52
	v_pk_fma_f16 v53, v129, v156, v53
	v_mul_u32_u24_sdwa v127, v45, v83 dst_sel:DWORD dst_unused:UNUSED_PAD src0_sel:WORD_0 src1_sel:DWORD
	v_pk_fma_f16 v120, v130, v126, v120
	v_pk_fma_f16 v113, v129, v126, v113
	v_mul_u32_u24_sdwa v126, v45, v83 dst_sel:DWORD dst_unused:UNUSED_PAD src0_sel:WORD_1 src1_sel:DWORD
	v_mul_u32_u24_sdwa v128, v46, v83 dst_sel:DWORD dst_unused:UNUSED_PAD src0_sel:WORD_0 src1_sel:DWORD
	v_mul_u32_u24_sdwa v129, v46, v83 dst_sel:DWORD dst_unused:UNUSED_PAD src0_sel:WORD_1 src1_sel:DWORD
	v_mul_u32_u24_sdwa v130, v47, v83 dst_sel:DWORD dst_unused:UNUSED_PAD src0_sel:WORD_0 src1_sel:DWORD
	v_mul_u32_u24_sdwa v149, v47, v83 dst_sel:DWORD dst_unused:UNUSED_PAD src0_sel:WORD_1 src1_sel:DWORD
	ds_read_b128 v[44:47], v73 offset:272
	ds_read2_b64 v[143:146], v90 offset1:32
	v_mul_u32_u24_sdwa v158, v136, v83 dst_sel:DWORD dst_unused:UNUSED_PAD src0_sel:WORD_0 src1_sel:DWORD
	v_mul_u32_u24_sdwa v136, v136, v83 dst_sel:DWORD dst_unused:UNUSED_PAD src0_sel:WORD_1 src1_sel:DWORD
	s_waitcnt lgkmcnt(4)
	v_pk_fma_f16 v52, v132, v157, v52
	v_pk_fma_f16 v53, v131, v157, v53
	;; [unrolled: 1-line block ×4, first 2 shown]
	v_mul_u32_u24_sdwa v159, v137, v83 dst_sel:DWORD dst_unused:UNUSED_PAD src0_sel:WORD_0 src1_sel:DWORD
	v_mul_u32_u24_sdwa v137, v137, v83 dst_sel:DWORD dst_unused:UNUSED_PAD src0_sel:WORD_1 src1_sel:DWORD
	v_mul_u32_u24_sdwa v155, v147, v83 dst_sel:DWORD dst_unused:UNUSED_PAD src0_sel:WORD_0 src1_sel:DWORD
	v_mul_u32_u24_sdwa v119, v147, v83 dst_sel:DWORD dst_unused:UNUSED_PAD src0_sel:WORD_1 src1_sel:DWORD
	;; [unrolled: 2-line block ×4, first 2 shown]
	s_waitcnt lgkmcnt(3)
	v_mul_u32_u24_sdwa v150, v108, v83 dst_sel:DWORD dst_unused:UNUSED_PAD src0_sel:WORD_0 src1_sel:DWORD
	v_mul_u32_u24_sdwa v131, v108, v83 dst_sel:DWORD dst_unused:UNUSED_PAD src0_sel:WORD_1 src1_sel:DWORD
	v_pk_fma_f16 v52, v134, v158, v52
	v_pk_fma_f16 v53, v133, v158, v53
	v_mul_u32_u24_sdwa v132, v109, v83 dst_sel:DWORD dst_unused:UNUSED_PAD src0_sel:WORD_0 src1_sel:DWORD
	v_pk_fma_f16 v120, v134, v136, v120
	v_pk_fma_f16 v113, v133, v136, v113
	v_mul_u32_u24_sdwa v133, v109, v83 dst_sel:DWORD dst_unused:UNUSED_PAD src0_sel:WORD_1 src1_sel:DWORD
	v_mul_u32_u24_sdwa v134, v110, v83 dst_sel:DWORD dst_unused:UNUSED_PAD src0_sel:WORD_0 src1_sel:DWORD
	v_mul_u32_u24_sdwa v135, v110, v83 dst_sel:DWORD dst_unused:UNUSED_PAD src0_sel:WORD_1 src1_sel:DWORD
	v_mul_u32_u24_sdwa v136, v111, v83 dst_sel:DWORD dst_unused:UNUSED_PAD src0_sel:WORD_0 src1_sel:DWORD
	v_mul_u32_u24_sdwa v156, v111, v83 dst_sel:DWORD dst_unused:UNUSED_PAD src0_sel:WORD_1 src1_sel:DWORD
	ds_read_b128 v[108:111], v73 offset:288
	ds_read2_b64 v[151:154], v90 offset0:64 offset1:96
	v_mul_u32_u24_sdwa v160, v138, v83 dst_sel:DWORD dst_unused:UNUSED_PAD src0_sel:WORD_0 src1_sel:DWORD
	v_mul_u32_u24_sdwa v138, v138, v83 dst_sel:DWORD dst_unused:UNUSED_PAD src0_sel:WORD_1 src1_sel:DWORD
	s_waitcnt lgkmcnt(4)
	v_pk_fma_f16 v52, v140, v159, v52
	v_pk_fma_f16 v53, v139, v159, v53
	;; [unrolled: 1-line block ×4, first 2 shown]
	s_waitcnt lgkmcnt(3)
	v_mul_u32_u24_sdwa v157, v44, v83 dst_sel:DWORD dst_unused:UNUSED_PAD src0_sel:WORD_0 src1_sel:DWORD
	v_mul_u32_u24_sdwa v137, v44, v83 dst_sel:DWORD dst_unused:UNUSED_PAD src0_sel:WORD_1 src1_sel:DWORD
	v_pk_fma_f16 v52, v142, v160, v52
	v_pk_fma_f16 v53, v141, v160, v53
	v_mul_u32_u24_sdwa v139, v45, v83 dst_sel:DWORD dst_unused:UNUSED_PAD src0_sel:WORD_0 src1_sel:DWORD
	v_pk_fma_f16 v120, v142, v138, v120
	v_pk_fma_f16 v113, v141, v138, v113
	v_mul_u32_u24_sdwa v138, v45, v83 dst_sel:DWORD dst_unused:UNUSED_PAD src0_sel:WORD_1 src1_sel:DWORD
	v_mul_u32_u24_sdwa v140, v46, v83 dst_sel:DWORD dst_unused:UNUSED_PAD src0_sel:WORD_0 src1_sel:DWORD
	v_mul_u32_u24_sdwa v141, v46, v83 dst_sel:DWORD dst_unused:UNUSED_PAD src0_sel:WORD_1 src1_sel:DWORD
	v_mul_u32_u24_sdwa v142, v47, v83 dst_sel:DWORD dst_unused:UNUSED_PAD src0_sel:WORD_0 src1_sel:DWORD
	v_mul_u32_u24_sdwa v158, v47, v83 dst_sel:DWORD dst_unused:UNUSED_PAD src0_sel:WORD_1 src1_sel:DWORD
	ds_read_b128 v[44:47], v73 offset:304
	ds_read2_b64 v[48:51], v90 offset0:128 offset1:160
	s_waitcnt lgkmcnt(4)
	v_pk_fma_f16 v52, v144, v155, v52
	v_pk_fma_f16 v53, v143, v155, v53
	;; [unrolled: 1-line block ×4, first 2 shown]
	s_waitcnt lgkmcnt(3)
	v_mul_u32_u24_sdwa v155, v108, v83 dst_sel:DWORD dst_unused:UNUSED_PAD src0_sel:WORD_0 src1_sel:DWORD
	v_mul_u32_u24_sdwa v119, v108, v83 dst_sel:DWORD dst_unused:UNUSED_PAD src0_sel:WORD_1 src1_sel:DWORD
	v_pk_fma_f16 v52, v146, v112, v52
	v_pk_fma_f16 v53, v145, v112, v53
	v_mul_u32_u24_sdwa v112, v109, v83 dst_sel:DWORD dst_unused:UNUSED_PAD src0_sel:WORD_0 src1_sel:DWORD
	v_pk_fma_f16 v120, v146, v121, v120
	v_pk_fma_f16 v113, v145, v121, v113
	v_mul_u32_u24_sdwa v121, v109, v83 dst_sel:DWORD dst_unused:UNUSED_PAD src0_sel:WORD_1 src1_sel:DWORD
	v_mul_u32_u24_sdwa v143, v110, v83 dst_sel:DWORD dst_unused:UNUSED_PAD src0_sel:WORD_0 src1_sel:DWORD
	v_mul_u32_u24_sdwa v144, v110, v83 dst_sel:DWORD dst_unused:UNUSED_PAD src0_sel:WORD_1 src1_sel:DWORD
	v_mul_u32_u24_sdwa v145, v111, v83 dst_sel:DWORD dst_unused:UNUSED_PAD src0_sel:WORD_0 src1_sel:DWORD
	v_mul_u32_u24_sdwa v146, v111, v83 dst_sel:DWORD dst_unused:UNUSED_PAD src0_sel:WORD_1 src1_sel:DWORD
	ds_read_b128 v[108:111], v73 offset:320
	ds_read2_b64 v[100:103], v90 offset0:192 offset1:224
	s_waitcnt lgkmcnt(4)
	v_pk_fma_f16 v52, v152, v122, v52
	v_pk_fma_f16 v53, v151, v122, v53
	;; [unrolled: 1-line block ×4, first 2 shown]
	s_waitcnt lgkmcnt(3)
	v_mul_u32_u24_sdwa v122, v44, v83 dst_sel:DWORD dst_unused:UNUSED_PAD src0_sel:WORD_0 src1_sel:DWORD
	v_mul_u32_u24_sdwa v123, v44, v83 dst_sel:DWORD dst_unused:UNUSED_PAD src0_sel:WORD_1 src1_sel:DWORD
	v_pk_fma_f16 v52, v154, v147, v52
	v_pk_fma_f16 v53, v153, v147, v53
	v_mul_u32_u24_sdwa v147, v45, v83 dst_sel:DWORD dst_unused:UNUSED_PAD src0_sel:WORD_0 src1_sel:DWORD
	v_pk_fma_f16 v120, v154, v148, v120
	v_pk_fma_f16 v113, v153, v148, v113
	v_mul_u32_u24_sdwa v148, v45, v83 dst_sel:DWORD dst_unused:UNUSED_PAD src0_sel:WORD_1 src1_sel:DWORD
	v_mul_u32_u24_sdwa v151, v46, v83 dst_sel:DWORD dst_unused:UNUSED_PAD src0_sel:WORD_0 src1_sel:DWORD
	v_mul_u32_u24_sdwa v152, v46, v83 dst_sel:DWORD dst_unused:UNUSED_PAD src0_sel:WORD_1 src1_sel:DWORD
	v_mul_u32_u24_sdwa v153, v47, v83 dst_sel:DWORD dst_unused:UNUSED_PAD src0_sel:WORD_0 src1_sel:DWORD
	v_mul_u32_u24_sdwa v154, v47, v83 dst_sel:DWORD dst_unused:UNUSED_PAD src0_sel:WORD_1 src1_sel:DWORD
	ds_read_b128 v[44:47], v73 offset:336
	ds_read2_b64 v[104:107], v91 offset1:32
	s_waitcnt lgkmcnt(4)
	v_pk_fma_f16 v52, v49, v124, v52
	v_pk_fma_f16 v53, v48, v124, v53
	;; [unrolled: 1-line block ×4, first 2 shown]
	s_waitcnt lgkmcnt(3)
	v_mul_u32_u24_sdwa v124, v108, v83 dst_sel:DWORD dst_unused:UNUSED_PAD src0_sel:WORD_0 src1_sel:DWORD
	v_mul_u32_u24_sdwa v113, v108, v83 dst_sel:DWORD dst_unused:UNUSED_PAD src0_sel:WORD_1 src1_sel:DWORD
	v_pk_fma_f16 v52, v51, v127, v52
	v_pk_fma_f16 v53, v50, v127, v53
	;; [unrolled: 1-line block ×4, first 2 shown]
	ds_read_b128 v[48:51], v73 offset:352
	ds_read2_b64 v[115:118], v91 offset0:64 offset1:96
	s_waitcnt lgkmcnt(4)
	v_pk_fma_f16 v52, v101, v128, v52
	v_pk_fma_f16 v53, v100, v128, v53
	;; [unrolled: 1-line block ×4, first 2 shown]
	v_mul_u32_u24_sdwa v127, v109, v83 dst_sel:DWORD dst_unused:UNUSED_PAD src0_sel:WORD_0 src1_sel:DWORD
	v_pk_fma_f16 v52, v103, v130, v52
	s_waitcnt lgkmcnt(3)
	v_mul_u32_u24_sdwa v164, v44, v83 dst_sel:DWORD dst_unused:UNUSED_PAD src0_sel:WORD_0 src1_sel:DWORD
	v_mul_u32_u24_sdwa v165, v44, v83 dst_sel:DWORD dst_unused:UNUSED_PAD src0_sel:WORD_1 src1_sel:DWORD
	v_mul_u32_u24_sdwa v166, v45, v83 dst_sel:DWORD dst_unused:UNUSED_PAD src0_sel:WORD_0 src1_sel:DWORD
	v_pk_fma_f16 v101, v103, v149, v101
	v_pk_fma_f16 v100, v102, v149, v100
	v_mul_u32_u24_sdwa v149, v45, v83 dst_sel:DWORD dst_unused:UNUSED_PAD src0_sel:WORD_1 src1_sel:DWORD
	v_mul_u32_u24_sdwa v167, v46, v83 dst_sel:DWORD dst_unused:UNUSED_PAD src0_sel:WORD_0 src1_sel:DWORD
	v_mul_u32_u24_sdwa v168, v46, v83 dst_sel:DWORD dst_unused:UNUSED_PAD src0_sel:WORD_1 src1_sel:DWORD
	v_mul_u32_u24_sdwa v169, v47, v83 dst_sel:DWORD dst_unused:UNUSED_PAD src0_sel:WORD_0 src1_sel:DWORD
	v_mul_u32_u24_sdwa v170, v47, v83 dst_sel:DWORD dst_unused:UNUSED_PAD src0_sel:WORD_1 src1_sel:DWORD
	ds_read_b128 v[44:47], v73 offset:368
	v_pk_fma_f16 v53, v102, v130, v53
	s_waitcnt lgkmcnt(3)
	v_pk_fma_f16 v101, v105, v131, v101
	v_pk_fma_f16 v100, v104, v131, v100
	;; [unrolled: 1-line block ×3, first 2 shown]
	s_waitcnt lgkmcnt(2)
	v_mul_u32_u24_sdwa v171, v48, v83 dst_sel:DWORD dst_unused:UNUSED_PAD src0_sel:WORD_1 src1_sel:DWORD
	v_pk_fma_f16 v53, v104, v150, v53
	v_mul_u32_u24_sdwa v150, v48, v83 dst_sel:DWORD dst_unused:UNUSED_PAD src0_sel:WORD_0 src1_sel:DWORD
	v_mul_u32_u24_sdwa v172, v49, v83 dst_sel:DWORD dst_unused:UNUSED_PAD src0_sel:WORD_0 src1_sel:DWORD
	v_pk_fma_f16 v101, v107, v133, v101
	v_pk_fma_f16 v100, v106, v133, v100
	v_mul_u32_u24_sdwa v173, v49, v83 dst_sel:DWORD dst_unused:UNUSED_PAD src0_sel:WORD_1 src1_sel:DWORD
	v_mul_u32_u24_sdwa v174, v50, v83 dst_sel:DWORD dst_unused:UNUSED_PAD src0_sel:WORD_0 src1_sel:DWORD
	v_mul_u32_u24_sdwa v175, v50, v83 dst_sel:DWORD dst_unused:UNUSED_PAD src0_sel:WORD_1 src1_sel:DWORD
	v_mul_u32_u24_sdwa v176, v51, v83 dst_sel:DWORD dst_unused:UNUSED_PAD src0_sel:WORD_0 src1_sel:DWORD
	v_mul_u32_u24_sdwa v177, v51, v83 dst_sel:DWORD dst_unused:UNUSED_PAD src0_sel:WORD_1 src1_sel:DWORD
	ds_read2_b64 v[48:51], v91 offset0:128 offset1:160
	v_pk_fma_f16 v52, v107, v132, v52
	v_pk_fma_f16 v53, v106, v132, v53
	s_waitcnt lgkmcnt(2)
	v_pk_fma_f16 v101, v116, v135, v101
	v_pk_fma_f16 v100, v115, v135, v100
	s_waitcnt lgkmcnt(1)
	v_mul_u32_u24_sdwa v178, v44, v83 dst_sel:DWORD dst_unused:UNUSED_PAD src0_sel:WORD_0 src1_sel:DWORD
	v_pk_fma_f16 v52, v116, v134, v52
	v_pk_fma_f16 v53, v115, v134, v53
	v_mul_u32_u24_sdwa v179, v44, v83 dst_sel:DWORD dst_unused:UNUSED_PAD src0_sel:WORD_1 src1_sel:DWORD
	v_mul_u32_u24_sdwa v180, v45, v83 dst_sel:DWORD dst_unused:UNUSED_PAD src0_sel:WORD_0 src1_sel:DWORD
	v_pk_fma_f16 v101, v118, v156, v101
	v_pk_fma_f16 v100, v117, v156, v100
	v_mul_u32_u24_sdwa v156, v45, v83 dst_sel:DWORD dst_unused:UNUSED_PAD src0_sel:WORD_1 src1_sel:DWORD
	v_mul_u32_u24_sdwa v181, v46, v83 dst_sel:DWORD dst_unused:UNUSED_PAD src0_sel:WORD_0 src1_sel:DWORD
	v_mul_u32_u24_sdwa v182, v46, v83 dst_sel:DWORD dst_unused:UNUSED_PAD src0_sel:WORD_1 src1_sel:DWORD
	v_mul_u32_u24_sdwa v183, v47, v83 dst_sel:DWORD dst_unused:UNUSED_PAD src0_sel:WORD_0 src1_sel:DWORD
	v_mul_u32_u24_sdwa v184, v47, v83 dst_sel:DWORD dst_unused:UNUSED_PAD src0_sel:WORD_1 src1_sel:DWORD
	ds_read2_b64 v[44:47], v91 offset0:192 offset1:224
	v_pk_fma_f16 v52, v118, v136, v52
	v_pk_fma_f16 v53, v117, v136, v53
	s_waitcnt lgkmcnt(1)
	v_pk_fma_f16 v42, v49, v137, v101
	v_mul_u32_u24_sdwa v159, v109, v83 dst_sel:DWORD dst_unused:UNUSED_PAD src0_sel:WORD_1 src1_sel:DWORD
	v_mul_u32_u24_sdwa v160, v110, v83 dst_sel:DWORD dst_unused:UNUSED_PAD src0_sel:WORD_0 src1_sel:DWORD
	v_pk_fma_f16 v41, v49, v157, v52
	v_pk_fma_f16 v43, v48, v157, v53
	v_pk_fma_f16 v48, v48, v137, v100
	ds_read2_b64 v[100:103], v92 offset1:32
	v_pk_fma_f16 v42, v51, v138, v42
	v_pk_fma_f16 v41, v51, v139, v41
	;; [unrolled: 1-line block ×4, first 2 shown]
	ds_read2_b64 v[48:51], v92 offset0:64 offset1:96
	v_mul_u32_u24_sdwa v161, v110, v83 dst_sel:DWORD dst_unused:UNUSED_PAD src0_sel:WORD_1 src1_sel:DWORD
	v_mul_u32_u24_sdwa v162, v111, v83 dst_sel:DWORD dst_unused:UNUSED_PAD src0_sel:WORD_0 src1_sel:DWORD
	v_mul_u32_u24_sdwa v163, v111, v83 dst_sel:DWORD dst_unused:UNUSED_PAD src0_sel:WORD_1 src1_sel:DWORD
	ds_read2_b64 v[108:111], v93 offset1:32
	s_waitcnt lgkmcnt(3)
	v_pk_fma_f16 v53, v45, v140, v41
	v_pk_fma_f16 v45, v45, v141, v42
	;; [unrolled: 1-line block ×4, first 2 shown]
	ds_read2_b64 v[41:44], v92 offset0:128 offset1:160
	v_pk_fma_f16 v53, v47, v142, v53
	v_pk_fma_f16 v45, v47, v158, v45
	;; [unrolled: 1-line block ×4, first 2 shown]
	ds_read2_b64 v[104:107], v92 offset0:192 offset1:224
	s_waitcnt lgkmcnt(4)
	v_pk_fma_f16 v52, v101, v155, v53
	v_pk_fma_f16 v45, v101, v119, v45
	;; [unrolled: 1-line block ×8, first 2 shown]
	ds_read2_b64 v[100:103], v93 offset0:64 offset1:96
	s_waitcnt lgkmcnt(4)
	v_pk_fma_f16 v52, v49, v143, v52
	v_pk_fma_f16 v49, v49, v144, v45
	;; [unrolled: 1-line block ×4, first 2 shown]
	ds_read2_b64 v[45:48], v93 offset0:128 offset1:160
	v_pk_fma_f16 v115, v51, v145, v52
	v_pk_fma_f16 v116, v51, v146, v49
	;; [unrolled: 1-line block ×4, first 2 shown]
	ds_read2_b64 v[49:52], v93 offset0:192 offset1:224
	s_waitcnt lgkmcnt(4)
	v_pk_fma_f16 v119, v42, v122, v115
	v_pk_fma_f16 v42, v42, v123, v116
	;; [unrolled: 1-line block ×4, first 2 shown]
	ds_read2_b64 v[115:118], v94 offset1:32
	v_pk_fma_f16 v112, v44, v147, v119
	v_pk_fma_f16 v119, v44, v148, v42
	;; [unrolled: 1-line block ×4, first 2 shown]
	ds_read2_b64 v[41:44], v94 offset0:64 offset1:96
	s_waitcnt lgkmcnt(5)
	v_pk_fma_f16 v112, v105, v151, v112
	v_pk_fma_f16 v105, v105, v152, v119
	;; [unrolled: 1-line block ×4, first 2 shown]
	ds_read2_b64 v[119:122], v94 offset0:128 offset1:160
	v_pk_fma_f16 v112, v107, v153, v112
	v_pk_fma_f16 v123, v107, v154, v105
	;; [unrolled: 1-line block ×4, first 2 shown]
	ds_read2_b64 v[104:107], v94 offset0:192 offset1:224
	v_pk_fma_f16 v112, v109, v124, v112
	v_pk_fma_f16 v109, v109, v113, v123
	;; [unrolled: 1-line block ×4, first 2 shown]
	ds_read2_b64 v[123:126], v95 offset1:32
	v_pk_fma_f16 v112, v111, v127, v112
	v_pk_fma_f16 v113, v111, v159, v109
	;; [unrolled: 1-line block ×4, first 2 shown]
	ds_read_b128 v[108:111], v73 offset:384
	s_waitcnt lgkmcnt(8)
	v_pk_fma_f16 v112, v101, v160, v112
	v_pk_fma_f16 v101, v101, v161, v113
	;; [unrolled: 1-line block ×4, first 2 shown]
	ds_read2_b64 v[127:130], v95 offset0:64 offset1:96
	v_pk_fma_f16 v112, v103, v162, v112
	v_pk_fma_f16 v113, v103, v163, v101
	;; [unrolled: 1-line block ×4, first 2 shown]
	ds_read2_b64 v[100:103], v95 offset0:128 offset1:160
	s_waitcnt lgkmcnt(9)
	v_pk_fma_f16 v112, v46, v164, v112
	v_pk_fma_f16 v46, v46, v165, v113
	;; [unrolled: 1-line block ×4, first 2 shown]
	ds_read_b128 v[131:134], v73 offset:400
	v_pk_fma_f16 v112, v48, v166, v112
	v_pk_fma_f16 v113, v48, v149, v46
	;; [unrolled: 1-line block ×4, first 2 shown]
	s_waitcnt lgkmcnt(3)
	v_mul_u32_u24_sdwa v38, v110, v83 dst_sel:DWORD dst_unused:UNUSED_PAD src0_sel:WORD_0 src1_sel:DWORD
	v_pk_fma_f16 v112, v50, v167, v112
	v_pk_fma_f16 v50, v50, v168, v113
	;; [unrolled: 1-line block ×4, first 2 shown]
	v_mul_u32_u24_sdwa v99, v110, v83 dst_sel:DWORD dst_unused:UNUSED_PAD src0_sel:WORD_1 src1_sel:DWORD
	v_pk_fma_f16 v112, v52, v169, v112
	v_pk_fma_f16 v113, v52, v170, v50
	;; [unrolled: 1-line block ×4, first 2 shown]
	ds_read2_b64 v[45:48], v95 offset0:192 offset1:224
	v_pk_fma_f16 v112, v116, v150, v112
	v_pk_fma_f16 v113, v116, v171, v113
	;; [unrolled: 1-line block ×4, first 2 shown]
	v_mul_u32_u24_sdwa v157, v111, v83 dst_sel:DWORD dst_unused:UNUSED_PAD src0_sel:WORD_1 src1_sel:DWORD
	v_pk_fma_f16 v112, v118, v172, v112
	v_pk_fma_f16 v113, v118, v173, v113
	;; [unrolled: 1-line block ×4, first 2 shown]
	ds_read_b128 v[49:52], v73 offset:416
	v_pk_fma_f16 v112, v42, v174, v112
	v_pk_fma_f16 v42, v42, v175, v113
	;; [unrolled: 1-line block ×4, first 2 shown]
	ds_read2_b64 v[135:138], v96 offset1:32
	v_pk_fma_f16 v112, v44, v176, v112
	v_pk_fma_f16 v113, v44, v177, v42
	;; [unrolled: 1-line block ×4, first 2 shown]
	ds_read2_b64 v[139:142], v96 offset0:64 offset1:96
	v_pk_fma_f16 v112, v120, v178, v112
	v_pk_fma_f16 v113, v120, v179, v113
	;; [unrolled: 1-line block ×4, first 2 shown]
	ds_read_b128 v[143:146], v73 offset:432
	v_pk_fma_f16 v112, v122, v180, v112
	v_pk_fma_f16 v113, v122, v156, v113
	;; [unrolled: 1-line block ×4, first 2 shown]
	v_mul_u32_u24_sdwa v156, v108, v83 dst_sel:DWORD dst_unused:UNUSED_PAD src0_sel:WORD_0 src1_sel:DWORD
	v_pk_fma_f16 v112, v105, v181, v112
	v_pk_fma_f16 v105, v105, v182, v113
	;; [unrolled: 1-line block ×4, first 2 shown]
	v_mul_u32_u24_sdwa v108, v108, v83 dst_sel:DWORD dst_unused:UNUSED_PAD src0_sel:WORD_1 src1_sel:DWORD
	v_pk_fma_f16 v112, v107, v183, v112
	v_pk_fma_f16 v113, v107, v184, v105
	;; [unrolled: 1-line block ×4, first 2 shown]
	ds_read_b128 v[119:122], v73 offset:448
	v_pk_fma_f16 v112, v124, v156, v112
	v_pk_fma_f16 v113, v124, v108, v113
	;; [unrolled: 1-line block ×3, first 2 shown]
	v_mul_u32_u24_sdwa v156, v109, v83 dst_sel:DWORD dst_unused:UNUSED_PAD src0_sel:WORD_0 src1_sel:DWORD
	v_pk_fma_f16 v108, v123, v108, v155
	v_mul_u32_u24_sdwa v109, v109, v83 dst_sel:DWORD dst_unused:UNUSED_PAD src0_sel:WORD_1 src1_sel:DWORD
	ds_read2_b64 v[115:118], v96 offset0:128 offset1:160
	ds_read2_b64 v[41:44], v96 offset0:192 offset1:224
	v_pk_fma_f16 v112, v126, v156, v112
	v_pk_fma_f16 v53, v125, v156, v53
	;; [unrolled: 1-line block ×4, first 2 shown]
	v_mul_u32_u24_sdwa v156, v111, v83 dst_sel:DWORD dst_unused:UNUSED_PAD src0_sel:WORD_0 src1_sel:DWORD
	s_waitcnt lgkmcnt(10)
	v_pk_fma_f16 v112, v128, v38, v112
	v_pk_fma_f16 v38, v127, v38, v53
	;; [unrolled: 1-line block ×4, first 2 shown]
	s_waitcnt lgkmcnt(8)
	v_mul_u32_u24_sdwa v53, v131, v83 dst_sel:DWORD dst_unused:UNUSED_PAD src0_sel:WORD_0 src1_sel:DWORD
	v_mul_u32_u24_sdwa v131, v131, v83 dst_sel:DWORD dst_unused:UNUSED_PAD src0_sel:WORD_1 src1_sel:DWORD
	v_pk_fma_f16 v112, v130, v156, v112
	v_pk_fma_f16 v38, v129, v156, v38
	v_pk_fma_f16 v113, v130, v157, v113
	v_pk_fma_f16 v99, v129, v157, v99
	v_mul_u32_u24_sdwa v155, v132, v83 dst_sel:DWORD dst_unused:UNUSED_PAD src0_sel:WORD_0 src1_sel:DWORD
	v_mul_u32_u24_sdwa v132, v132, v83 dst_sel:DWORD dst_unused:UNUSED_PAD src0_sel:WORD_1 src1_sel:DWORD
	v_pk_fma_f16 v112, v101, v53, v112
	v_pk_fma_f16 v38, v100, v53, v38
	v_pk_fma_f16 v101, v101, v131, v113
	v_pk_fma_f16 v99, v100, v131, v99
	;; [unrolled: 6-line block ×3, first 2 shown]
	v_mul_u32_u24_sdwa v157, v134, v83 dst_sel:DWORD dst_unused:UNUSED_PAD src0_sel:WORD_0 src1_sel:DWORD
	v_mul_u32_u24_sdwa v134, v134, v83 dst_sel:DWORD dst_unused:UNUSED_PAD src0_sel:WORD_1 src1_sel:DWORD
	s_waitcnt lgkmcnt(7)
	v_pk_fma_f16 v112, v46, v156, v112
	v_pk_fma_f16 v38, v45, v156, v38
	;; [unrolled: 1-line block ×4, first 2 shown]
	s_waitcnt lgkmcnt(6)
	v_mul_u32_u24_sdwa v53, v49, v83 dst_sel:DWORD dst_unused:UNUSED_PAD src0_sel:WORD_0 src1_sel:DWORD
	v_mul_u32_u24_sdwa v100, v49, v83 dst_sel:DWORD dst_unused:UNUSED_PAD src0_sel:WORD_1 src1_sel:DWORD
	v_pk_fma_f16 v99, v48, v157, v112
	v_pk_fma_f16 v38, v47, v157, v38
	;; [unrolled: 1-line block ×4, first 2 shown]
	v_mul_u32_u24_sdwa v113, v50, v83 dst_sel:DWORD dst_unused:UNUSED_PAD src0_sel:WORD_0 src1_sel:DWORD
	v_mul_u32_u24_sdwa v102, v50, v83 dst_sel:DWORD dst_unused:UNUSED_PAD src0_sel:WORD_1 src1_sel:DWORD
	s_waitcnt lgkmcnt(5)
	v_pk_fma_f16 v99, v136, v53, v99
	v_pk_fma_f16 v38, v135, v53, v38
	;; [unrolled: 1-line block ×4, first 2 shown]
	ds_read_b128 v[123:126], v73 offset:464
	v_mul_u32_u24_sdwa v103, v51, v83 dst_sel:DWORD dst_unused:UNUSED_PAD src0_sel:WORD_0 src1_sel:DWORD
	v_mul_u32_u24_sdwa v131, v51, v83 dst_sel:DWORD dst_unused:UNUSED_PAD src0_sel:WORD_1 src1_sel:DWORD
	s_waitcnt lgkmcnt(3)
	v_mul_u32_u24_sdwa v53, v119, v83 dst_sel:DWORD dst_unused:UNUSED_PAD src0_sel:WORD_0 src1_sel:DWORD
	v_mul_u32_u24_sdwa v135, v119, v83 dst_sel:DWORD dst_unused:UNUSED_PAD src0_sel:WORD_1 src1_sel:DWORD
	v_pk_fma_f16 v112, v138, v113, v99
	v_pk_fma_f16 v38, v137, v113, v38
	v_pk_fma_f16 v113, v138, v102, v101
	v_pk_fma_f16 v119, v137, v102, v100
	v_mul_u32_u24_sdwa v132, v52, v83 dst_sel:DWORD dst_unused:UNUSED_PAD src0_sel:WORD_0 src1_sel:DWORD
	v_mul_u32_u24_sdwa v155, v52, v83 dst_sel:DWORD dst_unused:UNUSED_PAD src0_sel:WORD_1 src1_sel:DWORD
	v_pk_fma_f16 v112, v140, v103, v112
	v_pk_fma_f16 v38, v139, v103, v38
	v_pk_fma_f16 v113, v140, v131, v113
	v_pk_fma_f16 v119, v139, v131, v119
	;; [unrolled: 6-line block ×3, first 2 shown]
	v_mov_b32_e32 v38, v185
	ds_read2_b64 v[147:150], v97 offset1:32
	v_mul_u32_u24_sdwa v143, v144, v83 dst_sel:DWORD dst_unused:UNUSED_PAD src0_sel:WORD_0 src1_sel:DWORD
	v_mul_u32_u24_sdwa v134, v144, v83 dst_sel:DWORD dst_unused:UNUSED_PAD src0_sel:WORD_1 src1_sel:DWORD
	s_waitcnt lgkmcnt(3)
	v_pk_fma_f16 v131, v115, v156, v131
	v_fmac_f32_e32 v38, v114, v39
	v_pk_fma_f16 v39, v116, v156, v112
	v_pk_fma_f16 v116, v116, v133, v113
	;; [unrolled: 1-line block ×3, first 2 shown]
	v_mul_u32_u24_sdwa v144, v145, v83 dst_sel:DWORD dst_unused:UNUSED_PAD src0_sel:WORD_0 src1_sel:DWORD
	v_mul_u32_u24_sdwa v145, v145, v83 dst_sel:DWORD dst_unused:UNUSED_PAD src0_sel:WORD_1 src1_sel:DWORD
	v_pk_fma_f16 v39, v118, v143, v39
	v_pk_fma_f16 v116, v118, v134, v116
	;; [unrolled: 1-line block ×4, first 2 shown]
	ds_read2_b64 v[151:154], v97 offset0:64 offset1:96
	v_mul_u32_u24_sdwa v157, v146, v83 dst_sel:DWORD dst_unused:UNUSED_PAD src0_sel:WORD_0 src1_sel:DWORD
	v_mul_u32_u24_sdwa v146, v146, v83 dst_sel:DWORD dst_unused:UNUSED_PAD src0_sel:WORD_1 src1_sel:DWORD
	s_waitcnt lgkmcnt(3)
	v_pk_fma_f16 v39, v42, v144, v39
	v_pk_fma_f16 v42, v42, v145, v116
	;; [unrolled: 1-line block ×4, first 2 shown]
	ds_read2_b64 v[104:107], v97 offset0:128 offset1:160
	v_pk_fma_f16 v39, v44, v157, v39
	v_pk_fma_f16 v42, v44, v146, v42
	;; [unrolled: 1-line block ×4, first 2 shown]
	v_mul_u32_u24_sdwa v136, v120, v83 dst_sel:DWORD dst_unused:UNUSED_PAD src0_sel:WORD_0 src1_sel:DWORD
	v_mul_u32_u24_sdwa v137, v120, v83 dst_sel:DWORD dst_unused:UNUSED_PAD src0_sel:WORD_1 src1_sel:DWORD
	s_waitcnt lgkmcnt(2)
	v_pk_fma_f16 v39, v148, v53, v39
	v_pk_fma_f16 v42, v148, v135, v42
	;; [unrolled: 1-line block ×4, first 2 shown]
	v_mul_u32_u24_sdwa v138, v121, v83 dst_sel:DWORD dst_unused:UNUSED_PAD src0_sel:WORD_0 src1_sel:DWORD
	v_mul_u32_u24_sdwa v158, v121, v83 dst_sel:DWORD dst_unused:UNUSED_PAD src0_sel:WORD_1 src1_sel:DWORD
	v_pk_fma_f16 v39, v150, v136, v39
	v_pk_fma_f16 v42, v150, v137, v42
	;; [unrolled: 1-line block ×4, first 2 shown]
	ds_read2_b64 v[108:111], v97 offset0:192 offset1:224
	v_mul_u32_u24_sdwa v159, v122, v83 dst_sel:DWORD dst_unused:UNUSED_PAD src0_sel:WORD_0 src1_sel:DWORD
	v_mul_u32_u24_sdwa v160, v122, v83 dst_sel:DWORD dst_unused:UNUSED_PAD src0_sel:WORD_1 src1_sel:DWORD
	s_waitcnt lgkmcnt(2)
	v_pk_fma_f16 v39, v152, v138, v39
	v_pk_fma_f16 v42, v152, v158, v42
	;; [unrolled: 1-line block ×4, first 2 shown]
	ds_read_b128 v[49:52], v73 offset:480
	ds_read_b128 v[119:122], v73 offset:496
	v_mul_u32_u24_sdwa v103, v123, v83 dst_sel:DWORD dst_unused:UNUSED_PAD src0_sel:WORD_0 src1_sel:DWORD
	v_mul_u32_u24_sdwa v123, v123, v83 dst_sel:DWORD dst_unused:UNUSED_PAD src0_sel:WORD_1 src1_sel:DWORD
	v_pk_fma_f16 v39, v154, v159, v39
	v_pk_fma_f16 v42, v154, v160, v42
	;; [unrolled: 1-line block ×4, first 2 shown]
	ds_read2_b64 v[127:130], v98 offset1:32
	v_mul_u32_u24_sdwa v132, v124, v83 dst_sel:DWORD dst_unused:UNUSED_PAD src0_sel:WORD_0 src1_sel:DWORD
	v_mul_u32_u24_sdwa v124, v124, v83 dst_sel:DWORD dst_unused:UNUSED_PAD src0_sel:WORD_1 src1_sel:DWORD
	s_waitcnt lgkmcnt(4)
	v_pk_fma_f16 v39, v105, v103, v39
	v_pk_fma_f16 v42, v105, v123, v42
	;; [unrolled: 1-line block ×4, first 2 shown]
	v_mul_u32_u24_sdwa v140, v125, v83 dst_sel:DWORD dst_unused:UNUSED_PAD src0_sel:WORD_0 src1_sel:DWORD
	v_mul_u32_u24_sdwa v125, v125, v83 dst_sel:DWORD dst_unused:UNUSED_PAD src0_sel:WORD_1 src1_sel:DWORD
	v_pk_fma_f16 v39, v107, v132, v39
	v_pk_fma_f16 v42, v107, v124, v42
	;; [unrolled: 1-line block ×4, first 2 shown]
	ds_read2_b64 v[45:48], v98 offset0:64 offset1:96
	v_mul_u32_u24_sdwa v141, v126, v83 dst_sel:DWORD dst_unused:UNUSED_PAD src0_sel:WORD_0 src1_sel:DWORD
	v_mul_u32_u24_sdwa v126, v126, v83 dst_sel:DWORD dst_unused:UNUSED_PAD src0_sel:WORD_1 src1_sel:DWORD
	s_waitcnt lgkmcnt(4)
	v_pk_fma_f16 v39, v109, v140, v39
	v_pk_fma_f16 v42, v109, v125, v42
	v_pk_fma_f16 v44, v108, v140, v44
	v_pk_fma_f16 v41, v108, v125, v41
	s_waitcnt lgkmcnt(3)
	v_mul_u32_u24_sdwa v131, v49, v83 dst_sel:DWORD dst_unused:UNUSED_PAD src0_sel:WORD_0 src1_sel:DWORD
	v_mul_u32_u24_sdwa v49, v49, v83 dst_sel:DWORD dst_unused:UNUSED_PAD src0_sel:WORD_1 src1_sel:DWORD
	v_pk_fma_f16 v39, v111, v141, v39
	v_pk_fma_f16 v42, v111, v126, v42
	;; [unrolled: 1-line block ×4, first 2 shown]
	ds_read2_b64 v[99:102], v98 offset0:128 offset1:160
	v_mul_u32_u24_sdwa v43, v50, v83 dst_sel:DWORD dst_unused:UNUSED_PAD src0_sel:WORD_0 src1_sel:DWORD
	v_mul_u32_u24_sdwa v50, v50, v83 dst_sel:DWORD dst_unused:UNUSED_PAD src0_sel:WORD_1 src1_sel:DWORD
	s_waitcnt lgkmcnt(2)
	v_pk_fma_f16 v39, v128, v131, v39
	v_pk_fma_f16 v42, v128, v49, v42
	;; [unrolled: 1-line block ×4, first 2 shown]
	v_mul_u32_u24_sdwa v53, v51, v83 dst_sel:DWORD dst_unused:UNUSED_PAD src0_sel:WORD_0 src1_sel:DWORD
	v_mul_u32_u24_sdwa v51, v51, v83 dst_sel:DWORD dst_unused:UNUSED_PAD src0_sel:WORD_1 src1_sel:DWORD
	v_pk_fma_f16 v39, v130, v43, v39
	v_pk_fma_f16 v42, v130, v50, v42
	;; [unrolled: 1-line block ×4, first 2 shown]
	ds_read2_b64 v[112:115], v98 offset0:192 offset1:224
	v_mul_u32_u24_sdwa v116, v52, v83 dst_sel:DWORD dst_unused:UNUSED_PAD src0_sel:WORD_0 src1_sel:DWORD
	v_mul_u32_u24_sdwa v52, v52, v83 dst_sel:DWORD dst_unused:UNUSED_PAD src0_sel:WORD_1 src1_sel:DWORD
	s_waitcnt lgkmcnt(2)
	v_pk_fma_f16 v39, v46, v53, v39
	v_pk_fma_f16 v42, v46, v51, v42
	;; [unrolled: 1-line block ×4, first 2 shown]
	s_waitcnt lgkmcnt(0)
	s_barrier
	buffer_gl0_inv
	s_load_dword s0, s[12:13], 0x4
	v_mul_u32_u24_sdwa v103, v119, v83 dst_sel:DWORD dst_unused:UNUSED_PAD src0_sel:WORD_0 src1_sel:DWORD
	v_mul_u32_u24_sdwa v104, v119, v83 dst_sel:DWORD dst_unused:UNUSED_PAD src0_sel:WORD_1 src1_sel:DWORD
	v_pk_fma_f16 v39, v48, v116, v39
	v_pk_fma_f16 v42, v48, v52, v42
	v_pk_fma_f16 v43, v47, v116, v43
	v_pk_fma_f16 v41, v47, v52, v41
	v_mul_u32_u24_sdwa v105, v120, v83 dst_sel:DWORD dst_unused:UNUSED_PAD src0_sel:WORD_0 src1_sel:DWORD
	v_mul_u32_u24_sdwa v49, v120, v83 dst_sel:DWORD dst_unused:UNUSED_PAD src0_sel:WORD_1 src1_sel:DWORD
	v_pk_fma_f16 v39, v100, v103, v39
	v_pk_fma_f16 v42, v100, v104, v42
	v_pk_fma_f16 v43, v99, v103, v43
	v_pk_fma_f16 v41, v99, v104, v41
	;; [unrolled: 6-line block ×4, first 2 shown]
	s_waitcnt lgkmcnt(0)
	s_lshl_b32 s0, s0, 7
	v_pk_fma_f16 v103, v115, v46, v39
	v_pk_fma_f16 v100, v115, v47, v42
	;; [unrolled: 1-line block ×4, first 2 shown]
	s_add_i32 s14, s0, s14
	s_cmp_ge_i32 s14, s34
	s_cbranch_scc0 .LBB40_9
; %bb.10:
	v_mov_b32_e32 v4, v57
.LBB40_11:
	v_cmp_lt_i32_e32 vcc_lo, v63, v58
	s_cmp_lg_u64 s[16:17], 0
	s_cselect_b32 s0, -1, 0
	s_cmp_eq_u32 s28, 0
	v_cndmask_b32_e32 v1, v4, v63, vcc_lo
	v_cmp_lt_i32_e32 vcc_lo, v62, v58
	s_cselect_b32 s1, -1, 0
	s_and_b32 s0, s1, s0
	v_lshlrev_b32_e32 v1, 2, v1
	v_cndmask_b32_e32 v5, v4, v62, vcc_lo
	v_cmp_lt_i32_e32 vcc_lo, v61, v58
	ds_bpermute_b32 v3, v1, v40
	ds_bpermute_b32 v1, v1, v38
	v_lshlrev_b32_e32 v5, 2, v5
	v_cndmask_b32_e32 v7, v4, v61, vcc_lo
	v_cmp_lt_i32_e32 vcc_lo, v60, v58
	v_lshlrev_b32_e32 v7, 2, v7
	s_waitcnt lgkmcnt(1)
	v_add_f32_e32 v3, v40, v3
	s_waitcnt lgkmcnt(0)
	v_add_f32_e32 v1, v38, v1
	ds_bpermute_b32 v6, v5, v3
	ds_bpermute_b32 v5, v5, v1
	s_waitcnt lgkmcnt(1)
	v_add_f32_e32 v3, v3, v6
	s_waitcnt lgkmcnt(0)
	v_add_f32_e32 v1, v1, v5
	ds_bpermute_b32 v5, v7, v3
	ds_bpermute_b32 v6, v7, v1
	v_cndmask_b32_e32 v7, v4, v60, vcc_lo
	v_cmp_lt_i32_e32 vcc_lo, v59, v58
	v_lshlrev_b32_e32 v7, 2, v7
	v_cndmask_b32_e32 v4, v4, v59, vcc_lo
	s_and_b32 vcc_lo, exec_lo, s0
	v_lshlrev_b32_e32 v4, 2, v4
	s_waitcnt lgkmcnt(1)
	v_add_f32_e32 v3, v3, v5
	s_waitcnt lgkmcnt(0)
	v_add_f32_e32 v1, v1, v6
	ds_bpermute_b32 v5, v7, v3
	ds_bpermute_b32 v6, v7, v1
	s_waitcnt lgkmcnt(1)
	v_add_f32_e32 v3, v3, v5
	s_waitcnt lgkmcnt(0)
	v_add_f32_e32 v1, v1, v6
	ds_bpermute_b32 v5, v4, v3
	ds_bpermute_b32 v4, v4, v1
	s_waitcnt lgkmcnt(1)
	v_add_f32_e32 v3, v3, v5
	s_waitcnt lgkmcnt(0)
	v_add_f32_e32 v4, v1, v4
	s_cbranch_vccz .LBB40_14
; %bb.12:
	s_ashr_i32 s31, s30, 31
	v_mov_b32_e32 v1, 0
	s_lshl_b64 s[0:1], s[30:31], 2
	v_max_f32_e32 v8, v37, v37
	s_add_u32 s0, s16, s0
	s_addc_u32 s1, s17, s1
	global_load_dwordx2 v[5:6], v1, s[0:1]
	v_max_f32_e32 v1, v36, v36
	s_waitcnt vmcnt(0)
	v_max_f32_e32 v7, v5, v5
	v_max_f32_e32 v9, v6, v6
	;; [unrolled: 1-line block ×4, first 2 shown]
	v_sub_f32_e32 v1, v36, v7
	v_sub_f32_e32 v9, v37, v8
	;; [unrolled: 1-line block ×4, first 2 shown]
	v_mov_b32_e32 v37, v8
	v_mul_f32_e32 v10, 0x3fb8aa3b, v1
	v_mul_f32_e32 v12, 0x3fb8aa3b, v9
	;; [unrolled: 1-line block ×4, first 2 shown]
	v_cmp_ngt_f32_e32 vcc_lo, 0xc2ce8ed0, v1
	v_fma_f32 v14, 0x3fb8aa3b, v1, -v10
	v_rndne_f32_e32 v15, v10
	v_fma_f32 v18, 0x3fb8aa3b, v9, -v12
	v_rndne_f32_e32 v19, v12
	v_fma_f32 v16, 0x3fb8aa3b, v5, -v11
	v_fmac_f32_e32 v14, 0x32a5705f, v1
	v_sub_f32_e32 v10, v10, v15
	v_rndne_f32_e32 v17, v11
	v_fmac_f32_e32 v18, 0x32a5705f, v9
	v_sub_f32_e32 v12, v12, v19
	v_fmac_f32_e32 v16, 0x32a5705f, v5
	v_add_f32_e32 v10, v10, v14
	v_sub_f32_e32 v11, v11, v17
	v_cvt_i32_f32_e32 v14, v15
	v_add_f32_e32 v12, v12, v18
	v_fma_f32 v20, 0x3fb8aa3b, v6, -v13
	v_exp_f32_e32 v10, v10
	v_add_f32_e32 v11, v11, v16
	v_rndne_f32_e32 v21, v13
	v_exp_f32_e32 v12, v12
	v_cvt_i32_f32_e32 v16, v19
	v_fmac_f32_e32 v20, 0x32a5705f, v6
	v_exp_f32_e32 v11, v11
	v_sub_f32_e32 v13, v13, v21
	v_cvt_i32_f32_e32 v15, v17
	v_cvt_i32_f32_e32 v17, v21
	v_ldexp_f32 v10, v10, v14
	v_mov_b32_e32 v18, 0x10001
	v_add_f32_e32 v13, v13, v20
	v_ldexp_f32 v12, v12, v16
	v_mov_b32_e32 v36, v7
	v_cndmask_b32_e32 v10, 0, v10, vcc_lo
	v_cmp_ngt_f32_e32 vcc_lo, 0xc2ce8ed0, v9
	v_ldexp_f32 v11, v11, v15
	v_exp_f32_e32 v13, v13
	v_cndmask_b32_e32 v12, 0, v12, vcc_lo
	v_cmp_ngt_f32_e32 vcc_lo, 0xc2ce8ed0, v5
	v_cndmask_b32_e32 v11, 0, v11, vcc_lo
	v_cmp_nlt_f32_e32 vcc_lo, 0x42b17218, v1
	v_ldexp_f32 v13, v13, v17
	v_cndmask_b32_e32 v1, 0x7f800000, v10, vcc_lo
	v_cmp_nlt_f32_e32 vcc_lo, 0x42b17218, v9
	v_cndmask_b32_e32 v9, 0x7f800000, v12, vcc_lo
	v_cmp_ngt_f32_e32 vcc_lo, 0xc2ce8ed0, v6
	v_cvt_f16_f32_e32 v12, v9
	v_cndmask_b32_e32 v10, 0, v13, vcc_lo
	v_cmp_nlt_f32_e32 vcc_lo, 0x42b17218, v5
	v_mul_u32_u24_sdwa v7, v12, v18 dst_sel:DWORD dst_unused:UNUSED_PAD src0_sel:WORD_0 src1_sel:DWORD
	v_cndmask_b32_e32 v5, 0x7f800000, v11, vcc_lo
	v_cmp_nlt_f32_e32 vcc_lo, 0x42b17218, v6
	v_cvt_f16_f32_e32 v11, v1
	v_pk_mul_f16 v101, v101, v7
	v_pk_mul_f16 v100, v100, v7
	v_fmac_f32_e32 v5, v3, v1
	v_cndmask_b32_e32 v6, 0x7f800000, v10, vcc_lo
	v_mul_u32_u24_sdwa v1, v11, v18 dst_sel:DWORD dst_unused:UNUSED_PAD src0_sel:WORD_0 src1_sel:DWORD
	v_mov_b32_e32 v3, v5
	v_fmac_f32_e32 v6, v4, v9
	v_pk_mul_f16 v102, v102, v1
	v_pk_mul_f16 v103, v103, v1
	v_mov_b32_e32 v4, v6
	s_mov_b32 s0, exec_lo
	v_cmpx_gt_i32_e64 s26, v2
	s_cbranch_execnz .LBB40_15
.LBB40_13:
	s_endpgm
.LBB40_14:
	v_mov_b32_e32 v6, v4
	v_mov_b32_e32 v5, v3
	s_mov_b32 s0, exec_lo
	v_cmpx_gt_i32_e64 s26, v2
	s_cbranch_execz .LBB40_13
.LBB40_15:
	s_load_dword s1, s[4:5], 0xd4
	v_mov_b32_e32 v7, 1.0
	s_waitcnt lgkmcnt(0)
	s_cmp_lg_u32 s1, 1
	s_cselect_b32 s3, -1, 0
	s_cmp_eq_u32 s1, 1
	s_cselect_b32 s2, -1, 0
	s_and_b32 vcc_lo, exec_lo, s3
	s_cbranch_vccnz .LBB40_17
; %bb.16:
	v_div_scale_f32 v1, null, v3, v3, 1.0
	v_rcp_f32_e32 v7, v1
	v_fma_f32 v8, -v1, v7, 1.0
	v_fmac_f32_e32 v7, v8, v7
	v_div_scale_f32 v8, vcc_lo, 1.0, v3, 1.0
	v_mul_f32_e32 v9, v8, v7
	v_fma_f32 v10, -v1, v9, v8
	v_fmac_f32_e32 v9, v10, v7
	v_fma_f32 v1, -v1, v9, v8
	v_div_fmas_f32 v1, v1, v7, v9
	v_div_fixup_f32 v7, v1, v3, 1.0
.LBB40_17:
	v_mad_u64_u32 v[1:2], null, s29, s26, v[2:3]
	v_mov_b32_e32 v3, 0
	v_cmp_eq_u32_e32 vcc_lo, 0, v0
	v_cvt_f32_f16_e32 v0, v102
	v_cvt_f32_f16_sdwa v9, v102 dst_sel:DWORD dst_unused:UNUSED_PAD src0_sel:WORD_1
	v_cvt_f32_f16_e32 v10, v103
	v_cvt_f32_f16_sdwa v11, v103 dst_sel:DWORD dst_unused:UNUSED_PAD src0_sel:WORD_1
	v_mad_u64_u32 v[1:2], null, v1, s27, s[30:31]
	v_mul_f32_e32 v8, v7, v0
	v_mul_f32_e32 v9, v7, v9
	;; [unrolled: 1-line block ×4, first 2 shown]
	v_mad_u64_u32 v[1:2], null, s1, v1, s[28:29]
	v_lshl_add_u32 v2, v1, 7, v54
	v_lshlrev_b64 v[2:3], 2, v[2:3]
	v_add_co_u32 v2, s0, s20, v2
	v_add_co_ci_u32_e64 v3, null, s21, v3, s0
	s_and_b32 s0, vcc_lo, s3
	global_store_dwordx4 v[2:3], v[8:11], off
	s_and_saveexec_b32 s3, s0
	s_cbranch_execz .LBB40_19
; %bb.18:
	v_ashrrev_i32_e32 v2, 31, v1
	v_mov_b32_e32 v7, v36
	v_mov_b32_e32 v8, v5
	v_lshlrev_b64 v[2:3], 3, v[1:2]
	v_add_co_u32 v2, vcc_lo, s22, v2
	v_add_co_ci_u32_e64 v3, null, s23, v3, vcc_lo
	global_store_dwordx2 v[2:3], v[7:8], off
.LBB40_19:
	s_or_b32 exec_lo, exec_lo, s3
	v_mov_b32_e32 v2, 1.0
	s_andn2_b32 vcc_lo, exec_lo, s2
	s_cbranch_vccnz .LBB40_21
; %bb.20:
	v_div_scale_f32 v0, null, v4, v4, 1.0
	v_rcp_f32_e32 v2, v0
	v_fma_f32 v3, -v0, v2, 1.0
	v_fmac_f32_e32 v2, v3, v2
	v_div_scale_f32 v3, vcc_lo, 1.0, v4, 1.0
	v_mul_f32_e32 v5, v3, v2
	v_fma_f32 v7, -v0, v5, v3
	v_fmac_f32_e32 v5, v7, v2
	v_fma_f32 v0, -v0, v5, v3
	v_div_fmas_f32 v0, v0, v2, v5
	v_div_fixup_f32 v2, v0, v4, 1.0
.LBB40_21:
	v_add_nc_u32_e32 v0, s1, v1
	v_mov_b32_e32 v4, 0
	v_cvt_f32_f16_e32 v1, v101
	v_cvt_f32_f16_sdwa v5, v101 dst_sel:DWORD dst_unused:UNUSED_PAD src0_sel:WORD_1
	v_cvt_f32_f16_e32 v9, v100
	v_lshl_add_u32 v3, v0, 7, v54
	v_cvt_f32_f16_sdwa v10, v100 dst_sel:DWORD dst_unused:UNUSED_PAD src0_sel:WORD_1
	v_mul_f32_e32 v7, v2, v1
	v_mul_f32_e32 v8, v2, v5
	v_mul_f32_e32 v9, v2, v9
	v_lshlrev_b64 v[3:4], 2, v[3:4]
	v_mul_f32_e32 v10, v2, v10
	v_add_co_u32 v1, vcc_lo, s20, v3
	v_add_co_ci_u32_e64 v2, null, s21, v4, vcc_lo
	global_store_dwordx4 v[1:2], v[7:10], off
	s_and_b32 exec_lo, exec_lo, s0
	s_cbranch_execz .LBB40_13
; %bb.22:
	v_ashrrev_i32_e32 v1, 31, v0
	v_mov_b32_e32 v5, v37
	v_lshlrev_b64 v[0:1], 3, v[0:1]
	v_add_co_u32 v0, vcc_lo, s22, v0
	v_add_co_ci_u32_e64 v1, null, s23, v1, vcc_lo
	global_store_dwordx2 v[0:1], v[5:6], off
	s_endpgm
	.section	.rodata,"a",@progbits
	.p2align	6, 0x0
	.amdhsa_kernel _ZL15flash_attn_tileILi128ELi128ELi8ELi2ELb0EEvPKcS1_S1_S1_S1_PKiPfP15HIP_vector_typeIfLj2EEffffjfiS5_IjLj3EEiiiiiiiiiiiliiliiiiil
		.amdhsa_group_segment_fixed_size 43008
		.amdhsa_private_segment_fixed_size 0
		.amdhsa_kernarg_size 464
		.amdhsa_user_sgpr_count 6
		.amdhsa_user_sgpr_private_segment_buffer 1
		.amdhsa_user_sgpr_dispatch_ptr 0
		.amdhsa_user_sgpr_queue_ptr 0
		.amdhsa_user_sgpr_kernarg_segment_ptr 1
		.amdhsa_user_sgpr_dispatch_id 0
		.amdhsa_user_sgpr_flat_scratch_init 0
		.amdhsa_user_sgpr_private_segment_size 0
		.amdhsa_wavefront_size32 1
		.amdhsa_uses_dynamic_stack 0
		.amdhsa_system_sgpr_private_segment_wavefront_offset 0
		.amdhsa_system_sgpr_workgroup_id_x 1
		.amdhsa_system_sgpr_workgroup_id_y 1
		.amdhsa_system_sgpr_workgroup_id_z 1
		.amdhsa_system_sgpr_workgroup_info 0
		.amdhsa_system_vgpr_workitem_id 1
		.amdhsa_next_free_vgpr 186
		.amdhsa_next_free_sgpr 40
		.amdhsa_reserve_vcc 1
		.amdhsa_reserve_flat_scratch 0
		.amdhsa_float_round_mode_32 0
		.amdhsa_float_round_mode_16_64 0
		.amdhsa_float_denorm_mode_32 3
		.amdhsa_float_denorm_mode_16_64 3
		.amdhsa_dx10_clamp 1
		.amdhsa_ieee_mode 1
		.amdhsa_fp16_overflow 0
		.amdhsa_workgroup_processor_mode 1
		.amdhsa_memory_ordered 1
		.amdhsa_forward_progress 1
		.amdhsa_shared_vgpr_count 0
		.amdhsa_exception_fp_ieee_invalid_op 0
		.amdhsa_exception_fp_denorm_src 0
		.amdhsa_exception_fp_ieee_div_zero 0
		.amdhsa_exception_fp_ieee_overflow 0
		.amdhsa_exception_fp_ieee_underflow 0
		.amdhsa_exception_fp_ieee_inexact 0
		.amdhsa_exception_int_div_zero 0
	.end_amdhsa_kernel
	.section	.text._ZL15flash_attn_tileILi128ELi128ELi8ELi2ELb0EEvPKcS1_S1_S1_S1_PKiPfP15HIP_vector_typeIfLj2EEffffjfiS5_IjLj3EEiiiiiiiiiiiliiliiiiil,"axG",@progbits,_ZL15flash_attn_tileILi128ELi128ELi8ELi2ELb0EEvPKcS1_S1_S1_S1_PKiPfP15HIP_vector_typeIfLj2EEffffjfiS5_IjLj3EEiiiiiiiiiiiliiliiiiil,comdat
.Lfunc_end40:
	.size	_ZL15flash_attn_tileILi128ELi128ELi8ELi2ELb0EEvPKcS1_S1_S1_S1_PKiPfP15HIP_vector_typeIfLj2EEffffjfiS5_IjLj3EEiiiiiiiiiiiliiliiiiil, .Lfunc_end40-_ZL15flash_attn_tileILi128ELi128ELi8ELi2ELb0EEvPKcS1_S1_S1_S1_PKiPfP15HIP_vector_typeIfLj2EEffffjfiS5_IjLj3EEiiiiiiiiiiiliiliiiiil
                                        ; -- End function
	.set _ZL15flash_attn_tileILi128ELi128ELi8ELi2ELb0EEvPKcS1_S1_S1_S1_PKiPfP15HIP_vector_typeIfLj2EEffffjfiS5_IjLj3EEiiiiiiiiiiiliiliiiiil.num_vgpr, 186
	.set _ZL15flash_attn_tileILi128ELi128ELi8ELi2ELb0EEvPKcS1_S1_S1_S1_PKiPfP15HIP_vector_typeIfLj2EEffffjfiS5_IjLj3EEiiiiiiiiiiiliiliiiiil.num_agpr, 0
	.set _ZL15flash_attn_tileILi128ELi128ELi8ELi2ELb0EEvPKcS1_S1_S1_S1_PKiPfP15HIP_vector_typeIfLj2EEffffjfiS5_IjLj3EEiiiiiiiiiiiliiliiiiil.numbered_sgpr, 40
	.set _ZL15flash_attn_tileILi128ELi128ELi8ELi2ELb0EEvPKcS1_S1_S1_S1_PKiPfP15HIP_vector_typeIfLj2EEffffjfiS5_IjLj3EEiiiiiiiiiiiliiliiiiil.num_named_barrier, 0
	.set _ZL15flash_attn_tileILi128ELi128ELi8ELi2ELb0EEvPKcS1_S1_S1_S1_PKiPfP15HIP_vector_typeIfLj2EEffffjfiS5_IjLj3EEiiiiiiiiiiiliiliiiiil.private_seg_size, 0
	.set _ZL15flash_attn_tileILi128ELi128ELi8ELi2ELb0EEvPKcS1_S1_S1_S1_PKiPfP15HIP_vector_typeIfLj2EEffffjfiS5_IjLj3EEiiiiiiiiiiiliiliiiiil.uses_vcc, 1
	.set _ZL15flash_attn_tileILi128ELi128ELi8ELi2ELb0EEvPKcS1_S1_S1_S1_PKiPfP15HIP_vector_typeIfLj2EEffffjfiS5_IjLj3EEiiiiiiiiiiiliiliiiiil.uses_flat_scratch, 0
	.set _ZL15flash_attn_tileILi128ELi128ELi8ELi2ELb0EEvPKcS1_S1_S1_S1_PKiPfP15HIP_vector_typeIfLj2EEffffjfiS5_IjLj3EEiiiiiiiiiiiliiliiiiil.has_dyn_sized_stack, 0
	.set _ZL15flash_attn_tileILi128ELi128ELi8ELi2ELb0EEvPKcS1_S1_S1_S1_PKiPfP15HIP_vector_typeIfLj2EEffffjfiS5_IjLj3EEiiiiiiiiiiiliiliiiiil.has_recursion, 0
	.set _ZL15flash_attn_tileILi128ELi128ELi8ELi2ELb0EEvPKcS1_S1_S1_S1_PKiPfP15HIP_vector_typeIfLj2EEffffjfiS5_IjLj3EEiiiiiiiiiiiliiliiiiil.has_indirect_call, 0
	.section	.AMDGPU.csdata,"",@progbits
; Kernel info:
; codeLenInByte = 24436
; TotalNumSgprs: 42
; NumVgprs: 186
; ScratchSize: 0
; MemoryBound: 0
; FloatMode: 240
; IeeeMode: 1
; LDSByteSize: 43008 bytes/workgroup (compile time only)
; SGPRBlocks: 0
; VGPRBlocks: 23
; NumSGPRsForWavesPerEU: 42
; NumVGPRsForWavesPerEU: 186
; Occupancy: 5
; WaveLimiterHint : 1
; COMPUTE_PGM_RSRC2:SCRATCH_EN: 0
; COMPUTE_PGM_RSRC2:USER_SGPR: 6
; COMPUTE_PGM_RSRC2:TRAP_HANDLER: 0
; COMPUTE_PGM_RSRC2:TGID_X_EN: 1
; COMPUTE_PGM_RSRC2:TGID_Y_EN: 1
; COMPUTE_PGM_RSRC2:TGID_Z_EN: 1
; COMPUTE_PGM_RSRC2:TIDIG_COMP_CNT: 1
	.section	.text._ZL33flash_attn_stream_k_fixup_uniformILi128ELi8ELi2EEvPfPK15HIP_vector_typeIfLj2EEiiiiiiS1_IjLj3EES5_S5_,"axG",@progbits,_ZL33flash_attn_stream_k_fixup_uniformILi128ELi8ELi2EEvPfPK15HIP_vector_typeIfLj2EEiiiiiiS1_IjLj3EES5_S5_,comdat
	.globl	_ZL33flash_attn_stream_k_fixup_uniformILi128ELi8ELi2EEvPfPK15HIP_vector_typeIfLj2EEiiiiiiS1_IjLj3EES5_S5_ ; -- Begin function _ZL33flash_attn_stream_k_fixup_uniformILi128ELi8ELi2EEvPfPK15HIP_vector_typeIfLj2EEiiiiiiS1_IjLj3EES5_S5_
	.p2align	8
	.type	_ZL33flash_attn_stream_k_fixup_uniformILi128ELi8ELi2EEvPfPK15HIP_vector_typeIfLj2EEiiiiiiS1_IjLj3EES5_S5_,@function
_ZL33flash_attn_stream_k_fixup_uniformILi128ELi8ELi2EEvPfPK15HIP_vector_typeIfLj2EEiiiiiiS1_IjLj3EES5_S5_: ; @_ZL33flash_attn_stream_k_fixup_uniformILi128ELi8ELi2EEvPfPK15HIP_vector_typeIfLj2EEiiiiiiS1_IjLj3EES5_S5_
; %bb.0:
	s_clause 0x2
	s_load_dwordx8 s[12:19], s[4:5], 0x1c
	s_load_dwordx4 s[20:23], s[4:5], 0x3c
	s_load_dwordx2 s[10:11], s[4:5], 0x10
	s_waitcnt lgkmcnt(0)
	s_mul_hi_u32 s0, s15, s6
	s_add_i32 s0, s6, s0
	s_lshr_b32 s0, s0, s16
	s_mul_i32 s1, s0, s17
	s_sub_i32 s2, s6, s1
	s_mul_hi_u32 s1, s2, s18
	s_add_i32 s1, s2, s1
	s_lshr_b32 s1, s1, s19
	s_mul_i32 s3, s1, s20
	s_sub_i32 s2, s2, s3
	s_mul_hi_u32 s3, s2, s21
	s_add_i32 s3, s2, s3
	s_lshr_b32 s3, s3, s22
	s_mul_i32 s9, s3, s23
	s_lshl_b32 s15, s3, 1
	s_sub_i32 s9, s2, s9
	s_lshl_b32 s2, s9, 3
	s_add_i32 s2, s2, s7
	s_cmp_lt_i32 s2, s10
	s_cselect_b32 s2, -1, 0
	s_add_i32 s3, s15, s8
	s_cmp_lt_i32 s3, s13
	s_cselect_b32 s3, -1, 0
	s_and_b32 s2, s2, s3
	s_andn2_b32 vcc_lo, exec_lo, s2
	s_cbranch_vccnz .LBB41_6
; %bb.1:
	s_mul_i32 s0, s0, s10
	s_mul_i32 s10, s1, s13
	s_add_i32 s0, s0, s7
	s_mul_i32 s0, s0, s11
	s_add_i32 s13, s0, s8
	s_load_dwordx4 s[0:3], s[4:5], 0x0
	s_add_i32 s4, s13, s10
	s_mul_i32 s5, s11, s9
	s_add_i32 s4, s4, s15
	s_lshl_b32 s5, s5, 10
	s_lshl_b32 s4, s4, 7
	;; [unrolled: 1-line block ×3, first 2 shown]
	s_add_i32 s5, s5, s4
	s_mul_i32 s4, s14, s6
	v_or_b32_e32 v1, s5, v0
	s_add_i32 s11, s4, s14
	v_ashrrev_i32_e32 v2, 31, v1
	v_lshlrev_b64 v[1:2], 2, v[1:2]
	s_waitcnt lgkmcnt(0)
	v_add_co_u32 v1, vcc_lo, s0, v1
	v_add_co_ci_u32_e64 v2, null, s1, v2, vcc_lo
	s_add_i32 s0, s10, s8
	s_lshl_b32 s1, s11, 4
	s_add_i32 s0, s0, s1
	global_load_dword v5, v[1:2], off
	s_add_i32 s0, s0, -16
	s_ashr_i32 s1, s0, 31
	s_lshl_b64 s[0:1], s[0:1], 3
	s_add_u32 s0, s2, s0
	s_addc_u32 s1, s3, s1
	s_add_i32 s5, s11, -2
	s_load_dword s13, s[0:1], 0x4
	s_cmp_lt_i32 s5, s4
	s_cbranch_scc1 .LBB41_4
; %bb.2:
	s_lshl_b32 s16, s12, 6
	s_load_dword s15, s[0:1], 0x0
	s_ashr_i32 s17, s16, 31
	s_waitcnt lgkmcnt(0)
	v_mov_b32_e32 v6, s13
	s_lshl_b64 s[0:1], s[16:17], 2
	s_add_u32 s5, s2, s0
	s_addc_u32 s9, s3, s1
	s_add_i32 s6, s6, 1
	s_lshl_b32 s0, s7, 8
	s_lshl_b32 s1, s8, 7
	s_mul_i32 s6, s14, s6
	s_add_i32 s0, s1, s0
	s_lshl_b32 s1, s6, 11
	s_add_i32 s0, s0, s1
	s_lshl_b32 s1, s6, 4
	v_or_b32_e32 v0, s0, v0
	s_lshl_b32 s0, s12, 4
	s_add_i32 s1, s8, s1
	s_add_i32 s6, s11, -1
	s_add_i32 s0, s1, s0
	v_add_nc_u32_e32 v3, 0xfffff000, v0
	v_mov_b32_e32 v0, s15
	s_add_i32 s0, s0, s10
	s_sub_i32 s0, s0, 32
.LBB41_3:                               ; =>This Inner Loop Header: Depth=1
	v_ashrrev_i32_e32 v4, 31, v3
	s_ashr_i32 s1, s0, 31
	s_lshl_b64 s[10:11], s[0:1], 3
	s_add_u32 s10, s2, s10
	v_lshlrev_b64 v[7:8], 2, v[3:4]
	s_addc_u32 s11, s3, s11
	v_add_nc_u32_e32 v3, 0xfffff800, v3
	s_add_i32 s6, s6, -1
	s_add_i32 s0, s0, -16
	s_cmp_le_i32 s6, s4
	v_add_co_u32 v7, vcc_lo, s5, v7
	v_add_co_ci_u32_e64 v8, null, s9, v8, vcc_lo
	s_load_dwordx2 s[10:11], s[10:11], 0x0
	global_load_dword v4, v[7:8], off
	v_max_f32_e32 v7, v0, v0
	s_waitcnt lgkmcnt(0)
	v_max_f32_e64 v8, s10, s10
	v_max_f32_e32 v7, v7, v8
	v_sub_f32_e32 v8, s10, v7
	v_sub_f32_e32 v0, v0, v7
	v_mul_f32_e32 v9, 0x3fb8aa3b, v8
	v_mul_f32_e32 v12, 0x3fb8aa3b, v0
	v_cmp_ngt_f32_e32 vcc_lo, 0xc2ce8ed0, v8
	v_fma_f32 v10, 0x3fb8aa3b, v8, -v9
	v_rndne_f32_e32 v11, v9
	v_fma_f32 v13, 0x3fb8aa3b, v0, -v12
	v_rndne_f32_e32 v14, v12
	v_fmac_f32_e32 v10, 0x32a5705f, v8
	v_sub_f32_e32 v9, v9, v11
	v_fmac_f32_e32 v13, 0x32a5705f, v0
	v_cvt_i32_f32_e32 v11, v11
	v_add_f32_e32 v9, v9, v10
	v_sub_f32_e32 v10, v12, v14
	v_exp_f32_e32 v9, v9
	v_add_f32_e32 v10, v10, v13
	v_exp_f32_e32 v10, v10
	v_ldexp_f32 v9, v9, v11
	v_cvt_i32_f32_e32 v11, v14
	v_cndmask_b32_e32 v9, 0, v9, vcc_lo
	v_cmp_nlt_f32_e32 vcc_lo, 0x42b17218, v8
	v_ldexp_f32 v10, v10, v11
	v_mov_b32_e32 v11, v6
	v_cndmask_b32_e32 v9, 0x7f800000, v9, vcc_lo
	v_cmp_ngt_f32_e32 vcc_lo, 0xc2ce8ed0, v0
	v_cndmask_b32_e32 v10, 0, v10, vcc_lo
	v_cmp_le_f32_e32 vcc_lo, 0xc1a00000, v8
	v_cndmask_b32_e32 v8, 0, v9, vcc_lo
	v_cmp_nlt_f32_e32 vcc_lo, 0x42b17218, v0
	s_waitcnt vmcnt(1)
	v_mov_b32_e32 v9, v5
	v_cndmask_b32_e32 v5, 0x7f800000, v10, vcc_lo
	v_mul_f32_e32 v10, s11, v8
	v_cmp_le_f32_e32 vcc_lo, 0xc1a00000, v0
	v_mov_b32_e32 v0, v7
	v_mov_b32_e32 v6, v10
	v_cndmask_b32_e32 v12, 0, v5, vcc_lo
	v_fmac_f32_e32 v6, v11, v12
	s_waitcnt vmcnt(0)
	v_mul_f32_e32 v5, v4, v8
	v_fmac_f32_e32 v5, v9, v12
	s_cbranch_scc0 .LBB41_3
	s_branch .LBB41_5
.LBB41_4:
	s_waitcnt lgkmcnt(0)
	v_mov_b32_e32 v6, s13
.LBB41_5:
	s_waitcnt vmcnt(0)
	v_div_scale_f32 v0, null, v6, v6, v5
	v_rcp_f32_e32 v3, v0
	v_fma_f32 v4, -v0, v3, 1.0
	v_fmac_f32_e32 v3, v4, v3
	v_div_scale_f32 v4, vcc_lo, v5, v6, v5
	v_mul_f32_e32 v7, v4, v3
	v_fma_f32 v8, -v0, v7, v4
	v_fmac_f32_e32 v7, v8, v3
	v_fma_f32 v0, -v0, v7, v4
	v_div_fmas_f32 v0, v0, v3, v7
	v_div_fixup_f32 v0, v0, v6, v5
	global_store_dword v[1:2], v0, off
.LBB41_6:
	s_endpgm
	.section	.rodata,"a",@progbits
	.p2align	6, 0x0
	.amdhsa_kernel _ZL33flash_attn_stream_k_fixup_uniformILi128ELi8ELi2EEvPfPK15HIP_vector_typeIfLj2EEiiiiiiS1_IjLj3EES5_S5_
		.amdhsa_group_segment_fixed_size 0
		.amdhsa_private_segment_fixed_size 0
		.amdhsa_kernarg_size 76
		.amdhsa_user_sgpr_count 6
		.amdhsa_user_sgpr_private_segment_buffer 1
		.amdhsa_user_sgpr_dispatch_ptr 0
		.amdhsa_user_sgpr_queue_ptr 0
		.amdhsa_user_sgpr_kernarg_segment_ptr 1
		.amdhsa_user_sgpr_dispatch_id 0
		.amdhsa_user_sgpr_flat_scratch_init 0
		.amdhsa_user_sgpr_private_segment_size 0
		.amdhsa_wavefront_size32 1
		.amdhsa_uses_dynamic_stack 0
		.amdhsa_system_sgpr_private_segment_wavefront_offset 0
		.amdhsa_system_sgpr_workgroup_id_x 1
		.amdhsa_system_sgpr_workgroup_id_y 1
		.amdhsa_system_sgpr_workgroup_id_z 1
		.amdhsa_system_sgpr_workgroup_info 0
		.amdhsa_system_vgpr_workitem_id 0
		.amdhsa_next_free_vgpr 15
		.amdhsa_next_free_sgpr 24
		.amdhsa_reserve_vcc 1
		.amdhsa_reserve_flat_scratch 0
		.amdhsa_float_round_mode_32 0
		.amdhsa_float_round_mode_16_64 0
		.amdhsa_float_denorm_mode_32 3
		.amdhsa_float_denorm_mode_16_64 3
		.amdhsa_dx10_clamp 1
		.amdhsa_ieee_mode 1
		.amdhsa_fp16_overflow 0
		.amdhsa_workgroup_processor_mode 1
		.amdhsa_memory_ordered 1
		.amdhsa_forward_progress 1
		.amdhsa_shared_vgpr_count 0
		.amdhsa_exception_fp_ieee_invalid_op 0
		.amdhsa_exception_fp_denorm_src 0
		.amdhsa_exception_fp_ieee_div_zero 0
		.amdhsa_exception_fp_ieee_overflow 0
		.amdhsa_exception_fp_ieee_underflow 0
		.amdhsa_exception_fp_ieee_inexact 0
		.amdhsa_exception_int_div_zero 0
	.end_amdhsa_kernel
	.section	.text._ZL33flash_attn_stream_k_fixup_uniformILi128ELi8ELi2EEvPfPK15HIP_vector_typeIfLj2EEiiiiiiS1_IjLj3EES5_S5_,"axG",@progbits,_ZL33flash_attn_stream_k_fixup_uniformILi128ELi8ELi2EEvPfPK15HIP_vector_typeIfLj2EEiiiiiiS1_IjLj3EES5_S5_,comdat
.Lfunc_end41:
	.size	_ZL33flash_attn_stream_k_fixup_uniformILi128ELi8ELi2EEvPfPK15HIP_vector_typeIfLj2EEiiiiiiS1_IjLj3EES5_S5_, .Lfunc_end41-_ZL33flash_attn_stream_k_fixup_uniformILi128ELi8ELi2EEvPfPK15HIP_vector_typeIfLj2EEiiiiiiS1_IjLj3EES5_S5_
                                        ; -- End function
	.set _ZL33flash_attn_stream_k_fixup_uniformILi128ELi8ELi2EEvPfPK15HIP_vector_typeIfLj2EEiiiiiiS1_IjLj3EES5_S5_.num_vgpr, 15
	.set _ZL33flash_attn_stream_k_fixup_uniformILi128ELi8ELi2EEvPfPK15HIP_vector_typeIfLj2EEiiiiiiS1_IjLj3EES5_S5_.num_agpr, 0
	.set _ZL33flash_attn_stream_k_fixup_uniformILi128ELi8ELi2EEvPfPK15HIP_vector_typeIfLj2EEiiiiiiS1_IjLj3EES5_S5_.numbered_sgpr, 24
	.set _ZL33flash_attn_stream_k_fixup_uniformILi128ELi8ELi2EEvPfPK15HIP_vector_typeIfLj2EEiiiiiiS1_IjLj3EES5_S5_.num_named_barrier, 0
	.set _ZL33flash_attn_stream_k_fixup_uniformILi128ELi8ELi2EEvPfPK15HIP_vector_typeIfLj2EEiiiiiiS1_IjLj3EES5_S5_.private_seg_size, 0
	.set _ZL33flash_attn_stream_k_fixup_uniformILi128ELi8ELi2EEvPfPK15HIP_vector_typeIfLj2EEiiiiiiS1_IjLj3EES5_S5_.uses_vcc, 1
	.set _ZL33flash_attn_stream_k_fixup_uniformILi128ELi8ELi2EEvPfPK15HIP_vector_typeIfLj2EEiiiiiiS1_IjLj3EES5_S5_.uses_flat_scratch, 0
	.set _ZL33flash_attn_stream_k_fixup_uniformILi128ELi8ELi2EEvPfPK15HIP_vector_typeIfLj2EEiiiiiiS1_IjLj3EES5_S5_.has_dyn_sized_stack, 0
	.set _ZL33flash_attn_stream_k_fixup_uniformILi128ELi8ELi2EEvPfPK15HIP_vector_typeIfLj2EEiiiiiiS1_IjLj3EES5_S5_.has_recursion, 0
	.set _ZL33flash_attn_stream_k_fixup_uniformILi128ELi8ELi2EEvPfPK15HIP_vector_typeIfLj2EEiiiiiiS1_IjLj3EES5_S5_.has_indirect_call, 0
	.section	.AMDGPU.csdata,"",@progbits
; Kernel info:
; codeLenInByte = 848
; TotalNumSgprs: 26
; NumVgprs: 15
; ScratchSize: 0
; MemoryBound: 0
; FloatMode: 240
; IeeeMode: 1
; LDSByteSize: 0 bytes/workgroup (compile time only)
; SGPRBlocks: 0
; VGPRBlocks: 1
; NumSGPRsForWavesPerEU: 26
; NumVGPRsForWavesPerEU: 15
; Occupancy: 16
; WaveLimiterHint : 0
; COMPUTE_PGM_RSRC2:SCRATCH_EN: 0
; COMPUTE_PGM_RSRC2:USER_SGPR: 6
; COMPUTE_PGM_RSRC2:TRAP_HANDLER: 0
; COMPUTE_PGM_RSRC2:TGID_X_EN: 1
; COMPUTE_PGM_RSRC2:TGID_Y_EN: 1
; COMPUTE_PGM_RSRC2:TGID_Z_EN: 1
; COMPUTE_PGM_RSRC2:TIDIG_COMP_CNT: 0
	.section	.text._ZL33flash_attn_stream_k_fixup_generalILi128ELi8ELi2EEvPfPK15HIP_vector_typeIfLj2EEiiiiS1_IjLj3EES5_S5_S5_,"axG",@progbits,_ZL33flash_attn_stream_k_fixup_generalILi128ELi8ELi2EEvPfPK15HIP_vector_typeIfLj2EEiiiiS1_IjLj3EES5_S5_S5_,comdat
	.globl	_ZL33flash_attn_stream_k_fixup_generalILi128ELi8ELi2EEvPfPK15HIP_vector_typeIfLj2EEiiiiS1_IjLj3EES5_S5_S5_ ; -- Begin function _ZL33flash_attn_stream_k_fixup_generalILi128ELi8ELi2EEvPfPK15HIP_vector_typeIfLj2EEiiiiS1_IjLj3EES5_S5_S5_
	.p2align	8
	.type	_ZL33flash_attn_stream_k_fixup_generalILi128ELi8ELi2EEvPfPK15HIP_vector_typeIfLj2EEiiiiS1_IjLj3EES5_S5_S5_,@function
_ZL33flash_attn_stream_k_fixup_generalILi128ELi8ELi2EEvPfPK15HIP_vector_typeIfLj2EEiiiiS1_IjLj3EES5_S5_S5_: ; @_ZL33flash_attn_stream_k_fixup_generalILi128ELi8ELi2EEvPfPK15HIP_vector_typeIfLj2EEiiiiS1_IjLj3EES5_S5_S5_
; %bb.0:
	s_clause 0x1
	s_load_dwordx4 s[0:3], s[4:5], 0x10
	s_load_dword s9, s[4:5], 0x50
	s_mov_b32 s16, 0
	s_waitcnt lgkmcnt(0)
	s_mul_hi_i32 s17, s3, s6
	s_mul_i32 s18, s3, s6
	s_cmp_lg_u64 s[16:17], 0
	s_cbranch_scc0 .LBB42_21
; %bb.1:
	s_add_u32 s10, s9, 0
	s_addc_u32 s11, 0, 0
	s_xor_b64 s[10:11], s[10:11], 0
	v_cvt_f32_u32_e32 v1, s10
	v_cvt_f32_u32_e32 v2, s11
	s_sub_u32 s14, 0, s10
	s_subb_u32 s15, 0, s11
	v_fmamk_f32 v1, v2, 0x4f800000, v1
	v_rcp_f32_e32 v1, v1
	v_mul_f32_e32 v1, 0x5f7ffffc, v1
	v_mul_f32_e32 v2, 0x2f800000, v1
	v_trunc_f32_e32 v2, v2
	v_fmamk_f32 v1, v2, 0xcf800000, v1
	v_cvt_u32_f32_e32 v2, v2
	v_cvt_u32_f32_e32 v1, v1
	v_readfirstlane_b32 s12, v2
	v_readfirstlane_b32 s13, v1
	s_mul_i32 s19, s14, s12
	s_mul_hi_u32 s21, s14, s13
	s_mul_i32 s20, s15, s13
	s_add_i32 s19, s21, s19
	s_mul_i32 s22, s14, s13
	s_add_i32 s19, s19, s20
	s_mul_hi_u32 s21, s13, s22
	s_mul_i32 s24, s13, s19
	s_mul_hi_u32 s23, s12, s22
	s_mul_i32 s20, s12, s22
	s_mul_hi_u32 s22, s13, s19
	s_add_u32 s21, s21, s24
	s_addc_u32 s22, 0, s22
	s_mul_hi_u32 s25, s12, s19
	s_add_u32 s20, s21, s20
	s_mul_i32 s19, s12, s19
	s_addc_u32 s20, s22, s23
	s_addc_u32 s21, s25, 0
	s_add_u32 s19, s20, s19
	s_addc_u32 s20, 0, s21
	s_add_u32 s13, s13, s19
	s_cselect_b32 s19, -1, 0
	s_mul_hi_u32 s21, s14, s13
	s_cmp_lg_u32 s19, 0
	s_mul_i32 s19, s14, s13
	s_addc_u32 s12, s12, s20
	s_mul_i32 s15, s15, s13
	s_mul_i32 s14, s14, s12
	s_mul_hi_u32 s20, s13, s19
	s_add_i32 s14, s21, s14
	s_mul_hi_u32 s21, s12, s19
	s_add_i32 s14, s14, s15
	s_mul_i32 s15, s12, s19
	s_mul_i32 s23, s13, s14
	s_mul_hi_u32 s22, s13, s14
	s_add_u32 s20, s20, s23
	s_addc_u32 s22, 0, s22
	s_mul_hi_u32 s19, s12, s14
	s_add_u32 s15, s20, s15
	s_mul_i32 s14, s12, s14
	s_addc_u32 s15, s22, s21
	s_addc_u32 s19, s19, 0
	s_add_u32 s14, s15, s14
	s_addc_u32 s15, 0, s19
	s_add_u32 s19, s13, s14
	s_cselect_b32 s13, -1, 0
	s_cmp_lg_u32 s13, 0
	s_addc_u32 s20, s12, s15
	s_ashr_i32 s12, s17, 31
	s_add_u32 s14, s18, s12
	s_mov_b32 s13, s12
	s_addc_u32 s15, s17, s12
	s_xor_b64 s[14:15], s[14:15], s[12:13]
	s_mul_i32 s21, s14, s20
	s_mul_hi_u32 s22, s14, s19
	s_mul_hi_u32 s17, s14, s20
	;; [unrolled: 1-line block ×3, first 2 shown]
	s_mul_i32 s19, s15, s19
	s_add_u32 s21, s22, s21
	s_addc_u32 s17, 0, s17
	s_mul_hi_u32 s23, s15, s20
	s_add_u32 s19, s21, s19
	s_mul_i32 s20, s15, s20
	s_addc_u32 s17, s17, s24
	s_addc_u32 s19, s23, 0
	s_add_u32 s17, s17, s20
	s_addc_u32 s19, 0, s19
	s_mul_hi_u32 s20, s10, s17
	s_mul_i32 s21, s10, s19
	s_mul_i32 s22, s11, s17
	s_add_i32 s20, s20, s21
	s_mul_i32 s21, s10, s17
	s_add_i32 s20, s20, s22
	s_sub_i32 s22, s15, s20
	s_sub_u32 s14, s14, s21
	s_cselect_b32 s21, -1, 0
	s_cmp_lg_u32 s21, 0
	s_subb_u32 s22, s22, s11
	s_sub_u32 s23, s14, s10
	s_cselect_b32 s24, -1, 0
	s_cmp_lg_u32 s24, 0
	s_subb_u32 s22, s22, 0
	s_cmp_ge_u32 s22, s11
	s_cselect_b32 s24, -1, 0
	s_cmp_ge_u32 s23, s10
	s_cselect_b32 s23, -1, 0
	s_cmp_eq_u32 s22, s11
	s_cselect_b32 s22, s23, s24
	s_add_u32 s23, s17, 1
	s_addc_u32 s24, s19, 0
	s_add_u32 s25, s17, 2
	s_addc_u32 s26, s19, 0
	s_cmp_lg_u32 s22, 0
	s_cselect_b32 s22, s25, s23
	s_cselect_b32 s23, s26, s24
	s_cmp_lg_u32 s21, 0
	s_subb_u32 s15, s15, s20
	s_cmp_ge_u32 s15, s11
	s_cselect_b32 s20, -1, 0
	s_cmp_ge_u32 s14, s10
	s_cselect_b32 s10, -1, 0
	s_cmp_eq_u32 s15, s11
	s_cselect_b32 s10, s10, s20
	s_cmp_lg_u32 s10, 0
	s_cselect_b32 s11, s23, s19
	s_cselect_b32 s10, s22, s17
	s_xor_b64 s[12:13], s[12:13], 0
	s_xor_b64 s[10:11], s[10:11], s[12:13]
	s_sub_u32 s10, s10, s12
	s_load_dwordx4 s[12:15], s[4:5], 0x44
	s_andn2_b32 vcc_lo, exec_lo, s16
	s_cbranch_vccnz .LBB42_3
.LBB42_2:
	v_cvt_f32_u32_e32 v1, s9
	s_sub_i32 s11, 0, s9
	v_rcp_iflag_f32_e32 v1, v1
	v_mul_f32_e32 v1, 0x4f7ffffe, v1
	v_cvt_u32_f32_e32 v1, v1
	v_readfirstlane_b32 s10, v1
	s_mul_i32 s11, s11, s10
	s_mul_hi_u32 s11, s10, s11
	s_add_i32 s10, s10, s11
	s_mul_hi_u32 s10, s18, s10
	s_mul_i32 s11, s10, s9
	s_waitcnt lgkmcnt(0)
	s_add_i32 s15, s10, 1
	s_sub_i32 s11, s18, s11
	s_sub_i32 s16, s11, s9
	s_cmp_ge_u32 s11, s9
	s_cselect_b32 s10, s15, s10
	s_cselect_b32 s11, s16, s11
	s_add_i32 s15, s10, 1
	s_cmp_ge_u32 s11, s9
	s_cselect_b32 s10, s15, s10
.LBB42_3:
	s_add_i32 s11, s6, 1
	s_mov_b32 s16, 0
	s_mul_hi_i32 s17, s3, s11
	s_mul_i32 s11, s3, s11
	s_cmp_lg_u64 s[16:17], 0
	s_cbranch_scc0 .LBB42_22
; %bb.4:
	s_add_u32 s18, s9, 0
	s_addc_u32 s19, 0, 0
	s_xor_b64 s[18:19], s[18:19], 0
	v_cvt_f32_u32_e32 v1, s18
	v_cvt_f32_u32_e32 v2, s19
	s_sub_u32 s21, 0, s18
	s_subb_u32 s22, 0, s19
	v_fmamk_f32 v1, v2, 0x4f800000, v1
	v_rcp_f32_e32 v1, v1
	v_mul_f32_e32 v1, 0x5f7ffffc, v1
	v_mul_f32_e32 v2, 0x2f800000, v1
	v_trunc_f32_e32 v2, v2
	v_fmamk_f32 v1, v2, 0xcf800000, v1
	v_cvt_u32_f32_e32 v2, v2
	v_cvt_u32_f32_e32 v1, v1
	s_waitcnt lgkmcnt(0)
	v_readfirstlane_b32 s15, v2
	v_readfirstlane_b32 s20, v1
	s_mul_i32 s23, s21, s15
	s_mul_hi_u32 s25, s21, s20
	s_mul_i32 s24, s22, s20
	s_add_i32 s23, s25, s23
	s_mul_i32 s26, s21, s20
	s_add_i32 s23, s23, s24
	s_mul_hi_u32 s25, s20, s26
	s_mul_i32 s28, s20, s23
	s_mul_hi_u32 s27, s15, s26
	s_mul_i32 s24, s15, s26
	s_mul_hi_u32 s26, s20, s23
	s_add_u32 s25, s25, s28
	s_addc_u32 s26, 0, s26
	s_mul_hi_u32 s29, s15, s23
	s_add_u32 s24, s25, s24
	s_mul_i32 s23, s15, s23
	s_addc_u32 s24, s26, s27
	s_addc_u32 s25, s29, 0
	s_add_u32 s23, s24, s23
	s_addc_u32 s24, 0, s25
	s_add_u32 s20, s20, s23
	s_cselect_b32 s23, -1, 0
	s_mul_hi_u32 s25, s21, s20
	s_cmp_lg_u32 s23, 0
	s_mul_i32 s23, s21, s20
	s_addc_u32 s15, s15, s24
	s_mul_i32 s22, s22, s20
	s_mul_i32 s21, s21, s15
	s_mul_hi_u32 s24, s20, s23
	s_add_i32 s21, s25, s21
	s_mul_hi_u32 s25, s15, s23
	s_add_i32 s21, s21, s22
	s_mul_i32 s22, s15, s23
	s_mul_i32 s27, s20, s21
	s_mul_hi_u32 s26, s20, s21
	s_add_u32 s24, s24, s27
	s_addc_u32 s26, 0, s26
	s_mul_hi_u32 s23, s15, s21
	s_add_u32 s22, s24, s22
	s_mul_i32 s21, s15, s21
	s_addc_u32 s22, s26, s25
	s_addc_u32 s23, s23, 0
	s_add_u32 s21, s22, s21
	s_addc_u32 s22, 0, s23
	s_add_u32 s24, s20, s21
	s_cselect_b32 s20, -1, 0
	s_cmp_lg_u32 s20, 0
	s_addc_u32 s15, s15, s22
	s_ashr_i32 s20, s17, 31
	s_add_u32 s22, s11, s20
	s_mov_b32 s21, s20
	s_addc_u32 s23, s17, s20
	s_xor_b64 s[22:23], s[22:23], s[20:21]
	s_mul_i32 s25, s22, s15
	s_mul_hi_u32 s26, s22, s24
	s_mul_hi_u32 s17, s22, s15
	;; [unrolled: 1-line block ×3, first 2 shown]
	s_mul_i32 s24, s23, s24
	s_add_u32 s25, s26, s25
	s_addc_u32 s17, 0, s17
	s_mul_hi_u32 s27, s23, s15
	s_add_u32 s24, s25, s24
	s_mul_i32 s15, s23, s15
	s_addc_u32 s17, s17, s28
	s_addc_u32 s24, s27, 0
	s_add_u32 s15, s17, s15
	s_addc_u32 s17, 0, s24
	s_mul_hi_u32 s24, s18, s15
	s_mul_i32 s25, s18, s17
	s_mul_i32 s26, s19, s15
	s_add_i32 s24, s24, s25
	s_mul_i32 s25, s18, s15
	s_add_i32 s24, s24, s26
	s_sub_i32 s26, s23, s24
	s_sub_u32 s22, s22, s25
	s_cselect_b32 s25, -1, 0
	s_cmp_lg_u32 s25, 0
	s_subb_u32 s26, s26, s19
	s_sub_u32 s27, s22, s18
	s_cselect_b32 s28, -1, 0
	s_cmp_lg_u32 s28, 0
	s_subb_u32 s26, s26, 0
	s_cmp_ge_u32 s26, s19
	s_cselect_b32 s28, -1, 0
	s_cmp_ge_u32 s27, s18
	s_cselect_b32 s27, -1, 0
	s_cmp_eq_u32 s26, s19
	s_cselect_b32 s26, s27, s28
	s_add_u32 s27, s15, 1
	s_addc_u32 s28, s17, 0
	s_add_u32 s29, s15, 2
	s_addc_u32 s30, s17, 0
	s_cmp_lg_u32 s26, 0
	s_cselect_b32 s26, s29, s27
	s_cselect_b32 s27, s30, s28
	s_cmp_lg_u32 s25, 0
	s_subb_u32 s23, s23, s24
	s_cmp_ge_u32 s23, s19
	s_cselect_b32 s24, -1, 0
	s_cmp_ge_u32 s22, s18
	s_cselect_b32 s18, -1, 0
	s_cmp_eq_u32 s23, s19
	s_cselect_b32 s18, s18, s24
	s_cmp_lg_u32 s18, 0
	s_cselect_b32 s19, s27, s17
	s_cselect_b32 s18, s26, s15
	s_xor_b64 s[20:21], s[20:21], 0
	s_xor_b64 s[18:19], s[18:19], s[20:21]
	s_sub_u32 s18, s18, s20
	s_andn2_b32 vcc_lo, exec_lo, s16
	s_cbranch_vccnz .LBB42_6
.LBB42_5:
	v_cvt_f32_u32_e32 v1, s9
	s_sub_i32 s16, 0, s9
	v_rcp_iflag_f32_e32 v1, v1
	v_mul_f32_e32 v1, 0x4f7ffffe, v1
	v_cvt_u32_f32_e32 v1, v1
	s_waitcnt lgkmcnt(0)
	v_readfirstlane_b32 s15, v1
	s_mul_i32 s16, s16, s15
	s_mul_hi_u32 s16, s15, s16
	s_add_i32 s15, s15, s16
	s_mul_hi_u32 s15, s11, s15
	s_mul_i32 s16, s15, s9
	s_sub_i32 s11, s11, s16
	s_add_i32 s16, s15, 1
	s_sub_i32 s17, s11, s9
	s_cmp_ge_u32 s11, s9
	s_cselect_b32 s15, s16, s15
	s_cselect_b32 s11, s17, s11
	s_add_i32 s16, s15, 1
	s_cmp_ge_u32 s11, s9
	s_cselect_b32 s18, s16, s15
.LBB42_6:
	s_cmp_eq_u32 s10, s18
	s_waitcnt lgkmcnt(0)
	s_mul_hi_u32 s11, s10, s12
	s_cselect_b32 s15, -1, 0
	s_add_i32 s11, s11, s10
	s_lshr_b32 s11, s11, s13
	s_mul_i32 s16, s11, s14
	s_cmp_eq_u32 s16, s10
	s_mul_hi_u32 s16, s18, s12
	s_cselect_b32 s17, -1, 0
	s_add_i32 s16, s16, s18
	s_lshr_b32 s16, s16, s13
	s_cmp_eq_u32 s11, s16
	s_mul_i32 s16, s16, s14
	s_cselect_b32 s19, -1, 0
	s_cmp_lg_u32 s16, s18
	s_cselect_b32 s16, -1, 0
	s_or_b32 s15, s15, s17
	s_and_b32 s16, s19, s16
	s_or_b32 s15, s15, s16
	s_and_b32 vcc_lo, exec_lo, s15
	s_cbranch_vccnz .LBB42_24
; %bb.7:
	s_clause 0x1
	s_load_dwordx8 s[20:27], s[4:5], 0x20
	s_load_dword s16, s[4:5], 0x40
	s_waitcnt lgkmcnt(0)
	s_mul_hi_u32 s15, s10, s20
	s_add_i32 s15, s15, s10
	s_lshr_b32 s15, s15, s21
	s_mul_i32 s17, s15, s22
	s_sub_i32 s17, s10, s17
	s_mul_hi_u32 s18, s17, s23
	s_add_i32 s18, s17, s18
	s_lshr_b32 s22, s18, s24
	s_mul_i32 s18, s22, s25
	s_sub_i32 s17, s17, s18
	s_mul_hi_u32 s18, s17, s26
	s_add_i32 s18, s17, s18
	s_lshr_b32 s18, s18, s27
	s_mul_i32 s16, s18, s16
	s_lshl_b32 s24, s18, 1
	s_sub_i32 s16, s17, s16
	s_mul_hi_u32 s17, s16, s12
	s_add_i32 s16, s16, s17
	s_lshr_b32 s23, s16, s13
	s_lshl_b32 s16, s23, 3
	s_add_i32 s16, s16, s7
	s_cmp_lt_i32 s16, s0
	s_cselect_b32 s16, -1, 0
	s_add_i32 s17, s24, s8
	s_cmp_lt_i32 s17, s2
	s_cselect_b32 s17, -1, 0
	s_and_b32 s16, s16, s17
	s_andn2_b32 vcc_lo, exec_lo, s16
	s_cbranch_vccnz .LBB42_24
; %bb.8:
	s_load_dwordx4 s[16:19], s[4:5], 0x0
	s_mov_b32 s4, 0
	s_lshl_b32 s20, s9, 6
	s_mov_b32 s21, s4
	s_lshl_b32 s5, s7, 1
	s_lshl_b64 s[20:21], s[20:21], 2
	s_mul_i32 s0, s15, s0
	s_add_i32 s15, s5, s8
	s_mul_i32 s22, s22, s2
	v_cvt_f32_u32_e32 v4, s9
	v_rcp_iflag_f32_e32 v4, v4
	s_waitcnt lgkmcnt(0)
	s_add_u32 s20, s18, s20
	s_addc_u32 s21, s19, s21
	s_add_i32 s0, s0, s7
	s_mul_i32 s0, s0, s1
	s_mul_i32 s1, s1, s23
	s_add_i32 s0, s0, s8
	s_lshl_b32 s1, s1, 10
	s_add_i32 s0, s0, s22
	v_mul_f32_e32 v4, 0x4f7ffffe, v4
	s_add_i32 s0, s0, s24
	s_lshl_b32 s0, s0, 7
	s_add_i32 s1, s1, s0
	s_lshl_b32 s0, s6, 4
	v_or_b32_e32 v1, s1, v0
	s_add_i32 s0, s15, s0
	v_lshl_or_b32 v0, s15, 7, v0
	s_ashr_i32 s1, s0, 31
	v_cvt_u32_f32_e32 v4, v4
	v_ashrrev_i32_e32 v2, 31, v1
	s_lshl_b64 s[0:1], s[0:1], 3
	s_add_u32 s0, s18, s0
	s_addc_u32 s1, s19, s1
	v_lshlrev_b64 v[1:2], 2, v[1:2]
	s_load_dwordx2 s[0:1], s[0:1], 0x0
	s_add_i32 s8, s6, -1
	s_sub_i32 s2, 0, s9
	v_add_co_u32 v1, vcc_lo, s16, v1
	v_add_co_ci_u32_e64 v2, null, s17, v2, vcc_lo
	global_load_dword v3, v[1:2], off
	s_waitcnt lgkmcnt(0)
	v_mov_b32_e32 v5, s1
	v_mov_b32_e32 v6, s0
.LBB42_9:                               ; =>This Inner Loop Header: Depth=1
	s_mul_hi_i32 s5, s8, s3
	s_mul_i32 s6, s8, s3
	s_cmp_lg_u64 s[4:5], 0
	s_mov_b32 s7, -1
                                        ; implicit-def: $sgpr0_sgpr1
	s_cbranch_scc0 .LBB42_11
; %bb.10:                               ;   in Loop: Header=BB42_9 Depth=1
	s_add_u32 s0, s9, 0
	s_addc_u32 s1, 0, 0
	s_xor_b64 s[0:1], s[0:1], 0
	v_cvt_f32_u32_e32 v7, s0
	v_cvt_f32_u32_e32 v8, s1
	s_sub_u32 s17, 0, s0
	s_subb_u32 s22, 0, s1
	v_fmac_f32_e32 v7, 0x4f800000, v8
	v_rcp_f32_e32 v7, v7
	v_mul_f32_e32 v7, 0x5f7ffffc, v7
	v_mul_f32_e32 v8, 0x2f800000, v7
	v_trunc_f32_e32 v8, v8
	v_fmac_f32_e32 v7, 0xcf800000, v8
	v_cvt_u32_f32_e32 v8, v8
	v_cvt_u32_f32_e32 v7, v7
	v_readfirstlane_b32 s7, v8
	v_readfirstlane_b32 s16, v7
	s_mul_i32 s23, s17, s7
	s_mul_hi_u32 s25, s17, s16
	s_mul_i32 s24, s22, s16
	s_add_i32 s23, s25, s23
	s_mul_i32 s26, s17, s16
	s_add_i32 s23, s23, s24
	s_mul_hi_u32 s25, s16, s26
	s_mul_i32 s28, s16, s23
	s_mul_hi_u32 s27, s7, s26
	s_mul_i32 s24, s7, s26
	s_mul_hi_u32 s26, s16, s23
	s_add_u32 s25, s25, s28
	s_addc_u32 s26, 0, s26
	s_mul_hi_u32 s29, s7, s23
	s_add_u32 s24, s25, s24
	s_mul_i32 s23, s7, s23
	s_addc_u32 s24, s26, s27
	s_addc_u32 s25, s29, 0
	s_add_u32 s23, s24, s23
	s_addc_u32 s24, 0, s25
	s_add_u32 s16, s16, s23
	s_cselect_b32 s23, -1, 0
	s_mul_hi_u32 s25, s17, s16
	s_cmp_lg_u32 s23, 0
	s_mul_i32 s23, s17, s16
	s_addc_u32 s7, s7, s24
	s_mul_i32 s22, s22, s16
	s_mul_i32 s17, s17, s7
	s_mul_hi_u32 s24, s16, s23
	s_add_i32 s17, s25, s17
	s_mul_hi_u32 s25, s7, s23
	s_add_i32 s17, s17, s22
	s_mul_i32 s22, s7, s23
	s_mul_i32 s27, s16, s17
	s_mul_hi_u32 s26, s16, s17
	s_add_u32 s24, s24, s27
	s_addc_u32 s26, 0, s26
	s_mul_hi_u32 s23, s7, s17
	s_add_u32 s22, s24, s22
	s_mul_i32 s17, s7, s17
	s_addc_u32 s22, s26, s25
	s_addc_u32 s23, s23, 0
	s_add_u32 s17, s22, s17
	s_addc_u32 s22, 0, s23
	s_add_u32 s24, s16, s17
	s_cselect_b32 s16, -1, 0
	s_cmp_lg_u32 s16, 0
	s_addc_u32 s7, s7, s22
	s_ashr_i32 s16, s5, 31
	s_add_u32 s22, s6, s16
	s_mov_b32 s17, s16
	s_addc_u32 s23, s5, s16
	s_xor_b64 s[22:23], s[22:23], s[16:17]
	s_mul_i32 s25, s22, s7
	s_mul_hi_u32 s26, s22, s24
	s_mul_hi_u32 s5, s22, s7
	;; [unrolled: 1-line block ×3, first 2 shown]
	s_mul_i32 s24, s23, s24
	s_add_u32 s25, s26, s25
	s_addc_u32 s5, 0, s5
	s_mul_hi_u32 s27, s23, s7
	s_add_u32 s24, s25, s24
	s_mul_i32 s7, s23, s7
	s_addc_u32 s5, s5, s28
	s_addc_u32 s24, s27, 0
	s_add_u32 s5, s5, s7
	s_addc_u32 s7, 0, s24
	s_mul_hi_u32 s24, s0, s5
	s_mul_i32 s25, s0, s7
	s_mul_i32 s26, s1, s5
	s_add_i32 s24, s24, s25
	s_mul_i32 s25, s0, s5
	s_add_i32 s24, s24, s26
	s_sub_i32 s26, s23, s24
	s_sub_u32 s22, s22, s25
	s_cselect_b32 s25, -1, 0
	s_cmp_lg_u32 s25, 0
	s_subb_u32 s26, s26, s1
	s_sub_u32 s27, s22, s0
	s_cselect_b32 s28, -1, 0
	s_cmp_lg_u32 s28, 0
	s_subb_u32 s26, s26, 0
	s_cmp_ge_u32 s26, s1
	s_cselect_b32 s28, -1, 0
	s_cmp_ge_u32 s27, s0
	s_cselect_b32 s27, -1, 0
	s_cmp_eq_u32 s26, s1
	s_cselect_b32 s26, s27, s28
	s_add_u32 s27, s5, 1
	s_addc_u32 s28, s7, 0
	s_add_u32 s29, s5, 2
	s_addc_u32 s30, s7, 0
	s_cmp_lg_u32 s26, 0
	s_cselect_b32 s26, s29, s27
	s_cselect_b32 s27, s30, s28
	s_cmp_lg_u32 s25, 0
	s_subb_u32 s23, s23, s24
	s_cmp_ge_u32 s23, s1
	s_cselect_b32 s24, -1, 0
	s_cmp_ge_u32 s22, s0
	s_cselect_b32 s0, -1, 0
	s_cmp_eq_u32 s23, s1
	s_cselect_b32 s0, s0, s24
	s_cmp_lg_u32 s0, 0
	s_cselect_b32 s1, s27, s7
	s_cselect_b32 s0, s26, s5
	s_xor_b64 s[16:17], s[16:17], 0
	s_mov_b32 s7, 0
	s_xor_b64 s[0:1], s[0:1], s[16:17]
	s_sub_u32 s0, s0, s16
.LBB42_11:                              ;   in Loop: Header=BB42_9 Depth=1
	s_andn2_b32 vcc_lo, exec_lo, s7
	s_cbranch_vccnz .LBB42_13
; %bb.12:                               ;   in Loop: Header=BB42_9 Depth=1
	v_readfirstlane_b32 s0, v4
	s_mul_i32 s1, s2, s0
	s_mul_hi_u32 s1, s0, s1
	s_add_i32 s0, s0, s1
	s_mul_hi_u32 s0, s6, s0
	s_mul_i32 s1, s0, s9
	s_add_i32 s5, s0, 1
	s_sub_i32 s1, s6, s1
	s_sub_i32 s6, s1, s9
	s_cmp_ge_u32 s1, s9
	s_cselect_b32 s0, s5, s0
	s_cselect_b32 s1, s6, s1
	s_add_i32 s5, s0, 1
	s_cmp_ge_u32 s1, s9
	s_cselect_b32 s0, s5, s0
.LBB42_13:                              ;   in Loop: Header=BB42_9 Depth=1
	s_cmp_lg_u32 s10, s0
	s_mov_b32 s6, -1
                                        ; implicit-def: $sgpr5
                                        ; implicit-def: $vgpr8
                                        ; implicit-def: $vgpr7
                                        ; implicit-def: $vgpr9
                                        ; implicit-def: $sgpr1
                                        ; implicit-def: $sgpr16
	s_cbranch_scc0 .LBB42_18
; %bb.14:                               ;   in Loop: Header=BB42_9 Depth=1
	s_add_i32 s1, s8, s9
	s_mov_b32 s7, s4
	s_lshl_b32 s1, s1, 4
	s_mov_b32 s16, s10
	s_add_i32 s6, s1, s15
	s_mul_hi_u32 s1, s0, s12
	s_lshl_b64 s[6:7], s[6:7], 3
	s_add_u32 s6, s18, s6
	s_addc_u32 s7, s19, s7
	s_add_i32 s1, s1, s0
	s_lshr_b32 s1, s1, s13
	s_mul_i32 s5, s1, s14
	s_cmp_eq_u32 s5, s0
	s_cselect_b32 s5, -1, 0
	s_cmp_lt_u32 s1, s11
	s_cselect_b32 s1, -1, 0
	s_or_b32 s1, s1, s5
	s_mov_b32 s5, -1
	s_and_b32 vcc_lo, exec_lo, s1
	s_mov_b32 s1, s8
	s_cbranch_vccnz .LBB42_16
; %bb.15:                               ;   in Loop: Header=BB42_9 Depth=1
	s_add_i32 s1, s8, -1
	s_mov_b32 s5, 0
	s_mov_b32 s16, s0
.LBB42_16:                              ;   in Loop: Header=BB42_9 Depth=1
	v_lshl_add_u32 v7, s8, 11, v0
	s_load_dwordx2 s[6:7], s[6:7], 0x0
	v_ashrrev_i32_e32 v8, 31, v7
	v_lshlrev_b64 v[7:8], 2, v[7:8]
	v_add_co_u32 v7, vcc_lo, s20, v7
	v_add_co_ci_u32_e64 v8, null, s21, v8, vcc_lo
	s_waitcnt lgkmcnt(0)
	v_max_f32_e64 v9, s6, s6
	global_load_dword v8, v[7:8], off
	v_max_f32_e32 v7, v6, v6
	v_max_f32_e32 v7, v7, v9
	v_sub_f32_e32 v9, s6, v7
	v_sub_f32_e32 v10, v6, v7
	v_mul_f32_e32 v11, 0x3fb8aa3b, v9
	v_mul_f32_e32 v12, 0x3fb8aa3b, v10
	v_cmp_ngt_f32_e32 vcc_lo, 0xc2ce8ed0, v9
	v_fma_f32 v13, 0x3fb8aa3b, v9, -v11
	v_rndne_f32_e32 v14, v11
	v_fma_f32 v15, 0x3fb8aa3b, v10, -v12
	v_rndne_f32_e32 v16, v12
	v_fmac_f32_e32 v13, 0x32a5705f, v9
	v_sub_f32_e32 v11, v11, v14
	v_fmac_f32_e32 v15, 0x32a5705f, v10
	v_sub_f32_e32 v12, v12, v16
	v_add_f32_e32 v11, v11, v13
	v_cvt_i32_f32_e32 v13, v14
	v_add_f32_e32 v12, v12, v15
	v_cvt_i32_f32_e32 v14, v16
	v_exp_f32_e32 v11, v11
	v_exp_f32_e32 v12, v12
	v_ldexp_f32 v11, v11, v13
	v_ldexp_f32 v12, v12, v14
	v_cndmask_b32_e32 v11, 0, v11, vcc_lo
	v_cmp_ngt_f32_e32 vcc_lo, 0xc2ce8ed0, v10
	v_cndmask_b32_e32 v12, 0, v12, vcc_lo
	v_cmp_nlt_f32_e32 vcc_lo, 0x42b17218, v9
	v_cndmask_b32_e32 v11, 0x7f800000, v11, vcc_lo
	v_cmp_nlt_f32_e32 vcc_lo, 0x42b17218, v10
	v_cndmask_b32_e32 v12, 0x7f800000, v12, vcc_lo
	v_cmp_le_f32_e32 vcc_lo, 0xc1a00000, v9
	v_cndmask_b32_e32 v9, 0, v11, vcc_lo
	v_cmp_le_f32_e32 vcc_lo, 0xc1a00000, v10
	v_cndmask_b32_e32 v10, 0, v12, vcc_lo
	s_waitcnt vmcnt(0)
	v_mul_f32_e32 v8, v8, v9
	v_mul_f32_e32 v9, s7, v9
	v_fmac_f32_e32 v8, v3, v10
	v_fmac_f32_e32 v9, v5, v10
	s_cbranch_execz .LBB42_19
.LBB42_17:                              ;   in Loop: Header=BB42_9 Depth=1
	s_andn2_b32 vcc_lo, exec_lo, s5
	s_cbranch_vccnz .LBB42_20
	s_branch .LBB42_23
.LBB42_18:                              ;   in Loop: Header=BB42_9 Depth=1
	s_andn2_b32 vcc_lo, exec_lo, s6
	s_cbranch_vccnz .LBB42_17
.LBB42_19:                              ;   in Loop: Header=BB42_9 Depth=1
	v_mov_b32_e32 v9, v5
	v_mov_b32_e32 v7, v6
	s_waitcnt vmcnt(0)
	v_mov_b32_e32 v8, v3
	s_add_i32 s1, s8, -1
	s_mov_b32 s16, s10
	s_cbranch_execz .LBB42_23
.LBB42_20:                              ;   in Loop: Header=BB42_9 Depth=1
	v_mov_b32_e32 v5, v9
	v_mov_b32_e32 v6, v7
	s_waitcnt vmcnt(0)
	v_mov_b32_e32 v3, v8
	s_mov_b32 s10, s16
	s_mov_b32 s8, s1
	s_branch .LBB42_9
.LBB42_21:
                                        ; implicit-def: $sgpr10_sgpr11
	s_load_dwordx4 s[12:15], s[4:5], 0x44
	s_branch .LBB42_2
.LBB42_22:
                                        ; implicit-def: $sgpr18_sgpr19
	s_branch .LBB42_5
.LBB42_23:
	v_div_scale_f32 v0, null, v9, v9, v8
	s_waitcnt vmcnt(0)
	v_rcp_f32_e32 v3, v0
	v_fma_f32 v4, -v0, v3, 1.0
	v_fmac_f32_e32 v3, v4, v3
	v_div_scale_f32 v4, vcc_lo, v8, v9, v8
	v_mul_f32_e32 v5, v4, v3
	v_fma_f32 v6, -v0, v5, v4
	v_fmac_f32_e32 v5, v6, v3
	v_fma_f32 v0, -v0, v5, v4
	v_div_fmas_f32 v0, v0, v3, v5
	v_div_fixup_f32 v0, v0, v9, v8
	global_store_dword v[1:2], v0, off
.LBB42_24:
	s_endpgm
	.section	.rodata,"a",@progbits
	.p2align	6, 0x0
	.amdhsa_kernel _ZL33flash_attn_stream_k_fixup_generalILi128ELi8ELi2EEvPfPK15HIP_vector_typeIfLj2EEiiiiS1_IjLj3EES5_S5_S5_
		.amdhsa_group_segment_fixed_size 0
		.amdhsa_private_segment_fixed_size 0
		.amdhsa_kernarg_size 336
		.amdhsa_user_sgpr_count 6
		.amdhsa_user_sgpr_private_segment_buffer 1
		.amdhsa_user_sgpr_dispatch_ptr 0
		.amdhsa_user_sgpr_queue_ptr 0
		.amdhsa_user_sgpr_kernarg_segment_ptr 1
		.amdhsa_user_sgpr_dispatch_id 0
		.amdhsa_user_sgpr_flat_scratch_init 0
		.amdhsa_user_sgpr_private_segment_size 0
		.amdhsa_wavefront_size32 1
		.amdhsa_uses_dynamic_stack 0
		.amdhsa_system_sgpr_private_segment_wavefront_offset 0
		.amdhsa_system_sgpr_workgroup_id_x 1
		.amdhsa_system_sgpr_workgroup_id_y 1
		.amdhsa_system_sgpr_workgroup_id_z 1
		.amdhsa_system_sgpr_workgroup_info 0
		.amdhsa_system_vgpr_workitem_id 0
		.amdhsa_next_free_vgpr 17
		.amdhsa_next_free_sgpr 31
		.amdhsa_reserve_vcc 1
		.amdhsa_reserve_flat_scratch 0
		.amdhsa_float_round_mode_32 0
		.amdhsa_float_round_mode_16_64 0
		.amdhsa_float_denorm_mode_32 3
		.amdhsa_float_denorm_mode_16_64 3
		.amdhsa_dx10_clamp 1
		.amdhsa_ieee_mode 1
		.amdhsa_fp16_overflow 0
		.amdhsa_workgroup_processor_mode 1
		.amdhsa_memory_ordered 1
		.amdhsa_forward_progress 1
		.amdhsa_shared_vgpr_count 0
		.amdhsa_exception_fp_ieee_invalid_op 0
		.amdhsa_exception_fp_denorm_src 0
		.amdhsa_exception_fp_ieee_div_zero 0
		.amdhsa_exception_fp_ieee_overflow 0
		.amdhsa_exception_fp_ieee_underflow 0
		.amdhsa_exception_fp_ieee_inexact 0
		.amdhsa_exception_int_div_zero 0
	.end_amdhsa_kernel
	.section	.text._ZL33flash_attn_stream_k_fixup_generalILi128ELi8ELi2EEvPfPK15HIP_vector_typeIfLj2EEiiiiS1_IjLj3EES5_S5_S5_,"axG",@progbits,_ZL33flash_attn_stream_k_fixup_generalILi128ELi8ELi2EEvPfPK15HIP_vector_typeIfLj2EEiiiiS1_IjLj3EES5_S5_S5_,comdat
.Lfunc_end42:
	.size	_ZL33flash_attn_stream_k_fixup_generalILi128ELi8ELi2EEvPfPK15HIP_vector_typeIfLj2EEiiiiS1_IjLj3EES5_S5_S5_, .Lfunc_end42-_ZL33flash_attn_stream_k_fixup_generalILi128ELi8ELi2EEvPfPK15HIP_vector_typeIfLj2EEiiiiS1_IjLj3EES5_S5_S5_
                                        ; -- End function
	.set _ZL33flash_attn_stream_k_fixup_generalILi128ELi8ELi2EEvPfPK15HIP_vector_typeIfLj2EEiiiiS1_IjLj3EES5_S5_S5_.num_vgpr, 17
	.set _ZL33flash_attn_stream_k_fixup_generalILi128ELi8ELi2EEvPfPK15HIP_vector_typeIfLj2EEiiiiS1_IjLj3EES5_S5_S5_.num_agpr, 0
	.set _ZL33flash_attn_stream_k_fixup_generalILi128ELi8ELi2EEvPfPK15HIP_vector_typeIfLj2EEiiiiS1_IjLj3EES5_S5_S5_.numbered_sgpr, 31
	.set _ZL33flash_attn_stream_k_fixup_generalILi128ELi8ELi2EEvPfPK15HIP_vector_typeIfLj2EEiiiiS1_IjLj3EES5_S5_S5_.num_named_barrier, 0
	.set _ZL33flash_attn_stream_k_fixup_generalILi128ELi8ELi2EEvPfPK15HIP_vector_typeIfLj2EEiiiiS1_IjLj3EES5_S5_S5_.private_seg_size, 0
	.set _ZL33flash_attn_stream_k_fixup_generalILi128ELi8ELi2EEvPfPK15HIP_vector_typeIfLj2EEiiiiS1_IjLj3EES5_S5_S5_.uses_vcc, 1
	.set _ZL33flash_attn_stream_k_fixup_generalILi128ELi8ELi2EEvPfPK15HIP_vector_typeIfLj2EEiiiiS1_IjLj3EES5_S5_S5_.uses_flat_scratch, 0
	.set _ZL33flash_attn_stream_k_fixup_generalILi128ELi8ELi2EEvPfPK15HIP_vector_typeIfLj2EEiiiiS1_IjLj3EES5_S5_S5_.has_dyn_sized_stack, 0
	.set _ZL33flash_attn_stream_k_fixup_generalILi128ELi8ELi2EEvPfPK15HIP_vector_typeIfLj2EEiiiiS1_IjLj3EES5_S5_S5_.has_recursion, 0
	.set _ZL33flash_attn_stream_k_fixup_generalILi128ELi8ELi2EEvPfPK15HIP_vector_typeIfLj2EEiiiiS1_IjLj3EES5_S5_S5_.has_indirect_call, 0
	.section	.AMDGPU.csdata,"",@progbits
; Kernel info:
; codeLenInByte = 2944
; TotalNumSgprs: 33
; NumVgprs: 17
; ScratchSize: 0
; MemoryBound: 0
; FloatMode: 240
; IeeeMode: 1
; LDSByteSize: 0 bytes/workgroup (compile time only)
; SGPRBlocks: 0
; VGPRBlocks: 2
; NumSGPRsForWavesPerEU: 33
; NumVGPRsForWavesPerEU: 17
; Occupancy: 16
; WaveLimiterHint : 0
; COMPUTE_PGM_RSRC2:SCRATCH_EN: 0
; COMPUTE_PGM_RSRC2:USER_SGPR: 6
; COMPUTE_PGM_RSRC2:TRAP_HANDLER: 0
; COMPUTE_PGM_RSRC2:TGID_X_EN: 1
; COMPUTE_PGM_RSRC2:TGID_Y_EN: 1
; COMPUTE_PGM_RSRC2:TGID_Z_EN: 1
; COMPUTE_PGM_RSRC2:TIDIG_COMP_CNT: 0
	.section	.text._ZL15flash_attn_tileILi128ELi128ELi4ELi2ELb0EEvPKcS1_S1_S1_S1_PKiPfP15HIP_vector_typeIfLj2EEffffjfiS5_IjLj3EEiiiiiiiiiiiliiliiiiil,"axG",@progbits,_ZL15flash_attn_tileILi128ELi128ELi4ELi2ELb0EEvPKcS1_S1_S1_S1_PKiPfP15HIP_vector_typeIfLj2EEffffjfiS5_IjLj3EEiiiiiiiiiiiliiliiiiil,comdat
	.globl	_ZL15flash_attn_tileILi128ELi128ELi4ELi2ELb0EEvPKcS1_S1_S1_S1_PKiPfP15HIP_vector_typeIfLj2EEffffjfiS5_IjLj3EEiiiiiiiiiiiliiliiiiil ; -- Begin function _ZL15flash_attn_tileILi128ELi128ELi4ELi2ELb0EEvPKcS1_S1_S1_S1_PKiPfP15HIP_vector_typeIfLj2EEffffjfiS5_IjLj3EEiiiiiiiiiiiliiliiiiil
	.p2align	8
	.type	_ZL15flash_attn_tileILi128ELi128ELi4ELi2ELb0EEvPKcS1_S1_S1_S1_PKiPfP15HIP_vector_typeIfLj2EEffffjfiS5_IjLj3EEiiiiiiiiiiiliiliiiiil,@function
_ZL15flash_attn_tileILi128ELi128ELi4ELi2ELb0EEvPKcS1_S1_S1_S1_PKiPfP15HIP_vector_typeIfLj2EEffffjfiS5_IjLj3EEiiiiiiiiiiiliiliiiiil: ; @_ZL15flash_attn_tileILi128ELi128ELi4ELi2ELb0EEvPKcS1_S1_S1_S1_PKiPfP15HIP_vector_typeIfLj2EEffffjfiS5_IjLj3EEiiiiiiiiiiiliiliiiiil
; %bb.0:
	s_clause 0x1
	s_load_dwordx4 s[24:27], s[4:5], 0x5c
	s_load_dwordx2 s[34:35], s[4:5], 0x80
	s_mov_b32 s28, s7
	s_mov_b64 s[36:37], 0
	s_waitcnt lgkmcnt(0)
	s_lshr_b32 s0, s27, 31
	s_add_i32 s0, s27, s0
	s_ashr_i32 s0, s0, 1
	v_cvt_f32_u32_e32 v2, s0
	s_sub_i32 s2, 0, s0
	v_rcp_iflag_f32_e32 v2, v2
	v_mul_f32_e32 v2, 0x4f7ffffe, v2
	v_cvt_u32_f32_e32 v2, v2
	v_readfirstlane_b32 s1, v2
	s_mul_i32 s2, s2, s1
	s_mul_hi_u32 s2, s1, s2
	s_add_i32 s1, s1, s2
	s_mul_hi_u32 s1, s8, s1
	s_mul_i32 s2, s1, s0
	s_add_i32 s3, s1, 1
	s_sub_i32 s2, s8, s2
	s_sub_i32 s7, s2, s0
	s_cmp_ge_u32 s2, s0
	s_cselect_b32 s1, s3, s1
	s_cselect_b32 s2, s7, s2
	s_add_i32 s3, s1, 1
	s_cmp_ge_u32 s2, s0
	s_cselect_b32 s29, s3, s1
	s_abs_i32 s0, s35
	s_lshl_b32 s3, s8, 1
	v_cvt_f32_u32_e32 v2, s0
	s_sub_i32 s2, 0, s0
	s_abs_i32 s8, s27
	s_mul_i32 s7, s29, s27
	v_rcp_iflag_f32_e32 v2, v2
	s_sub_i32 s30, s3, s7
	v_mul_f32_e32 v2, 0x4f7ffffe, v2
	v_cvt_u32_f32_e32 v2, v2
	v_readfirstlane_b32 s1, v2
	s_mul_i32 s2, s2, s1
	s_mul_hi_u32 s2, s1, s2
	s_add_i32 s1, s1, s2
	s_xor_b32 s2, s27, s35
	s_mul_hi_u32 s1, s8, s1
	s_ashr_i32 s2, s2, 31
	s_mul_i32 s3, s1, s0
	s_add_i32 s7, s1, 1
	s_sub_i32 s3, s8, s3
	s_sub_i32 s8, s3, s0
	s_cmp_ge_u32 s3, s0
	s_cselect_b32 s1, s7, s1
	s_cselect_b32 s3, s8, s3
	s_add_i32 s7, s1, 1
	s_cmp_ge_u32 s3, s0
	s_clause 0x1
	s_load_dwordx16 s[8:23], s[4:5], 0x0
	s_load_dwordx2 s[38:39], s[4:5], 0xb8
	s_cselect_b32 s0, s7, s1
	s_xor_b32 s0, s0, s2
	s_sub_i32 s31, s0, s2
	s_abs_i32 s7, s31
	v_cvt_f32_u32_e32 v2, s7
	v_rcp_iflag_f32_e32 v2, v2
	s_waitcnt lgkmcnt(0)
	s_cmp_eq_u64 s[14:15], 0
	v_mul_f32_e32 v2, 0x4f7ffffe, v2
	v_cvt_u32_f32_e32 v2, v2
	v_readfirstlane_b32 s33, v2
	s_cbranch_scc1 .LBB43_2
; %bb.1:
	s_abs_i32 s2, s38
	s_abs_i32 s3, s29
	v_cvt_f32_u32_e32 v2, s2
	s_sub_i32 s1, 0, s2
	v_rcp_iflag_f32_e32 v2, v2
	v_mul_f32_e32 v2, 0x4f7ffffe, v2
	v_cvt_u32_f32_e32 v2, v2
	v_readfirstlane_b32 s0, v2
	s_mul_i32 s1, s1, s0
	s_mul_hi_u32 s1, s0, s1
	s_add_i32 s0, s0, s1
	s_mul_hi_u32 s35, s3, s0
	s_load_dwordx2 s[0:1], s[4:5], 0xc8
	s_mul_i32 s35, s35, s2
	s_sub_i32 s3, s3, s35
	s_ashr_i32 s35, s29, 31
	s_sub_i32 s36, s3, s2
	s_cmp_ge_u32 s3, s2
	s_cselect_b32 s3, s36, s3
	s_sub_i32 s36, s3, s2
	s_cmp_ge_u32 s3, s2
	s_cselect_b32 s2, s36, s3
	s_xor_b32 s2, s2, s35
	s_sub_i32 s2, s2, s35
	s_ashr_i32 s3, s2, 31
	s_waitcnt lgkmcnt(0)
	s_mul_hi_u32 s35, s0, s2
	s_mul_i32 s3, s0, s3
	s_mul_i32 s1, s1, s2
	s_add_i32 s3, s35, s3
	s_mul_i32 s0, s0, s2
	s_add_i32 s3, s3, s1
	s_add_u32 s36, s14, s0
	s_addc_u32 s37, s15, s3
.LBB43_2:
	v_lshl_add_u32 v2, s6, 2, v1
	s_load_dwordx4 s[0:3], s[4:5], 0x70
	v_lshl_add_u32 v31, v1, 9, 0x2400
	v_lshlrev_b32_e32 v32, 3, v0
	v_mul_hi_u32 v3, s24, v2
	v_add_nc_u32_e32 v3, v2, v3
	v_lshrrev_b32_e32 v3, s25, v3
	s_waitcnt lgkmcnt(0)
	s_mul_i32 s3, s29, s2
	s_mul_i32 s14, s30, s1
	v_mul_lo_u32 v3, v3, s26
	s_ashr_i32 s15, s3, 31
	s_add_u32 s3, s8, s3
	s_addc_u32 s8, s9, s15
	s_ashr_i32 s9, s14, 31
	s_add_u32 s14, s3, s14
	s_mov_b32 s2, s0
	s_addc_u32 s15, s8, s9
	v_sub_nc_u32_e32 v3, v2, v3
	s_ashr_i32 s3, s0, 31
	s_lshr_b64 s[8:9], s[2:3], 2
	s_lshr_b32 s0, s3, 2
	v_mad_u64_u32 v[4:5], null, s8, v3, 0
	v_mad_u64_u32 v[5:6], null, s0, v3, v[5:6]
	v_lshlrev_b32_e32 v6, 4, v0
	s_ashr_i32 s0, s1, 31
	s_and_b32 s1, s1, -4
	s_cmp_eq_u64 s[18:19], 0
	v_lshlrev_b64 v[4:5], 2, v[4:5]
	v_add_co_u32 v4, vcc_lo, s14, v4
	v_add_co_ci_u32_e64 v5, null, s15, v5, vcc_lo
	v_add_co_u32 v8, vcc_lo, v4, v6
	v_add_co_ci_u32_e64 v9, null, 0, v5, vcc_lo
	global_load_dwordx4 v[4:7], v[8:9], off
	v_add_co_u32 v8, vcc_lo, v8, s1
	v_add_co_ci_u32_e64 v9, null, s0, v9, vcc_lo
	s_load_dword s0, s[4:5], 0x40
	global_load_dwordx4 v[8:11], v[8:9], off
	s_waitcnt vmcnt(1) lgkmcnt(0)
	v_fma_mixlo_f16 v5, s0, v5, 0
	v_fma_mixlo_f16 v4, s0, v4, 0
	;; [unrolled: 1-line block ×4, first 2 shown]
	v_lshlrev_b32_e32 v5, 16, v5
	v_and_b32_e32 v4, 0xffff, v4
	v_and_b32_e32 v6, 0xffff, v6
	s_waitcnt vmcnt(0)
	v_fma_mixlo_f16 v9, s0, v9, 0
	v_fma_mixlo_f16 v8, s0, v8, 0
	;; [unrolled: 1-line block ×4, first 2 shown]
	v_lshlrev_b32_e32 v7, 16, v7
	v_lshlrev_b32_e32 v9, 16, v9
	v_and_b32_e32 v8, 0xffff, v8
	v_or_b32_e32 v4, v5, v4
	v_lshlrev_b32_e32 v11, 16, v11
	v_and_b32_e32 v10, 0xffff, v10
	v_or3_b32 v5, v7, v6, 0
	v_or_b32_e32 v8, v9, v8
	v_add_nc_u32_e32 v9, v31, v32
	v_or3_b32 v4, 0, 0, v4
	v_or3_b32 v7, v11, v10, 0
	;; [unrolled: 1-line block ×3, first 2 shown]
	ds_write2_b64 v9, v[4:5], v[6:7] offset1:32
	s_waitcnt lgkmcnt(0)
	s_barrier
	buffer_gl0_inv
	s_cbranch_scc1 .LBB43_4
; %bb.3:
	s_load_dword s0, s[4:5], 0xd0
	s_mov_b32 s1, 0
	s_waitcnt lgkmcnt(0)
	s_mul_i32 s0, s0, s29
	s_add_i32 s0, s0, s6
	s_lshl_b64 s[0:1], s[0:1], 2
	s_add_u32 s0, s18, s0
	s_addc_u32 s1, s19, s1
	s_load_dword s34, s[0:1], 0x0
.LBB43_4:
	v_mbcnt_lo_u32_b32 v33, -1, 0
	s_lshl_b32 s18, s28, 6
	s_waitcnt lgkmcnt(0)
	s_cmp_lt_i32 s18, s34
	s_cbranch_scc1 .LBB43_7
; %bb.5:
	v_mbcnt_lo_u32_b32 v5, -1, 0
	v_mov_b32_e32 v4, 32
	v_xor_b32_e32 v38, 16, v5
	v_xor_b32_e32 v37, 8, v5
	;; [unrolled: 1-line block ×5, first 2 shown]
	v_lshlrev_b32_e32 v30, 2, v0
	s_cbranch_execz .LBB43_8
; %bb.6:
	v_mov_b32_e32 v59, 0
	v_mov_b32_e32 v1, 0
	;; [unrolled: 1-line block ×8, first 2 shown]
	s_branch .LBB43_11
.LBB43_7:
                                        ; implicit-def: $vgpr5
                                        ; implicit-def: $vgpr4
                                        ; implicit-def: $vgpr38
                                        ; implicit-def: $vgpr37
                                        ; implicit-def: $vgpr36
                                        ; implicit-def: $vgpr35
                                        ; implicit-def: $vgpr34
	v_lshlrev_b32_e32 v30, 2, v0
.LBB43_8:
	s_clause 0x1
	s_load_dwordx4 s[0:3], s[4:5], 0x98
	s_load_dwordx2 s[8:9], s[4:5], 0x8c
	s_sub_i32 s6, 0, s7
	s_ashr_i32 s38, s29, 31
	s_mul_i32 s6, s6, s33
	s_abs_i32 s25, s30
	s_mul_hi_u32 s6, s33, s6
	s_ashr_i32 s35, s30, 31
	s_add_i32 s33, s33, s6
	s_ashr_i32 s31, s31, 31
	s_mul_hi_u32 s33, s25, s33
	s_load_dwordx2 s[14:15], s[4:5], 0xa8
	s_ashr_i32 s6, s39, 1
	s_mul_i32 s39, s33, s7
	v_lshrrev_b32_e32 v4, 3, v0
	v_and_b32_e32 v11, 28, v30
	v_lshrrev_b32_e32 v8, 4, v0
	v_and_b32_e32 v23, 60, v30
	v_lshl_add_u32 v46, v1, 8, 0x2c00
	v_lshl_add_u32 v4, v1, 2, v4
	s_waitcnt lgkmcnt(0)
	s_ashr_i32 s19, s2, 2
	s_ashr_i32 s24, s8, 2
	s_mul_hi_u32 s2, s0, s29
	s_mul_i32 s8, s0, s38
	s_mul_i32 s1, s1, s29
	s_add_i32 s2, s2, s8
	s_mul_i32 s0, s0, s29
	s_add_i32 s2, s2, s1
	s_add_u32 s0, s10, s0
	s_addc_u32 s1, s11, s2
	s_sub_i32 s8, s25, s39
	s_xor_b32 s2, s35, s31
	s_add_i32 s10, s33, 1
	s_sub_i32 s11, s8, s7
	s_cmp_ge_u32 s8, s7
	v_mul_lo_u32 v5, s24, v4
	s_cselect_b32 s10, s10, s33
	s_cselect_b32 s8, s11, s8
	s_add_i32 s11, s10, 1
	s_cmp_ge_u32 s8, s7
	s_mul_hi_u32 s8, s14, s29
	s_cselect_b32 s7, s11, s10
	s_mul_i32 s10, s15, s29
	s_xor_b32 s7, s7, s2
	v_lshlrev_b32_e32 v6, 2, v11
	s_sub_i32 s2, s7, s2
	s_mul_i32 s7, s14, s38
	s_mul_i32 s9, s2, s9
	;; [unrolled: 1-line block ×3, first 2 shown]
	s_ashr_i32 s11, s9, 31
	s_add_u32 s25, s0, s9
	s_addc_u32 s31, s1, s11
	s_add_i32 s0, s8, s7
	s_mul_i32 s1, s14, s29
	s_add_i32 s0, s0, s10
	s_add_u32 s1, s12, s1
	s_addc_u32 s0, s13, s0
	s_ashr_i32 s3, s2, 31
	s_add_u32 s13, s1, s2
	s_addc_u32 s33, s0, s3
	s_lshl_b32 s0, s24, 4
	v_mad_u32_u24 v39, 0x90, v4, v6
	v_lshl_add_u32 v4, v1, 1, v8
	v_add_nc_u32_e32 v7, s0, v5
	v_lshlrev_b32_e32 v13, 2, v23
	v_ashrrev_i32_e32 v6, 31, v5
	v_lshlrev_b32_e32 v50, 2, v11
	v_mul_lo_u32 v12, s19, v4
	v_add_nc_u32_e32 v9, s0, v7
	v_ashrrev_i32_e32 v8, 31, v7
	v_lshl_or_b32 v45, v4, 8, v13
	v_mad_u64_u32 v[3:4], null, v3, s6, v[0:1]
	v_add_nc_u32_e32 v14, s0, v9
	s_lshl_b32 s0, s19, 3
	v_ashrrev_i32_e32 v10, 31, v9
	v_add_nc_u32_e32 v16, s0, v12
	v_ashrrev_i32_e32 v13, 31, v12
	v_ashrrev_i32_e32 v15, 31, v14
	v_lshlrev_b64 v[4:5], 2, v[5:6]
	v_lshlrev_b64 v[6:7], 2, v[7:8]
	v_add_nc_u32_e32 v18, s0, v16
	v_ashrrev_i32_e32 v17, 31, v16
	v_lshlrev_b64 v[8:9], 2, v[9:10]
	v_lshlrev_b64 v[10:11], 2, v[14:15]
	;; [unrolled: 1-line block ×3, first 2 shown]
	v_add_nc_u32_e32 v21, s0, v18
	v_ashrrev_i32_e32 v19, 31, v18
	v_lshlrev_b64 v[14:15], 2, v[16:17]
	v_mov_b32_e32 v57, 0
	v_add_nc_u32_e32 v41, 0x900, v39
	v_ashrrev_i32_e32 v22, 31, v21
	v_lshlrev_b64 v[16:17], 2, v[18:19]
	v_add_nc_u32_e32 v42, 0x1200, v39
	v_add_nc_u32_e32 v43, 0x1b00, v39
	v_mul_u32_u24_e32 v44, 0x90, v0
	v_lshlrev_b64 v[18:19], 2, v[21:22]
	v_add_nc_u32_e32 v47, 0x800, v45
	v_add_nc_u32_e32 v48, 0x1000, v45
	;; [unrolled: 1-line block ×3, first 2 shown]
	v_mov_b32_e32 v20, 0xfeffffff
	v_xor_b32_e32 v38, 16, v33
	v_xor_b32_e32 v37, 8, v33
	;; [unrolled: 1-line block ×5, first 2 shown]
	v_add_nc_u32_e32 v51, v46, v30
	v_lshlrev_b32_e32 v52, 2, v23
	v_mov_b32_e32 v53, 0x10001
	v_add_nc_u32_e32 v54, 0x800, v32
	v_add_nc_u32_e32 v55, 0x1000, v32
	;; [unrolled: 1-line block ×3, first 2 shown]
	v_mov_b32_e32 v58, 0
	v_mov_b32_e32 v60, 0
	v_mov_b32_e32 v59, 0
	v_mov_b32_e32 v21, 0xfeffffff
	v_mov_b32_e32 v40, 0
	v_mov_b32_e32 v1, 0
	s_add_u32 s14, s4, 0xd0
	s_addc_u32 s15, s5, 0
.LBB43_9:                               ; =>This Inner Loop Header: Depth=1
	s_mul_hi_i32 s7, s18, s24
	s_mul_i32 s6, s18, s24
	v_cmp_gt_i32_e64 s3, 32, v35
	v_cmp_gt_i32_e64 s0, 32, v38
	s_lshl_b64 s[6:7], s[6:7], 2
	v_cmp_gt_i32_e64 s1, 32, v37
	v_cmp_gt_i32_e64 s2, 32, v36
	s_add_u32 s6, s25, s6
	v_mov_b32_e32 v61, v21
	v_cndmask_b32_e64 v25, v33, v35, s3
	s_addc_u32 s7, s31, s7
	v_add_co_u32 v21, s3, s6, v4
	v_cndmask_b32_e64 v22, v33, v38, s0
	v_add_co_u32 v27, s0, s6, v6
	v_cndmask_b32_e64 v23, v33, v37, s1
	v_add_co_u32 v29, s1, s6, v8
	v_add_co_ci_u32_e64 v26, null, s7, v5, s3
	v_cndmask_b32_e64 v24, v33, v36, s2
	v_add_co_u32 v68, s2, s6, v10
	v_add_co_ci_u32_e64 v28, null, s7, v7, s0
	v_add_co_ci_u32_e64 v67, null, s7, v9, s1
	;; [unrolled: 1-line block ×3, first 2 shown]
	v_add_co_u32 v86, s3, v21, v50
	v_add_co_u32 v80, s0, v27, v50
	v_add_co_u32 v82, s1, v29, v50
	v_add_co_ci_u32_e64 v87, null, 0, v26, s3
	v_add_co_u32 v84, s2, v68, v50
	v_add_co_ci_u32_e64 v81, null, 0, v28, s0
	v_add_co_ci_u32_e64 v83, null, 0, v67, s1
	;; [unrolled: 1-line block ×3, first 2 shown]
	s_clause 0x3
	global_load_dwordx4 v[26:29], v[86:87], off
	global_load_dwordx4 v[67:70], v[80:81], off
	;; [unrolled: 1-line block ×4, first 2 shown]
	v_mov_b32_e32 v63, 0
	v_mov_b32_e32 v64, 0
	v_mov_b32_e32 v65, 0
	v_mov_b32_e32 v66, 0
	v_mov_b32_e32 v62, v20
	v_add_nc_u32_e32 v20, s18, v3
	v_cmp_gt_i32_e32 vcc_lo, 32, v34
	s_mul_hi_i32 s9, s18, s19
	s_mul_i32 s8, s18, s19
	s_waitcnt vmcnt(3)
	ds_write_b128 v39, v[26:29]
	s_waitcnt vmcnt(2)
	ds_write_b128 v41, v[67:70]
	s_waitcnt vmcnt(1)
	ds_write_b128 v42, v[71:74]
	s_waitcnt vmcnt(0)
	ds_write_b128 v43, v[75:78]
	s_waitcnt lgkmcnt(0)
	s_barrier
	buffer_gl0_inv
	ds_read_b128 v[26:29], v44
	ds_read_b128 v[67:70], v31
	ds_read_b128 v[71:74], v31 offset:256
	ds_read_b128 v[75:78], v44 offset:4608
	s_waitcnt lgkmcnt(2)
	;;#ASMSTART
	v_dot2_f32_f16 v63, v26, v67, v63
	;;#ASMEND
	;;#ASMSTART
	v_dot2_f32_f16 v63, v27, v68, v63
	;;#ASMEND
	;;#ASMSTART
	v_dot2_f32_f16 v63, v28, v69, v63
	;;#ASMEND
	;;#ASMSTART
	v_dot2_f32_f16 v63, v29, v70, v63
	;;#ASMEND
	s_waitcnt lgkmcnt(1)
	;;#ASMSTART
	v_dot2_f32_f16 v64, v26, v71, v64
	;;#ASMEND
	;;#ASMSTART
	v_dot2_f32_f16 v64, v27, v72, v64
	;;#ASMEND
	;;#ASMSTART
	v_dot2_f32_f16 v64, v28, v73, v64
	;;#ASMEND
	;;#ASMSTART
	v_dot2_f32_f16 v64, v29, v74, v64
	;;#ASMEND
	s_waitcnt lgkmcnt(0)
	;;#ASMSTART
	v_dot2_f32_f16 v65, v75, v67, v65
	;;#ASMEND
	;;#ASMSTART
	v_dot2_f32_f16 v65, v76, v68, v65
	;;#ASMEND
	;;#ASMSTART
	v_dot2_f32_f16 v65, v77, v69, v65
	;;#ASMEND
	;;#ASMSTART
	v_dot2_f32_f16 v65, v78, v70, v65
	;;#ASMEND
	;;#ASMSTART
	v_dot2_f32_f16 v66, v75, v71, v66
	;;#ASMEND
	;;#ASMSTART
	v_dot2_f32_f16 v66, v76, v72, v66
	;;#ASMEND
	;;#ASMSTART
	v_dot2_f32_f16 v66, v77, v73, v66
	;;#ASMEND
	;;#ASMSTART
	v_dot2_f32_f16 v66, v78, v74, v66
	;;#ASMEND
	ds_read_b128 v[26:29], v44 offset:16
	ds_read_b128 v[67:70], v31 offset:16
	ds_read_b128 v[71:74], v31 offset:272
	ds_read_b128 v[75:78], v44 offset:4624
	s_waitcnt lgkmcnt(2)
	;;#ASMSTART
	v_dot2_f32_f16 v63, v26, v67, v63
	;;#ASMEND
	;;#ASMSTART
	v_dot2_f32_f16 v63, v27, v68, v63
	;;#ASMEND
	;;#ASMSTART
	v_dot2_f32_f16 v63, v28, v69, v63
	;;#ASMEND
	;;#ASMSTART
	v_dot2_f32_f16 v63, v29, v70, v63
	;;#ASMEND
	s_waitcnt lgkmcnt(1)
	;;#ASMSTART
	v_dot2_f32_f16 v64, v26, v71, v64
	;;#ASMEND
	;;#ASMSTART
	v_dot2_f32_f16 v64, v27, v72, v64
	;;#ASMEND
	;;#ASMSTART
	v_dot2_f32_f16 v64, v28, v73, v64
	;;#ASMEND
	;;#ASMSTART
	v_dot2_f32_f16 v64, v29, v74, v64
	;;#ASMEND
	s_waitcnt lgkmcnt(0)
	;;#ASMSTART
	v_dot2_f32_f16 v65, v75, v67, v65
	;;#ASMEND
	;;#ASMSTART
	v_dot2_f32_f16 v65, v76, v68, v65
	;;#ASMEND
	;;#ASMSTART
	v_dot2_f32_f16 v65, v77, v69, v65
	;;#ASMEND
	;;#ASMSTART
	v_dot2_f32_f16 v65, v78, v70, v65
	;;#ASMEND
	;;#ASMSTART
	v_dot2_f32_f16 v66, v75, v71, v66
	;;#ASMEND
	;;#ASMSTART
	v_dot2_f32_f16 v66, v76, v72, v66
	;;#ASMEND
	;;#ASMSTART
	v_dot2_f32_f16 v66, v77, v73, v66
	;;#ASMEND
	;;#ASMSTART
	v_dot2_f32_f16 v66, v78, v74, v66
	;;#ASMEND
	ds_read_b128 v[26:29], v44 offset:32
	ds_read_b128 v[67:70], v31 offset:32
	;; [unrolled: 55-line block ×7, first 2 shown]
	ds_read_b128 v[72:75], v31 offset:368
	ds_read_b128 v[76:79], v44 offset:4720
	s_waitcnt lgkmcnt(2)
	;;#ASMSTART
	v_dot2_f32_f16 v63, v26, v67, v63
	;;#ASMEND
	;;#ASMSTART
	v_dot2_f32_f16 v63, v27, v68, v63
	;;#ASMEND
	;; [unrolled: 3-line block ×4, first 2 shown]
	s_waitcnt lgkmcnt(1)
	;;#ASMSTART
	v_dot2_f32_f16 v64, v26, v72, v64
	;;#ASMEND
	;;#ASMSTART
	v_dot2_f32_f16 v64, v27, v73, v64
	;;#ASMEND
	;; [unrolled: 3-line block ×4, first 2 shown]
	s_waitcnt lgkmcnt(0)
	;;#ASMSTART
	v_dot2_f32_f16 v65, v76, v67, v65
	;;#ASMEND
	v_cndmask_b32_e32 v26, v33, v34, vcc_lo
	v_ashrrev_i32_e32 v21, 31, v20
	;;#ASMSTART
	v_dot2_f32_f16 v65, v77, v68, v65
	;;#ASMEND
	;;#ASMSTART
	v_dot2_f32_f16 v65, v78, v69, v65
	;;#ASMEND
	;; [unrolled: 3-line block ×6, first 2 shown]
	v_lshlrev_b32_e32 v71, 2, v22
	v_lshlrev_b32_e32 v70, 2, v23
	;; [unrolled: 1-line block ×5, first 2 shown]
	v_lshlrev_b64 v[28:29], 1, v[20:21]
	;;#ASMSTART
	v_dot2_f32_f16 v66, v79, v75, v66
	;;#ASMEND
	s_barrier
	buffer_gl0_inv
	s_clause 0x3
	global_load_dwordx4 v[20:23], v[86:87], off offset:128
	global_load_dwordx4 v[24:27], v[80:81], off offset:128
	;; [unrolled: 1-line block ×4, first 2 shown]
	s_lshl_b64 s[0:1], s[8:9], 2
	s_waitcnt vmcnt(3)
	ds_write_b128 v39, v[20:23]
	s_waitcnt vmcnt(2)
	ds_write_b128 v41, v[24:27]
	;; [unrolled: 2-line block ×4, first 2 shown]
	s_waitcnt lgkmcnt(0)
	s_barrier
	buffer_gl0_inv
	ds_read_b128 v[20:23], v44
	ds_read_b128 v[24:27], v31 offset:128
	ds_read_b128 v[72:75], v31 offset:384
	ds_read_b128 v[76:79], v44 offset:4608
	s_waitcnt lgkmcnt(2)
	;;#ASMSTART
	v_dot2_f32_f16 v63, v20, v24, v63
	;;#ASMEND
	;;#ASMSTART
	v_dot2_f32_f16 v63, v21, v25, v63
	;;#ASMEND
	;;#ASMSTART
	v_dot2_f32_f16 v63, v22, v26, v63
	;;#ASMEND
	;;#ASMSTART
	v_dot2_f32_f16 v63, v23, v27, v63
	;;#ASMEND
	s_waitcnt lgkmcnt(1)
	;;#ASMSTART
	v_dot2_f32_f16 v64, v20, v72, v64
	;;#ASMEND
	;;#ASMSTART
	v_dot2_f32_f16 v64, v21, v73, v64
	;;#ASMEND
	;;#ASMSTART
	v_dot2_f32_f16 v64, v22, v74, v64
	;;#ASMEND
	;;#ASMSTART
	v_dot2_f32_f16 v64, v23, v75, v64
	;;#ASMEND
	s_waitcnt lgkmcnt(0)
	;;#ASMSTART
	v_dot2_f32_f16 v65, v76, v24, v65
	;;#ASMEND
	;;#ASMSTART
	v_dot2_f32_f16 v65, v77, v25, v65
	;;#ASMEND
	;;#ASMSTART
	v_dot2_f32_f16 v65, v78, v26, v65
	;;#ASMEND
	;;#ASMSTART
	v_dot2_f32_f16 v65, v79, v27, v65
	;;#ASMEND
	;;#ASMSTART
	v_dot2_f32_f16 v66, v76, v72, v66
	;;#ASMEND
	;;#ASMSTART
	v_dot2_f32_f16 v66, v77, v73, v66
	;;#ASMEND
	;;#ASMSTART
	v_dot2_f32_f16 v66, v78, v74, v66
	;;#ASMEND
	;;#ASMSTART
	v_dot2_f32_f16 v66, v79, v75, v66
	;;#ASMEND
	ds_read_b128 v[20:23], v44 offset:16
	ds_read_b128 v[24:27], v31 offset:144
	ds_read_b128 v[72:75], v31 offset:400
	ds_read_b128 v[76:79], v44 offset:4624
	s_waitcnt lgkmcnt(2)
	;;#ASMSTART
	v_dot2_f32_f16 v63, v20, v24, v63
	;;#ASMEND
	;;#ASMSTART
	v_dot2_f32_f16 v63, v21, v25, v63
	;;#ASMEND
	;;#ASMSTART
	v_dot2_f32_f16 v63, v22, v26, v63
	;;#ASMEND
	;;#ASMSTART
	v_dot2_f32_f16 v63, v23, v27, v63
	;;#ASMEND
	s_waitcnt lgkmcnt(1)
	;;#ASMSTART
	v_dot2_f32_f16 v64, v20, v72, v64
	;;#ASMEND
	;;#ASMSTART
	v_dot2_f32_f16 v64, v21, v73, v64
	;;#ASMEND
	;;#ASMSTART
	v_dot2_f32_f16 v64, v22, v74, v64
	;;#ASMEND
	;;#ASMSTART
	v_dot2_f32_f16 v64, v23, v75, v64
	;;#ASMEND
	s_waitcnt lgkmcnt(0)
	;;#ASMSTART
	v_dot2_f32_f16 v65, v76, v24, v65
	;;#ASMEND
	;;#ASMSTART
	v_dot2_f32_f16 v65, v77, v25, v65
	;;#ASMEND
	;;#ASMSTART
	v_dot2_f32_f16 v65, v78, v26, v65
	;;#ASMEND
	;;#ASMSTART
	v_dot2_f32_f16 v65, v79, v27, v65
	;;#ASMEND
	;;#ASMSTART
	v_dot2_f32_f16 v66, v76, v72, v66
	;;#ASMEND
	;;#ASMSTART
	v_dot2_f32_f16 v66, v77, v73, v66
	;;#ASMEND
	;;#ASMSTART
	v_dot2_f32_f16 v66, v78, v74, v66
	;;#ASMEND
	;;#ASMSTART
	v_dot2_f32_f16 v66, v79, v75, v66
	;;#ASMEND
	ds_read_b128 v[20:23], v44 offset:32
	;; [unrolled: 55-line block ×7, first 2 shown]
	ds_read_b128 v[24:27], v31 offset:240
	ds_read_b128 v[72:75], v31 offset:496
	;; [unrolled: 1-line block ×3, first 2 shown]
	s_add_u32 s2, s13, s0
	s_waitcnt lgkmcnt(2)
	;;#ASMSTART
	v_dot2_f32_f16 v63, v20, v24, v63
	;;#ASMEND
	s_addc_u32 s3, s33, s1
	v_add_co_u32 v88, vcc_lo, s2, v12
	;;#ASMSTART
	v_dot2_f32_f16 v63, v21, v25, v63
	;;#ASMEND
	s_or_b32 s6, s18, 32
	;;#ASMSTART
	v_dot2_f32_f16 v63, v22, v26, v63
	;;#ASMEND
	v_add_co_u32 v89, s0, s2, v14
	v_add_co_u32 v90, s1, s2, v16
	;; [unrolled: 1-line block ×3, first 2 shown]
	v_add_co_ci_u32_e64 v92, null, s3, v13, vcc_lo
	;;#ASMSTART
	v_dot2_f32_f16 v63, v23, v27, v63
	;;#ASMEND
	s_waitcnt lgkmcnt(1)
	;;#ASMSTART
	v_dot2_f32_f16 v64, v20, v72, v64
	;;#ASMEND
	s_mul_hi_i32 s7, s6, s19
	s_mul_i32 s6, s6, s19
	;;#ASMSTART
	v_dot2_f32_f16 v64, v21, v73, v64
	;;#ASMEND
	v_add_co_ci_u32_e64 v94, null, s3, v17, s1
	;;#ASMSTART
	v_dot2_f32_f16 v64, v22, v74, v64
	;;#ASMEND
	v_add_co_ci_u32_e64 v22, null, s3, v19, s2
	v_add_co_ci_u32_e64 v93, null, s3, v15, s0
	s_lshl_b64 s[2:3], s[6:7], 2
	v_add_co_u32 v20, s0, v88, v52
	v_add_co_u32 v80, vcc_lo, v91, v52
	s_add_u32 s6, s13, s2
	v_add_co_ci_u32_e64 v21, null, 0, v92, s0
	v_add_co_u32 v84, s0, v90, v52
	;;#ASMSTART
	v_dot2_f32_f16 v64, v23, v75, v64
	;;#ASMEND
	v_add_co_u32 v82, s1, v89, v52
	s_addc_u32 s7, s33, s3
	v_add_co_ci_u32_e64 v85, null, 0, v94, s0
	v_add_co_ci_u32_e64 v81, null, 0, v22, vcc_lo
	v_add_co_u32 v86, vcc_lo, s36, v28
	v_add_co_u32 v23, s0, s6, v14
	s_waitcnt lgkmcnt(0)
	;;#ASMSTART
	v_dot2_f32_f16 v65, v76, v24, v65
	;;#ASMEND
	v_add_co_u32 v24, s3, s6, v12
	v_add_co_ci_u32_e64 v83, null, 0, v93, s1
	;;#ASMSTART
	v_dot2_f32_f16 v65, v77, v25, v65
	;;#ASMEND
	v_add_co_u32 v25, s1, s6, v16
	v_add_co_ci_u32_e64 v87, null, s37, v29, vcc_lo
	v_add_co_ci_u32_e64 v88, null, s7, v15, s0
	;;#ASMSTART
	v_dot2_f32_f16 v65, v78, v26, v65
	;;#ASMEND
	;;#ASMSTART
	v_dot2_f32_f16 v65, v79, v27, v65
	;;#ASMEND
	;; [unrolled: 3-line block ×3, first 2 shown]
	v_add_co_u32 v22, s2, s6, v18
	v_add_co_ci_u32_e64 v89, null, s7, v17, s1
	;;#ASMSTART
	v_dot2_f32_f16 v66, v77, v73, v66
	;;#ASMEND
	v_add_co_u32 v28, s0, v24, v52
	v_add_co_u32 v24, s1, v23, v52
	;;#ASMSTART
	v_dot2_f32_f16 v66, v78, v74, v66
	;;#ASMEND
	;;#ASMSTART
	v_dot2_f32_f16 v66, v79, v75, v66
	;;#ASMEND
	v_add_co_ci_u32_e64 v72, null, s7, v19, s2
	v_add_co_u32 v26, s2, v25, v52
	v_add_co_ci_u32_e64 v25, null, 0, v88, s1
	s_clause 0x1
	global_load_ushort v88, v[86:87], off
	global_load_ushort v86, v[86:87], off offset:64
	v_add_co_u32 v22, vcc_lo, v22, v52
	v_add_co_ci_u32_e64 v23, null, 0, v72, vcc_lo
	s_waitcnt vmcnt(0)
	s_barrier
	buffer_gl0_inv
	s_clause 0x1
	global_load_dwordx4 v[72:75], v[20:21], off
	global_load_dwordx4 v[76:79], v[82:83], off
	v_add_co_ci_u32_e64 v27, null, s7, v13, s3
	v_add_co_ci_u32_e64 v29, null, 0, v27, s0
	;; [unrolled: 1-line block ×3, first 2 shown]
	v_cvt_f32_f16_e32 v20, v88
	v_cvt_f32_f16_e32 v21, v86
	v_add_f32_e32 v63, v63, v20
	v_add_f32_e32 v65, v65, v21
	;; [unrolled: 1-line block ×8, first 2 shown]
	v_max3_f32 v20, v62, v20, v21
	v_max3_f32 v21, v61, v82, v83
	ds_bpermute_b32 v82, v71, v20
	ds_bpermute_b32 v71, v71, v21
	s_waitcnt lgkmcnt(1)
	v_max_f32_e32 v82, v82, v82
	s_waitcnt lgkmcnt(0)
	v_max_f32_e32 v71, v71, v71
	v_max_f32_e32 v20, v20, v82
	v_max_f32_e32 v21, v21, v71
	ds_bpermute_b32 v71, v70, v20
	ds_bpermute_b32 v70, v70, v21
	s_waitcnt lgkmcnt(1)
	v_max_f32_e32 v71, v71, v71
	s_waitcnt lgkmcnt(0)
	v_max_f32_e32 v70, v70, v70
	v_max_f32_e32 v20, v20, v71
	v_max_f32_e32 v21, v21, v70
	;; [unrolled: 8-line block ×5, first 2 shown]
	v_sub_f32_e32 v63, v63, v20
	v_sub_f32_e32 v62, v62, v20
	;; [unrolled: 1-line block ×5, first 2 shown]
	v_mul_f32_e32 v67, 0x3fb8aa3b, v63
	v_mul_f32_e32 v69, 0x3fb8aa3b, v62
	;; [unrolled: 1-line block ×3, first 2 shown]
	v_sub_f32_e32 v61, v61, v21
	v_mul_f32_e32 v70, 0x3fb8aa3b, v64
	v_fma_f32 v83, 0x3fb8aa3b, v63, -v67
	v_mul_f32_e32 v71, 0x3fb8aa3b, v66
	v_cmp_ngt_f32_e64 s6, 0xc2ce8ed0, v63
	v_cmp_nlt_f32_e64 s12, 0x42b17218, v63
	v_fma_f32 v86, 0x3fb8aa3b, v65, -v68
	v_fmac_f32_e32 v83, 0x32a5705f, v63
	v_fma_f32 v63, 0x3fb8aa3b, v62, -v69
	v_mul_f32_e32 v82, 0x3fb8aa3b, v61
	v_cmp_ngt_f32_e32 vcc_lo, 0xc2ce8ed0, v65
	v_cmp_ngt_f32_e64 s0, 0xc2ce8ed0, v62
	v_cmp_nlt_f32_e64 s7, 0x42b17218, v65
	v_cmp_nlt_f32_e64 s8, 0x42b17218, v62
	v_fmac_f32_e32 v86, 0x32a5705f, v65
	v_fma_f32 v65, 0x3fb8aa3b, v64, -v70
	v_fmac_f32_e32 v63, 0x32a5705f, v62
	v_fma_f32 v62, 0x3fb8aa3b, v66, -v71
	v_cmp_ngt_f32_e64 s1, 0xc2ce8ed0, v64
	v_cmp_ngt_f32_e64 s2, 0xc2ce8ed0, v66
	v_cmp_nlt_f32_e64 s9, 0x42b17218, v64
	v_cmp_nlt_f32_e64 s10, 0x42b17218, v66
	v_fmac_f32_e32 v65, 0x32a5705f, v64
	v_fma_f32 v64, 0x3fb8aa3b, v61, -v82
	v_fmac_f32_e32 v62, 0x32a5705f, v66
	v_rndne_f32_e32 v66, v67
	v_cmp_ngt_f32_e64 s3, 0xc2ce8ed0, v61
	v_cmp_nlt_f32_e64 s11, 0x42b17218, v61
	v_fmac_f32_e32 v64, 0x32a5705f, v61
	v_rndne_f32_e32 v61, v68
	v_sub_f32_e32 v67, v67, v66
	v_rndne_f32_e32 v87, v69
	v_rndne_f32_e32 v88, v70
	;; [unrolled: 1-line block ×4, first 2 shown]
	v_add_f32_e32 v83, v67, v83
	v_sub_f32_e32 v67, v68, v61
	v_cvt_i32_f32_e32 v61, v61
	v_sub_f32_e32 v68, v82, v90
	v_cvt_i32_f32_e32 v66, v66
	v_add_f32_e32 v86, v67, v86
	v_sub_f32_e32 v67, v69, v87
	v_add_f32_e32 v64, v68, v64
	v_exp_f32_e32 v82, v86
	v_add_f32_e32 v63, v67, v63
	v_sub_f32_e32 v67, v70, v88
	v_exp_f32_e32 v64, v64
	v_cvt_i32_f32_e32 v86, v90
	v_exp_f32_e32 v63, v63
	v_add_f32_e32 v65, v67, v65
	v_sub_f32_e32 v67, v71, v89
	v_exp_f32_e32 v71, v83
	v_ldexp_f32 v61, v82, v61
	global_load_dwordx4 v[80:83], v[80:81], off
	v_exp_f32_e32 v65, v65
	v_add_f32_e32 v62, v67, v62
	global_load_dwordx4 v[67:70], v[84:85], off
	v_cvt_i32_f32_e32 v84, v88
	v_cvt_i32_f32_e32 v85, v89
	v_ldexp_f32 v64, v64, v86
	v_exp_f32_e32 v62, v62
	v_ldexp_f32 v66, v71, v66
	v_cvt_i32_f32_e32 v71, v87
	v_ldexp_f32 v65, v65, v84
	v_cndmask_b32_e64 v64, 0, v64, s3
	v_cndmask_b32_e64 v66, 0, v66, s6
	v_ldexp_f32 v63, v63, v71
	v_cndmask_b32_e32 v71, 0, v61, vcc_lo
	v_ldexp_f32 v62, v62, v85
	v_cndmask_b32_e64 v61, 0x7f800000, v66, s12
	v_cndmask_b32_e64 v84, 0, v63, s0
	v_cndmask_b32_e64 v63, 0, v65, s1
	v_cndmask_b32_e64 v64, 0x7f800000, v64, s11
	v_cndmask_b32_e64 v85, 0, v62, s2
	v_cndmask_b32_e64 v62, 0x7f800000, v71, s7
	v_cndmask_b32_e64 v65, 0x7f800000, v84, s8
	v_cndmask_b32_e64 v63, 0x7f800000, v63, s9
	v_cvt_f16_f32_e32 v71, v61
	v_cndmask_b32_e64 v66, 0x7f800000, v85, s10
	v_cvt_f16_f32_e32 v85, v62
	v_cvt_f16_f32_e32 v84, v63
	;; [unrolled: 1-line block ×3, first 2 shown]
	v_pack_b32_f16 v71, v71, v84
	v_cvt_f16_f32_e32 v84, v65
	v_pack_b32_f16 v85, v85, v86
	v_cvt_f16_f32_e32 v86, v64
	ds_write2_b32 v51, v71, v85 offset1:32
	s_waitcnt vmcnt(3)
	ds_write_b128 v45, v[72:75]
	s_waitcnt vmcnt(2)
	ds_write_b128 v47, v[76:79]
	;; [unrolled: 2-line block ×3, first 2 shown]
	ds_write_b128 v49, v[80:83]
	s_waitcnt lgkmcnt(0)
	s_barrier
	buffer_gl0_inv
	ds_read_b128 v[67:70], v46
	ds_read2_b64 v[71:74], v32 offset1:32
	v_mul_u32_u24_sdwa v86, v86, v53 dst_sel:DWORD dst_unused:UNUSED_PAD src0_sel:WORD_0 src1_sel:DWORD
	v_mul_u32_u24_sdwa v84, v84, v53 dst_sel:DWORD dst_unused:UNUSED_PAD src0_sel:WORD_0 src1_sel:DWORD
	ds_read_b128 v[75:78], v46 offset:16
	ds_read2_b64 v[79:82], v32 offset0:64 offset1:96
	v_pk_mul_f16 v57, v57, v86
	v_pk_mul_f16 v60, v60, v84
	s_waitcnt lgkmcnt(3)
	v_mul_u32_u24_sdwa v83, v67, v53 dst_sel:DWORD dst_unused:UNUSED_PAD src0_sel:WORD_0 src1_sel:DWORD
	v_mul_u32_u24_sdwa v67, v67, v53 dst_sel:DWORD dst_unused:UNUSED_PAD src0_sel:WORD_1 src1_sel:DWORD
	s_waitcnt lgkmcnt(2)
	v_pk_mul_f16 v85, v71, v83
	v_pk_fma_f16 v57, v72, v67, v57
	v_pk_mul_f16 v67, v71, v67
	v_pk_fma_f16 v60, v72, v83, v60
	v_mul_u32_u24_sdwa v83, v69, v53 dst_sel:DWORD dst_unused:UNUSED_PAD src0_sel:WORD_0 src1_sel:DWORD
	v_pk_fma_f16 v59, v59, v84, v85
	v_mul_u32_u24_sdwa v84, v68, v53 dst_sel:DWORD dst_unused:UNUSED_PAD src0_sel:WORD_0 src1_sel:DWORD
	v_mul_u32_u24_sdwa v68, v68, v53 dst_sel:DWORD dst_unused:UNUSED_PAD src0_sel:WORD_1 src1_sel:DWORD
	v_pk_fma_f16 v58, v58, v86, v67
	v_mul_u32_u24_sdwa v85, v70, v53 dst_sel:DWORD dst_unused:UNUSED_PAD src0_sel:WORD_0 src1_sel:DWORD
	v_mul_u32_u24_sdwa v86, v70, v53 dst_sel:DWORD dst_unused:UNUSED_PAD src0_sel:WORD_1 src1_sel:DWORD
	v_pk_fma_f16 v71, v74, v84, v60
	v_pk_fma_f16 v72, v74, v68, v57
	;; [unrolled: 1-line block ×4, first 2 shown]
	ds_read2_b64 v[57:60], v32 offset0:128 offset1:160
	v_mul_u32_u24_sdwa v84, v69, v53 dst_sel:DWORD dst_unused:UNUSED_PAD src0_sel:WORD_1 src1_sel:DWORD
	s_waitcnt lgkmcnt(1)
	v_pk_fma_f16 v71, v80, v83, v71
	v_pk_fma_f16 v74, v79, v83, v74
	v_mul_u32_u24_sdwa v83, v75, v53 dst_sel:DWORD dst_unused:UNUSED_PAD src0_sel:WORD_0 src1_sel:DWORD
	v_mul_u32_u24_sdwa v75, v75, v53 dst_sel:DWORD dst_unused:UNUSED_PAD src0_sel:WORD_1 src1_sel:DWORD
	v_pk_fma_f16 v72, v80, v84, v72
	v_pk_fma_f16 v73, v79, v84, v73
	;; [unrolled: 1-line block ×3, first 2 shown]
	ds_read_b128 v[67:70], v46 offset:32
	v_mul_u32_u24_sdwa v84, v76, v53 dst_sel:DWORD dst_unused:UNUSED_PAD src0_sel:WORD_0 src1_sel:DWORD
	v_pk_fma_f16 v80, v82, v86, v72
	v_pk_fma_f16 v82, v81, v85, v74
	v_pk_fma_f16 v81, v81, v86, v73
	ds_read2_b64 v[71:74], v32 offset0:192 offset1:224
	v_mul_u32_u24_sdwa v76, v76, v53 dst_sel:DWORD dst_unused:UNUSED_PAD src0_sel:WORD_1 src1_sel:DWORD
	v_mul_u32_u24_sdwa v85, v78, v53 dst_sel:DWORD dst_unused:UNUSED_PAD src0_sel:WORD_0 src1_sel:DWORD
	v_mul_u32_u24_sdwa v86, v78, v53 dst_sel:DWORD dst_unused:UNUSED_PAD src0_sel:WORD_1 src1_sel:DWORD
	s_waitcnt lgkmcnt(2)
	v_pk_fma_f16 v79, v58, v83, v79
	v_pk_fma_f16 v58, v58, v75, v80
	;; [unrolled: 1-line block ×4, first 2 shown]
	v_mul_u32_u24_sdwa v83, v77, v53 dst_sel:DWORD dst_unused:UNUSED_PAD src0_sel:WORD_0 src1_sel:DWORD
	v_pk_fma_f16 v79, v60, v84, v79
	v_pk_fma_f16 v81, v60, v76, v58
	;; [unrolled: 1-line block ×4, first 2 shown]
	ds_read2_b64 v[57:60], v54 offset1:32
	v_mul_u32_u24_sdwa v84, v77, v53 dst_sel:DWORD dst_unused:UNUSED_PAD src0_sel:WORD_1 src1_sel:DWORD
	ds_read_b128 v[75:78], v46 offset:48
	s_waitcnt lgkmcnt(2)
	v_pk_fma_f16 v79, v72, v83, v79
	v_pk_fma_f16 v72, v72, v84, v81
	;; [unrolled: 1-line block ×4, first 2 shown]
	v_mul_u32_u24_sdwa v83, v67, v53 dst_sel:DWORD dst_unused:UNUSED_PAD src0_sel:WORD_0 src1_sel:DWORD
	v_pk_fma_f16 v79, v74, v85, v79
	v_pk_fma_f16 v81, v74, v86, v72
	;; [unrolled: 1-line block ×4, first 2 shown]
	ds_read2_b64 v[71:74], v54 offset0:64 offset1:96
	v_mul_u32_u24_sdwa v67, v67, v53 dst_sel:DWORD dst_unused:UNUSED_PAD src0_sel:WORD_1 src1_sel:DWORD
	v_mul_u32_u24_sdwa v84, v68, v53 dst_sel:DWORD dst_unused:UNUSED_PAD src0_sel:WORD_0 src1_sel:DWORD
	v_mul_u32_u24_sdwa v68, v68, v53 dst_sel:DWORD dst_unused:UNUSED_PAD src0_sel:WORD_1 src1_sel:DWORD
	v_mul_u32_u24_sdwa v85, v70, v53 dst_sel:DWORD dst_unused:UNUSED_PAD src0_sel:WORD_0 src1_sel:DWORD
	v_mul_u32_u24_sdwa v86, v70, v53 dst_sel:DWORD dst_unused:UNUSED_PAD src0_sel:WORD_1 src1_sel:DWORD
	s_waitcnt lgkmcnt(2)
	v_pk_fma_f16 v79, v58, v83, v79
	v_pk_fma_f16 v58, v58, v67, v81
	;; [unrolled: 1-line block ×4, first 2 shown]
	v_mul_u32_u24_sdwa v83, v69, v53 dst_sel:DWORD dst_unused:UNUSED_PAD src0_sel:WORD_0 src1_sel:DWORD
	v_pk_fma_f16 v79, v60, v84, v79
	v_pk_fma_f16 v81, v60, v68, v58
	;; [unrolled: 1-line block ×4, first 2 shown]
	ds_read2_b64 v[57:60], v54 offset0:128 offset1:160
	v_mul_u32_u24_sdwa v84, v69, v53 dst_sel:DWORD dst_unused:UNUSED_PAD src0_sel:WORD_1 src1_sel:DWORD
	ds_read2_b64 v[67:70], v54 offset0:192 offset1:224
	s_waitcnt lgkmcnt(2)
	v_pk_fma_f16 v79, v72, v83, v79
	v_pk_fma_f16 v72, v72, v84, v81
	;; [unrolled: 1-line block ×4, first 2 shown]
	v_mul_u32_u24_sdwa v83, v75, v53 dst_sel:DWORD dst_unused:UNUSED_PAD src0_sel:WORD_0 src1_sel:DWORD
	v_pk_fma_f16 v79, v74, v85, v79
	v_pk_fma_f16 v81, v74, v86, v72
	;; [unrolled: 1-line block ×4, first 2 shown]
	v_mul_u32_u24_sdwa v75, v75, v53 dst_sel:DWORD dst_unused:UNUSED_PAD src0_sel:WORD_1 src1_sel:DWORD
	ds_read_b128 v[71:74], v46 offset:64
	v_mul_u32_u24_sdwa v84, v76, v53 dst_sel:DWORD dst_unused:UNUSED_PAD src0_sel:WORD_0 src1_sel:DWORD
	v_mul_u32_u24_sdwa v76, v76, v53 dst_sel:DWORD dst_unused:UNUSED_PAD src0_sel:WORD_1 src1_sel:DWORD
	v_mul_u32_u24_sdwa v85, v78, v53 dst_sel:DWORD dst_unused:UNUSED_PAD src0_sel:WORD_0 src1_sel:DWORD
	v_mul_u32_u24_sdwa v86, v78, v53 dst_sel:DWORD dst_unused:UNUSED_PAD src0_sel:WORD_1 src1_sel:DWORD
	s_waitcnt lgkmcnt(2)
	v_pk_fma_f16 v79, v58, v83, v79
	v_pk_fma_f16 v58, v58, v75, v81
	v_pk_fma_f16 v80, v57, v83, v80
	v_pk_fma_f16 v57, v57, v75, v82
	v_mul_u32_u24_sdwa v83, v77, v53 dst_sel:DWORD dst_unused:UNUSED_PAD src0_sel:WORD_0 src1_sel:DWORD
	v_pk_fma_f16 v79, v60, v84, v79
	v_pk_fma_f16 v81, v60, v76, v58
	;; [unrolled: 1-line block ×4, first 2 shown]
	ds_read2_b64 v[57:60], v55 offset1:32
	v_mul_u32_u24_sdwa v84, v77, v53 dst_sel:DWORD dst_unused:UNUSED_PAD src0_sel:WORD_1 src1_sel:DWORD
	s_waitcnt lgkmcnt(2)
	v_pk_fma_f16 v79, v68, v83, v79
	v_pk_fma_f16 v80, v67, v83, v80
	ds_read2_b64 v[75:78], v55 offset0:64 offset1:96
	v_pk_fma_f16 v68, v68, v84, v81
	v_pk_fma_f16 v67, v67, v84, v82
	;; [unrolled: 1-line block ×6, first 2 shown]
	ds_read_b128 v[67:70], v46 offset:80
	s_waitcnt lgkmcnt(3)
	v_mul_u32_u24_sdwa v83, v71, v53 dst_sel:DWORD dst_unused:UNUSED_PAD src0_sel:WORD_0 src1_sel:DWORD
	v_mul_u32_u24_sdwa v71, v71, v53 dst_sel:DWORD dst_unused:UNUSED_PAD src0_sel:WORD_1 src1_sel:DWORD
	v_mul_u32_u24_sdwa v84, v72, v53 dst_sel:DWORD dst_unused:UNUSED_PAD src0_sel:WORD_0 src1_sel:DWORD
	v_mul_u32_u24_sdwa v72, v72, v53 dst_sel:DWORD dst_unused:UNUSED_PAD src0_sel:WORD_1 src1_sel:DWORD
	;; [unrolled: 2-line block ×3, first 2 shown]
	s_waitcnt lgkmcnt(2)
	v_pk_fma_f16 v79, v58, v83, v79
	v_pk_fma_f16 v58, v58, v71, v81
	;; [unrolled: 1-line block ×4, first 2 shown]
	v_mul_u32_u24_sdwa v83, v73, v53 dst_sel:DWORD dst_unused:UNUSED_PAD src0_sel:WORD_0 src1_sel:DWORD
	v_pk_fma_f16 v79, v60, v84, v79
	v_pk_fma_f16 v81, v60, v72, v58
	;; [unrolled: 1-line block ×4, first 2 shown]
	ds_read2_b64 v[57:60], v55 offset0:128 offset1:160
	v_mul_u32_u24_sdwa v84, v73, v53 dst_sel:DWORD dst_unused:UNUSED_PAD src0_sel:WORD_1 src1_sel:DWORD
	s_waitcnt lgkmcnt(2)
	v_pk_fma_f16 v79, v76, v83, v79
	v_pk_fma_f16 v80, v75, v83, v80
	ds_read2_b64 v[71:74], v55 offset0:192 offset1:224
	s_waitcnt lgkmcnt(2)
	v_mul_u32_u24_sdwa v83, v67, v53 dst_sel:DWORD dst_unused:UNUSED_PAD src0_sel:WORD_0 src1_sel:DWORD
	v_pk_fma_f16 v76, v76, v84, v81
	v_pk_fma_f16 v75, v75, v84, v82
	;; [unrolled: 1-line block ×4, first 2 shown]
	v_mul_u32_u24_sdwa v67, v67, v53 dst_sel:DWORD dst_unused:UNUSED_PAD src0_sel:WORD_1 src1_sel:DWORD
	v_pk_fma_f16 v81, v78, v86, v76
	v_pk_fma_f16 v82, v77, v86, v75
	ds_read_b128 v[75:78], v46 offset:96
	v_mul_u32_u24_sdwa v84, v68, v53 dst_sel:DWORD dst_unused:UNUSED_PAD src0_sel:WORD_0 src1_sel:DWORD
	v_mul_u32_u24_sdwa v68, v68, v53 dst_sel:DWORD dst_unused:UNUSED_PAD src0_sel:WORD_1 src1_sel:DWORD
	v_mul_u32_u24_sdwa v85, v70, v53 dst_sel:DWORD dst_unused:UNUSED_PAD src0_sel:WORD_0 src1_sel:DWORD
	v_mul_u32_u24_sdwa v86, v70, v53 dst_sel:DWORD dst_unused:UNUSED_PAD src0_sel:WORD_1 src1_sel:DWORD
	s_waitcnt lgkmcnt(2)
	v_pk_fma_f16 v79, v58, v83, v79
	v_pk_fma_f16 v58, v58, v67, v81
	;; [unrolled: 1-line block ×4, first 2 shown]
	v_mul_u32_u24_sdwa v83, v69, v53 dst_sel:DWORD dst_unused:UNUSED_PAD src0_sel:WORD_0 src1_sel:DWORD
	v_pk_fma_f16 v79, v60, v84, v79
	v_pk_fma_f16 v81, v60, v68, v58
	;; [unrolled: 1-line block ×4, first 2 shown]
	ds_read2_b64 v[57:60], v56 offset1:32
	v_mul_u32_u24_sdwa v84, v69, v53 dst_sel:DWORD dst_unused:UNUSED_PAD src0_sel:WORD_1 src1_sel:DWORD
	s_waitcnt lgkmcnt(2)
	v_pk_fma_f16 v79, v72, v83, v79
	v_pk_fma_f16 v80, v71, v83, v80
	s_waitcnt lgkmcnt(1)
	v_mul_u32_u24_sdwa v83, v75, v53 dst_sel:DWORD dst_unused:UNUSED_PAD src0_sel:WORD_0 src1_sel:DWORD
	v_mul_u32_u24_sdwa v75, v75, v53 dst_sel:DWORD dst_unused:UNUSED_PAD src0_sel:WORD_1 src1_sel:DWORD
	v_pk_fma_f16 v72, v72, v84, v81
	v_pk_fma_f16 v71, v71, v84, v82
	;; [unrolled: 1-line block ×4, first 2 shown]
	ds_read2_b64 v[67:70], v56 offset0:64 offset1:96
	v_pk_fma_f16 v81, v74, v86, v72
	v_pk_fma_f16 v82, v73, v86, v71
	v_mul_u32_u24_sdwa v84, v76, v53 dst_sel:DWORD dst_unused:UNUSED_PAD src0_sel:WORD_0 src1_sel:DWORD
	v_mul_u32_u24_sdwa v76, v76, v53 dst_sel:DWORD dst_unused:UNUSED_PAD src0_sel:WORD_1 src1_sel:DWORD
	ds_read2_b64 v[71:74], v56 offset0:128 offset1:160
	v_mul_u32_u24_sdwa v85, v78, v53 dst_sel:DWORD dst_unused:UNUSED_PAD src0_sel:WORD_0 src1_sel:DWORD
	v_mul_u32_u24_sdwa v86, v78, v53 dst_sel:DWORD dst_unused:UNUSED_PAD src0_sel:WORD_1 src1_sel:DWORD
	s_waitcnt lgkmcnt(2)
	v_pk_fma_f16 v79, v58, v83, v79
	v_pk_fma_f16 v58, v58, v75, v81
	;; [unrolled: 1-line block ×4, first 2 shown]
	v_mul_u32_u24_sdwa v83, v77, v53 dst_sel:DWORD dst_unused:UNUSED_PAD src0_sel:WORD_0 src1_sel:DWORD
	v_pk_fma_f16 v79, v60, v84, v79
	v_pk_fma_f16 v81, v60, v76, v58
	;; [unrolled: 1-line block ×4, first 2 shown]
	ds_read_b128 v[57:60], v46 offset:112
	v_mul_u32_u24_sdwa v84, v77, v53 dst_sel:DWORD dst_unused:UNUSED_PAD src0_sel:WORD_1 src1_sel:DWORD
	s_waitcnt lgkmcnt(2)
	v_pk_fma_f16 v87, v68, v83, v79
	v_pk_fma_f16 v83, v67, v83, v80
	ds_read2_b64 v[75:78], v56 offset0:192 offset1:224
	s_waitcnt lgkmcnt(0)
	v_pk_fma_f16 v68, v68, v84, v81
	v_pk_fma_f16 v67, v67, v84, v82
	s_barrier
	buffer_gl0_inv
	global_load_dwordx4 v[79:82], v[28:29], off
	v_pk_fma_f16 v28, v70, v85, v87
	v_pk_fma_f16 v29, v70, v86, v68
	;; [unrolled: 1-line block ×4, first 2 shown]
	s_clause 0x1
	global_load_dwordx4 v[67:70], v[24:25], off
	global_load_dwordx4 v[24:27], v[26:27], off
	v_mul_u32_u24_sdwa v85, v57, v53 dst_sel:DWORD dst_unused:UNUSED_PAD src0_sel:WORD_0 src1_sel:DWORD
	v_mul_u32_u24_sdwa v57, v57, v53 dst_sel:DWORD dst_unused:UNUSED_PAD src0_sel:WORD_1 src1_sel:DWORD
	v_pk_fma_f16 v28, v72, v85, v28
	v_pk_fma_f16 v83, v71, v85, v83
	v_mul_u32_u24_sdwa v85, v58, v53 dst_sel:DWORD dst_unused:UNUSED_PAD src0_sel:WORD_0 src1_sel:DWORD
	v_pk_fma_f16 v29, v72, v57, v29
	v_pk_fma_f16 v57, v71, v57, v84
	v_mul_u32_u24_sdwa v58, v58, v53 dst_sel:DWORD dst_unused:UNUSED_PAD src0_sel:WORD_1 src1_sel:DWORD
	v_pk_fma_f16 v28, v74, v85, v28
	v_pk_fma_f16 v83, v73, v85, v83
	;; [unrolled: 1-line block ×4, first 2 shown]
	global_load_dwordx4 v[71:74], v[22:23], off
	v_mul_u32_u24_sdwa v22, v59, v53 dst_sel:DWORD dst_unused:UNUSED_PAD src0_sel:WORD_0 src1_sel:DWORD
	v_mul_u32_u24_sdwa v23, v59, v53 dst_sel:DWORD dst_unused:UNUSED_PAD src0_sel:WORD_1 src1_sel:DWORD
	v_mul_u32_u24_sdwa v58, v60, v53 dst_sel:DWORD dst_unused:UNUSED_PAD src0_sel:WORD_0 src1_sel:DWORD
	v_mul_u32_u24_sdwa v59, v60, v53 dst_sel:DWORD dst_unused:UNUSED_PAD src0_sel:WORD_1 src1_sel:DWORD
	s_waitcnt vmcnt(3)
	ds_write_b128 v45, v[79:82]
	s_waitcnt vmcnt(2)
	ds_write_b128 v47, v[67:70]
	s_waitcnt vmcnt(1)
	ds_write_b128 v48, v[24:27]
	s_waitcnt vmcnt(0)
	ds_write_b128 v49, v[71:74]
	v_pk_fma_f16 v28, v76, v22, v28
	v_pk_fma_f16 v29, v76, v23, v29
	;; [unrolled: 1-line block ×4, first 2 shown]
	s_waitcnt lgkmcnt(0)
	v_pk_fma_f16 v83, v78, v58, v28
	v_pk_fma_f16 v84, v78, v59, v29
	;; [unrolled: 1-line block ×4, first 2 shown]
	s_barrier
	buffer_gl0_inv
	ds_read_b128 v[22:25], v46 offset:128
	ds_read2_b64 v[26:29], v32 offset1:32
	ds_read_b128 v[57:60], v46 offset:144
	ds_read_b128 v[67:70], v46 offset:160
	;; [unrolled: 1-line block ×3, first 2 shown]
	ds_read2_b64 v[75:78], v32 offset0:64 offset1:96
	s_waitcnt lgkmcnt(5)
	v_mul_u32_u24_sdwa v79, v22, v53 dst_sel:DWORD dst_unused:UNUSED_PAD src0_sel:WORD_0 src1_sel:DWORD
	v_mul_u32_u24_sdwa v22, v22, v53 dst_sel:DWORD dst_unused:UNUSED_PAD src0_sel:WORD_1 src1_sel:DWORD
	v_mul_u32_u24_sdwa v80, v23, v53 dst_sel:DWORD dst_unused:UNUSED_PAD src0_sel:WORD_0 src1_sel:DWORD
	v_mul_u32_u24_sdwa v23, v23, v53 dst_sel:DWORD dst_unused:UNUSED_PAD src0_sel:WORD_1 src1_sel:DWORD
	s_waitcnt lgkmcnt(4)
	v_pk_fma_f16 v81, v26, v79, v85
	v_pk_fma_f16 v79, v27, v79, v83
	;; [unrolled: 1-line block ×4, first 2 shown]
	v_mul_u32_u24_sdwa v83, v24, v53 dst_sel:DWORD dst_unused:UNUSED_PAD src0_sel:WORD_0 src1_sel:DWORD
	v_pk_fma_f16 v81, v28, v80, v81
	v_pk_fma_f16 v79, v29, v80, v79
	;; [unrolled: 1-line block ×4, first 2 shown]
	ds_read2_b64 v[26:29], v32 offset0:128 offset1:160
	v_mul_u32_u24_sdwa v84, v24, v53 dst_sel:DWORD dst_unused:UNUSED_PAD src0_sel:WORD_1 src1_sel:DWORD
	v_mul_u32_u24_sdwa v85, v25, v53 dst_sel:DWORD dst_unused:UNUSED_PAD src0_sel:WORD_0 src1_sel:DWORD
	v_mul_u32_u24_sdwa v86, v25, v53 dst_sel:DWORD dst_unused:UNUSED_PAD src0_sel:WORD_1 src1_sel:DWORD
	ds_read2_b64 v[22:25], v32 offset0:192 offset1:224
	s_waitcnt lgkmcnt(2)
	v_pk_fma_f16 v81, v75, v83, v81
	v_pk_fma_f16 v79, v76, v83, v79
	v_pk_fma_f16 v75, v75, v84, v80
	v_pk_fma_f16 v76, v76, v84, v82
	v_mul_u32_u24_sdwa v83, v57, v53 dst_sel:DWORD dst_unused:UNUSED_PAD src0_sel:WORD_0 src1_sel:DWORD
	v_mul_u32_u24_sdwa v80, v57, v53 dst_sel:DWORD dst_unused:UNUSED_PAD src0_sel:WORD_1 src1_sel:DWORD
	v_pk_fma_f16 v81, v77, v85, v81
	v_pk_fma_f16 v79, v78, v85, v79
	;; [unrolled: 1-line block ×4, first 2 shown]
	v_mul_u32_u24_sdwa v82, v58, v53 dst_sel:DWORD dst_unused:UNUSED_PAD src0_sel:WORD_0 src1_sel:DWORD
	v_mul_u32_u24_sdwa v77, v58, v53 dst_sel:DWORD dst_unused:UNUSED_PAD src0_sel:WORD_1 src1_sel:DWORD
	v_mul_u32_u24_sdwa v78, v59, v53 dst_sel:DWORD dst_unused:UNUSED_PAD src0_sel:WORD_0 src1_sel:DWORD
	v_mul_u32_u24_sdwa v84, v59, v53 dst_sel:DWORD dst_unused:UNUSED_PAD src0_sel:WORD_1 src1_sel:DWORD
	;; [unrolled: 2-line block ×3, first 2 shown]
	ds_read2_b64 v[57:60], v54 offset1:32
	s_waitcnt lgkmcnt(2)
	v_pk_fma_f16 v81, v26, v83, v81
	v_pk_fma_f16 v79, v27, v83, v79
	;; [unrolled: 1-line block ×4, first 2 shown]
	v_mul_u32_u24_sdwa v83, v67, v53 dst_sel:DWORD dst_unused:UNUSED_PAD src0_sel:WORD_0 src1_sel:DWORD
	v_pk_fma_f16 v75, v28, v82, v81
	v_pk_fma_f16 v76, v29, v82, v79
	v_pk_fma_f16 v80, v28, v77, v26
	v_pk_fma_f16 v77, v29, v77, v27
	ds_read_b128 v[26:29], v46 offset:192
	s_waitcnt lgkmcnt(2)
	v_pk_fma_f16 v75, v22, v78, v75
	v_pk_fma_f16 v76, v23, v78, v76
	;; [unrolled: 1-line block ×4, first 2 shown]
	v_mul_u32_u24_sdwa v67, v67, v53 dst_sel:DWORD dst_unused:UNUSED_PAD src0_sel:WORD_1 src1_sel:DWORD
	v_pk_fma_f16 v75, v24, v85, v75
	v_pk_fma_f16 v76, v25, v85, v76
	;; [unrolled: 1-line block ×4, first 2 shown]
	v_mul_u32_u24_sdwa v79, v68, v53 dst_sel:DWORD dst_unused:UNUSED_PAD src0_sel:WORD_0 src1_sel:DWORD
	v_mul_u32_u24_sdwa v68, v68, v53 dst_sel:DWORD dst_unused:UNUSED_PAD src0_sel:WORD_1 src1_sel:DWORD
	ds_read2_b64 v[22:25], v54 offset0:64 offset1:96
	s_waitcnt lgkmcnt(2)
	v_pk_fma_f16 v75, v57, v83, v75
	v_pk_fma_f16 v76, v58, v83, v76
	v_pk_fma_f16 v57, v57, v67, v80
	v_pk_fma_f16 v58, v58, v67, v84
	v_mul_u32_u24_sdwa v81, v69, v53 dst_sel:DWORD dst_unused:UNUSED_PAD src0_sel:WORD_0 src1_sel:DWORD
	v_pk_fma_f16 v75, v59, v79, v75
	v_pk_fma_f16 v76, v60, v79, v76
	s_waitcnt lgkmcnt(1)
	v_mul_u32_u24_sdwa v83, v26, v53 dst_sel:DWORD dst_unused:UNUSED_PAD src0_sel:WORD_0 src1_sel:DWORD
	v_mul_u32_u24_sdwa v67, v26, v53 dst_sel:DWORD dst_unused:UNUSED_PAD src0_sel:WORD_1 src1_sel:DWORD
	v_mul_u32_u24_sdwa v79, v27, v53 dst_sel:DWORD dst_unused:UNUSED_PAD src0_sel:WORD_0 src1_sel:DWORD
	v_pk_fma_f16 v57, v59, v68, v57
	v_pk_fma_f16 v58, v60, v68, v58
	v_mul_u32_u24_sdwa v68, v27, v53 dst_sel:DWORD dst_unused:UNUSED_PAD src0_sel:WORD_1 src1_sel:DWORD
	v_mul_u32_u24_sdwa v80, v28, v53 dst_sel:DWORD dst_unused:UNUSED_PAD src0_sel:WORD_0 src1_sel:DWORD
	v_mul_u32_u24_sdwa v84, v28, v53 dst_sel:DWORD dst_unused:UNUSED_PAD src0_sel:WORD_1 src1_sel:DWORD
	v_mul_u32_u24_sdwa v87, v29, v53 dst_sel:DWORD dst_unused:UNUSED_PAD src0_sel:WORD_0 src1_sel:DWORD
	v_mul_u32_u24_sdwa v88, v29, v53 dst_sel:DWORD dst_unused:UNUSED_PAD src0_sel:WORD_1 src1_sel:DWORD
	ds_read_b128 v[26:29], v46 offset:208
	v_mul_u32_u24_sdwa v69, v69, v53 dst_sel:DWORD dst_unused:UNUSED_PAD src0_sel:WORD_1 src1_sel:DWORD
	v_mul_u32_u24_sdwa v82, v70, v53 dst_sel:DWORD dst_unused:UNUSED_PAD src0_sel:WORD_0 src1_sel:DWORD
	v_mul_u32_u24_sdwa v70, v70, v53 dst_sel:DWORD dst_unused:UNUSED_PAD src0_sel:WORD_1 src1_sel:DWORD
	s_waitcnt lgkmcnt(1)
	v_pk_fma_f16 v59, v22, v81, v75
	v_pk_fma_f16 v60, v23, v81, v76
	;; [unrolled: 1-line block ×4, first 2 shown]
	v_mul_u32_u24_sdwa v78, v71, v53 dst_sel:DWORD dst_unused:UNUSED_PAD src0_sel:WORD_0 src1_sel:DWORD
	v_mul_u32_u24_sdwa v71, v71, v53 dst_sel:DWORD dst_unused:UNUSED_PAD src0_sel:WORD_1 src1_sel:DWORD
	v_pk_fma_f16 v57, v25, v82, v60
	v_pk_fma_f16 v58, v24, v70, v22
	v_mul_u32_u24_sdwa v77, v72, v53 dst_sel:DWORD dst_unused:UNUSED_PAD src0_sel:WORD_0 src1_sel:DWORD
	v_mul_u32_u24_sdwa v72, v72, v53 dst_sel:DWORD dst_unused:UNUSED_PAD src0_sel:WORD_1 src1_sel:DWORD
	v_mul_u32_u24_sdwa v85, v73, v53 dst_sel:DWORD dst_unused:UNUSED_PAD src0_sel:WORD_0 src1_sel:DWORD
	v_mul_u32_u24_sdwa v73, v73, v53 dst_sel:DWORD dst_unused:UNUSED_PAD src0_sel:WORD_1 src1_sel:DWORD
	;; [unrolled: 2-line block ×3, first 2 shown]
	s_waitcnt lgkmcnt(0)
	v_mul_u32_u24_sdwa v75, v26, v53 dst_sel:DWORD dst_unused:UNUSED_PAD src0_sel:WORD_0 src1_sel:DWORD
	v_mul_u32_u24_sdwa v69, v26, v53 dst_sel:DWORD dst_unused:UNUSED_PAD src0_sel:WORD_1 src1_sel:DWORD
	v_pk_fma_f16 v26, v24, v82, v59
	v_pk_fma_f16 v59, v25, v70, v23
	ds_read_b128 v[22:25], v46 offset:224
	v_mul_u32_u24_sdwa v76, v27, v53 dst_sel:DWORD dst_unused:UNUSED_PAD src0_sel:WORD_0 src1_sel:DWORD
	v_mul_u32_u24_sdwa v70, v27, v53 dst_sel:DWORD dst_unused:UNUSED_PAD src0_sel:WORD_1 src1_sel:DWORD
	v_mul_u32_u24_sdwa v81, v28, v53 dst_sel:DWORD dst_unused:UNUSED_PAD src0_sel:WORD_0 src1_sel:DWORD
	v_mul_u32_u24_sdwa v82, v28, v53 dst_sel:DWORD dst_unused:UNUSED_PAD src0_sel:WORD_1 src1_sel:DWORD
	;; [unrolled: 2-line block ×3, first 2 shown]
	s_waitcnt lgkmcnt(0)
	v_mul_u32_u24_sdwa v91, v22, v53 dst_sel:DWORD dst_unused:UNUSED_PAD src0_sel:WORD_0 src1_sel:DWORD
	v_mul_u32_u24_sdwa v92, v22, v53 dst_sel:DWORD dst_unused:UNUSED_PAD src0_sel:WORD_1 src1_sel:DWORD
	v_mov_b32_e32 v22, v40
	v_add_f32_e32 v40, v61, v62
	v_mul_u32_u24_sdwa v93, v23, v53 dst_sel:DWORD dst_unused:UNUSED_PAD src0_sel:WORD_0 src1_sel:DWORD
	v_mul_u32_u24_sdwa v94, v23, v53 dst_sel:DWORD dst_unused:UNUSED_PAD src0_sel:WORD_1 src1_sel:DWORD
	v_mov_b32_e32 v23, v1
	v_mul_u32_u24_sdwa v95, v24, v53 dst_sel:DWORD dst_unused:UNUSED_PAD src0_sel:WORD_0 src1_sel:DWORD
	v_fmac_f32_e32 v40, v22, v65
	v_add_f32_e32 v22, v63, v66
	v_mul_u32_u24_sdwa v96, v24, v53 dst_sel:DWORD dst_unused:UNUSED_PAD src0_sel:WORD_1 src1_sel:DWORD
	v_mul_u32_u24_sdwa v97, v25, v53 dst_sel:DWORD dst_unused:UNUSED_PAD src0_sel:WORD_0 src1_sel:DWORD
	v_mul_u32_u24_sdwa v98, v25, v53 dst_sel:DWORD dst_unused:UNUSED_PAD src0_sel:WORD_1 src1_sel:DWORD
	v_mov_b32_e32 v1, v22
	v_fmac_f32_e32 v1, v23, v64
	ds_read2_b64 v[22:25], v54 offset0:128 offset1:160
	s_waitcnt lgkmcnt(0)
	v_pk_fma_f16 v26, v22, v78, v26
	v_pk_fma_f16 v27, v23, v78, v57
	;; [unrolled: 1-line block ×8, first 2 shown]
	ds_read2_b64 v[22:25], v54 offset0:192 offset1:224
	s_waitcnt lgkmcnt(0)
	v_pk_fma_f16 v57, v22, v85, v26
	v_pk_fma_f16 v58, v23, v85, v27
	;; [unrolled: 1-line block ×4, first 2 shown]
	ds_read2_b64 v[26:29], v55 offset1:32
	v_pk_fma_f16 v57, v24, v86, v57
	v_pk_fma_f16 v58, v25, v86, v58
	;; [unrolled: 1-line block ×4, first 2 shown]
	ds_read2_b64 v[22:25], v55 offset0:64 offset1:96
	s_waitcnt lgkmcnt(1)
	v_pk_fma_f16 v61, v26, v83, v57
	v_pk_fma_f16 v62, v27, v83, v58
	;; [unrolled: 1-line block ×4, first 2 shown]
	ds_read2_b64 v[57:60], v55 offset0:128 offset1:160
	v_pk_fma_f16 v61, v28, v79, v61
	v_pk_fma_f16 v62, v29, v79, v62
	;; [unrolled: 1-line block ×4, first 2 shown]
	ds_read2_b64 v[26:29], v55 offset0:192 offset1:224
	s_waitcnt lgkmcnt(2)
	v_pk_fma_f16 v65, v22, v80, v61
	v_pk_fma_f16 v66, v23, v80, v62
	;; [unrolled: 1-line block ×4, first 2 shown]
	ds_read_b128 v[61:64], v46 offset:240
	v_pk_fma_f16 v65, v24, v87, v65
	v_pk_fma_f16 v66, v25, v87, v66
	;; [unrolled: 1-line block ×4, first 2 shown]
	ds_read2_b64 v[22:25], v56 offset1:32
	s_waitcnt lgkmcnt(3)
	v_pk_fma_f16 v71, v57, v75, v65
	v_pk_fma_f16 v57, v57, v69, v67
	;; [unrolled: 1-line block ×4, first 2 shown]
	ds_read2_b64 v[65:68], v56 offset0:64 offset1:96
	v_pk_fma_f16 v69, v59, v76, v71
	v_pk_fma_f16 v71, v59, v70, v57
	;; [unrolled: 1-line block ×4, first 2 shown]
	ds_read2_b64 v[57:60], v56 offset0:128 offset1:160
	s_waitcnt lgkmcnt(4)
	v_pk_fma_f16 v73, v26, v81, v69
	v_pk_fma_f16 v26, v26, v82, v71
	v_pk_fma_f16 v74, v27, v81, v72
	v_pk_fma_f16 v27, v27, v82, v70
	s_waitcnt lgkmcnt(3)
	v_mul_u32_u24_sdwa v75, v61, v53 dst_sel:DWORD dst_unused:UNUSED_PAD src0_sel:WORD_0 src1_sel:DWORD
	v_pk_fma_f16 v73, v28, v89, v73
	v_pk_fma_f16 v26, v28, v90, v26
	;; [unrolled: 1-line block ×4, first 2 shown]
	v_mul_u32_u24_sdwa v28, v61, v53 dst_sel:DWORD dst_unused:UNUSED_PAD src0_sel:WORD_1 src1_sel:DWORD
	s_waitcnt lgkmcnt(2)
	v_pk_fma_f16 v61, v22, v91, v73
	v_pk_fma_f16 v22, v22, v92, v26
	;; [unrolled: 1-line block ×4, first 2 shown]
	ds_read2_b64 v[69:72], v56 offset0:192 offset1:224
	v_pk_fma_f16 v61, v24, v93, v61
	v_pk_fma_f16 v22, v24, v94, v22
	;; [unrolled: 1-line block ×4, first 2 shown]
	s_waitcnt lgkmcnt(0)
	v_pk_fma_f16 v26, v65, v95, v61
	v_pk_fma_f16 v22, v65, v96, v22
	;; [unrolled: 1-line block ×4, first 2 shown]
	s_barrier
	buffer_gl0_inv
	s_load_dword s0, s[14:15], 0x4
	v_pk_fma_f16 v26, v67, v97, v26
	v_pk_fma_f16 v22, v67, v98, v22
	v_pk_fma_f16 v24, v68, v97, v24
	v_pk_fma_f16 v23, v68, v98, v23
	v_mul_u32_u24_sdwa v29, v62, v53 dst_sel:DWORD dst_unused:UNUSED_PAD src0_sel:WORD_0 src1_sel:DWORD
	v_mul_u32_u24_sdwa v27, v62, v53 dst_sel:DWORD dst_unused:UNUSED_PAD src0_sel:WORD_1 src1_sel:DWORD
	v_pk_fma_f16 v26, v57, v75, v26
	v_pk_fma_f16 v22, v57, v28, v22
	v_pk_fma_f16 v24, v58, v75, v24
	v_pk_fma_f16 v23, v58, v28, v23
	v_mul_u32_u24_sdwa v25, v63, v53 dst_sel:DWORD dst_unused:UNUSED_PAD src0_sel:WORD_0 src1_sel:DWORD
	v_mul_u32_u24_sdwa v61, v63, v53 dst_sel:DWORD dst_unused:UNUSED_PAD src0_sel:WORD_1 src1_sel:DWORD
	;; [unrolled: 6-line block ×3, first 2 shown]
	v_pk_fma_f16 v26, v69, v25, v26
	v_pk_fma_f16 v22, v69, v61, v22
	;; [unrolled: 1-line block ×4, first 2 shown]
	s_waitcnt lgkmcnt(0)
	s_lshl_b32 s0, s0, 6
	v_pk_fma_f16 v59, v71, v62, v26
	v_pk_fma_f16 v58, v71, v28, v22
	;; [unrolled: 1-line block ×4, first 2 shown]
	s_add_i32 s18, s0, s18
	s_cmp_ge_i32 s18, s34
	s_cbranch_scc0 .LBB43_9
; %bb.10:
	v_mov_b32_e32 v4, 32
	v_mov_b32_e32 v5, v33
.LBB43_11:
	v_cmp_lt_i32_e32 vcc_lo, v38, v4
	s_cmp_lg_u64 s[16:17], 0
	s_cselect_b32 s0, -1, 0
	s_cmp_eq_u32 s28, 0
	v_cndmask_b32_e32 v3, v5, v38, vcc_lo
	v_cmp_lt_i32_e32 vcc_lo, v37, v4
	s_cselect_b32 s1, -1, 0
	s_and_b32 s0, s1, s0
	v_lshlrev_b32_e32 v3, 2, v3
	v_cndmask_b32_e32 v7, v5, v37, vcc_lo
	v_cmp_lt_i32_e32 vcc_lo, v36, v4
	ds_bpermute_b32 v6, v3, v40
	ds_bpermute_b32 v3, v3, v1
	v_lshlrev_b32_e32 v7, 2, v7
	v_cndmask_b32_e32 v8, v5, v36, vcc_lo
	v_cmp_lt_i32_e32 vcc_lo, v35, v4
	v_lshlrev_b32_e32 v8, 2, v8
	s_waitcnt lgkmcnt(1)
	v_add_f32_e32 v6, v40, v6
	s_waitcnt lgkmcnt(0)
	v_add_f32_e32 v1, v1, v3
	ds_bpermute_b32 v3, v7, v6
	ds_bpermute_b32 v7, v7, v1
	s_waitcnt lgkmcnt(1)
	v_add_f32_e32 v3, v6, v3
	s_waitcnt lgkmcnt(0)
	v_add_f32_e32 v1, v1, v7
	ds_bpermute_b32 v6, v8, v3
	ds_bpermute_b32 v7, v8, v1
	v_cndmask_b32_e32 v8, v5, v35, vcc_lo
	v_cmp_lt_i32_e32 vcc_lo, v34, v4
	v_lshlrev_b32_e32 v8, 2, v8
	v_cndmask_b32_e32 v4, v5, v34, vcc_lo
	s_and_b32 vcc_lo, exec_lo, s0
	v_lshlrev_b32_e32 v4, 2, v4
	s_waitcnt lgkmcnt(1)
	v_add_f32_e32 v3, v3, v6
	s_waitcnt lgkmcnt(0)
	v_add_f32_e32 v1, v1, v7
	ds_bpermute_b32 v6, v8, v3
	ds_bpermute_b32 v7, v8, v1
	s_waitcnt lgkmcnt(1)
	v_add_f32_e32 v3, v3, v6
	s_waitcnt lgkmcnt(0)
	v_add_f32_e32 v1, v1, v7
	ds_bpermute_b32 v5, v4, v3
	ds_bpermute_b32 v4, v4, v1
	s_waitcnt lgkmcnt(1)
	v_add_f32_e32 v3, v3, v5
	s_waitcnt lgkmcnt(0)
	v_add_f32_e32 v4, v1, v4
	s_cbranch_vccz .LBB43_14
; %bb.12:
	s_ashr_i32 s31, s30, 31
	v_mov_b32_e32 v1, 0
	s_lshl_b64 s[0:1], s[30:31], 2
	v_max_f32_e32 v8, v21, v21
	s_add_u32 s0, s16, s0
	s_addc_u32 s1, s17, s1
	global_load_dwordx2 v[5:6], v1, s[0:1]
	v_max_f32_e32 v1, v20, v20
	s_waitcnt vmcnt(0)
	v_max_f32_e32 v7, v5, v5
	v_max_f32_e32 v9, v6, v6
	;; [unrolled: 1-line block ×4, first 2 shown]
	v_sub_f32_e32 v1, v20, v7
	v_sub_f32_e32 v9, v21, v8
	;; [unrolled: 1-line block ×4, first 2 shown]
	v_mul_f32_e32 v10, 0x3fb8aa3b, v1
	v_mul_f32_e32 v12, 0x3fb8aa3b, v9
	;; [unrolled: 1-line block ×4, first 2 shown]
	v_cmp_ngt_f32_e32 vcc_lo, 0xc2ce8ed0, v1
	v_fma_f32 v14, 0x3fb8aa3b, v1, -v10
	v_rndne_f32_e32 v15, v10
	v_fma_f32 v18, 0x3fb8aa3b, v9, -v12
	v_rndne_f32_e32 v19, v12
	v_fma_f32 v16, 0x3fb8aa3b, v5, -v11
	v_fmac_f32_e32 v14, 0x32a5705f, v1
	v_sub_f32_e32 v10, v10, v15
	v_rndne_f32_e32 v17, v11
	v_fmac_f32_e32 v18, 0x32a5705f, v9
	v_sub_f32_e32 v12, v12, v19
	v_fmac_f32_e32 v16, 0x32a5705f, v5
	v_add_f32_e32 v10, v10, v14
	v_sub_f32_e32 v11, v11, v17
	v_cvt_i32_f32_e32 v14, v15
	v_add_f32_e32 v12, v12, v18
	v_fma_f32 v20, 0x3fb8aa3b, v6, -v13
	v_exp_f32_e32 v10, v10
	v_add_f32_e32 v11, v11, v16
	v_rndne_f32_e32 v21, v13
	v_exp_f32_e32 v12, v12
	v_cvt_i32_f32_e32 v16, v19
	v_fmac_f32_e32 v20, 0x32a5705f, v6
	v_exp_f32_e32 v11, v11
	v_sub_f32_e32 v13, v13, v21
	v_cvt_i32_f32_e32 v15, v17
	v_cvt_i32_f32_e32 v17, v21
	v_ldexp_f32 v10, v10, v14
	v_mov_b32_e32 v18, 0x10001
	v_add_f32_e32 v13, v13, v20
	v_ldexp_f32 v12, v12, v16
	v_mov_b32_e32 v21, v8
	v_cndmask_b32_e32 v10, 0, v10, vcc_lo
	v_cmp_ngt_f32_e32 vcc_lo, 0xc2ce8ed0, v9
	v_ldexp_f32 v11, v11, v15
	v_exp_f32_e32 v13, v13
	v_mov_b32_e32 v20, v7
	v_cndmask_b32_e32 v12, 0, v12, vcc_lo
	v_cmp_ngt_f32_e32 vcc_lo, 0xc2ce8ed0, v5
	v_cndmask_b32_e32 v11, 0, v11, vcc_lo
	v_cmp_nlt_f32_e32 vcc_lo, 0x42b17218, v1
	v_ldexp_f32 v13, v13, v17
	v_cndmask_b32_e32 v1, 0x7f800000, v10, vcc_lo
	v_cmp_nlt_f32_e32 vcc_lo, 0x42b17218, v9
	v_cndmask_b32_e32 v9, 0x7f800000, v12, vcc_lo
	v_cmp_ngt_f32_e32 vcc_lo, 0xc2ce8ed0, v6
	v_cvt_f16_f32_e32 v12, v9
	v_cndmask_b32_e32 v10, 0, v13, vcc_lo
	v_cmp_nlt_f32_e32 vcc_lo, 0x42b17218, v5
	v_mul_u32_u24_sdwa v7, v12, v18 dst_sel:DWORD dst_unused:UNUSED_PAD src0_sel:WORD_0 src1_sel:DWORD
	v_cndmask_b32_e32 v5, 0x7f800000, v11, vcc_lo
	v_cmp_nlt_f32_e32 vcc_lo, 0x42b17218, v6
	v_cvt_f16_f32_e32 v11, v1
	v_pk_mul_f16 v58, v58, v7
	v_pk_mul_f16 v57, v57, v7
	v_fmac_f32_e32 v5, v3, v1
	v_cndmask_b32_e32 v6, 0x7f800000, v10, vcc_lo
	v_mul_u32_u24_sdwa v1, v11, v18 dst_sel:DWORD dst_unused:UNUSED_PAD src0_sel:WORD_0 src1_sel:DWORD
	v_mov_b32_e32 v3, v5
	v_fmac_f32_e32 v6, v4, v9
	v_pk_mul_f16 v59, v59, v1
	v_pk_mul_f16 v60, v60, v1
	v_mov_b32_e32 v4, v6
	s_mov_b32 s0, exec_lo
	v_cmpx_gt_i32_e64 s26, v2
	s_cbranch_execnz .LBB43_15
.LBB43_13:
	s_endpgm
.LBB43_14:
	v_mov_b32_e32 v6, v4
	v_mov_b32_e32 v5, v3
	s_mov_b32 s0, exec_lo
	v_cmpx_gt_i32_e64 s26, v2
	s_cbranch_execz .LBB43_13
.LBB43_15:
	s_load_dword s1, s[4:5], 0xd4
	v_mov_b32_e32 v7, 1.0
	s_waitcnt lgkmcnt(0)
	s_cmp_lg_u32 s1, 1
	s_cselect_b32 s3, -1, 0
	s_cmp_eq_u32 s1, 1
	s_cselect_b32 s2, -1, 0
	s_and_b32 vcc_lo, exec_lo, s3
	s_cbranch_vccnz .LBB43_17
; %bb.16:
	v_div_scale_f32 v1, null, v3, v3, 1.0
	v_rcp_f32_e32 v7, v1
	v_fma_f32 v8, -v1, v7, 1.0
	v_fmac_f32_e32 v7, v8, v7
	v_div_scale_f32 v8, vcc_lo, 1.0, v3, 1.0
	v_mul_f32_e32 v9, v8, v7
	v_fma_f32 v10, -v1, v9, v8
	v_fmac_f32_e32 v9, v10, v7
	v_fma_f32 v1, -v1, v9, v8
	v_div_fmas_f32 v1, v1, v7, v9
	v_div_fixup_f32 v7, v1, v3, 1.0
.LBB43_17:
	v_mad_u64_u32 v[1:2], null, s29, s26, v[2:3]
	v_mov_b32_e32 v3, 0
	v_cmp_eq_u32_e32 vcc_lo, 0, v0
	v_cvt_f32_f16_e32 v0, v59
	v_cvt_f32_f16_sdwa v9, v59 dst_sel:DWORD dst_unused:UNUSED_PAD src0_sel:WORD_1
	v_cvt_f32_f16_e32 v10, v60
	v_cvt_f32_f16_sdwa v11, v60 dst_sel:DWORD dst_unused:UNUSED_PAD src0_sel:WORD_1
	v_mad_u64_u32 v[1:2], null, v1, s27, s[30:31]
	v_mul_f32_e32 v8, v7, v0
	v_mul_f32_e32 v9, v7, v9
	;; [unrolled: 1-line block ×4, first 2 shown]
	v_mad_u64_u32 v[1:2], null, s1, v1, s[28:29]
	v_lshl_add_u32 v2, v1, 7, v30
	v_lshlrev_b64 v[2:3], 2, v[2:3]
	v_add_co_u32 v2, s0, s20, v2
	v_add_co_ci_u32_e64 v3, null, s21, v3, s0
	s_and_b32 s0, vcc_lo, s3
	global_store_dwordx4 v[2:3], v[8:11], off
	s_and_saveexec_b32 s3, s0
	s_cbranch_execz .LBB43_19
; %bb.18:
	v_ashrrev_i32_e32 v2, 31, v1
	v_mov_b32_e32 v7, v20
	v_mov_b32_e32 v8, v5
	v_lshlrev_b64 v[2:3], 3, v[1:2]
	v_add_co_u32 v2, vcc_lo, s22, v2
	v_add_co_ci_u32_e64 v3, null, s23, v3, vcc_lo
	global_store_dwordx2 v[2:3], v[7:8], off
.LBB43_19:
	s_or_b32 exec_lo, exec_lo, s3
	v_mov_b32_e32 v2, 1.0
	s_andn2_b32 vcc_lo, exec_lo, s2
	s_cbranch_vccnz .LBB43_21
; %bb.20:
	v_div_scale_f32 v0, null, v4, v4, 1.0
	v_rcp_f32_e32 v2, v0
	v_fma_f32 v3, -v0, v2, 1.0
	v_fmac_f32_e32 v2, v3, v2
	v_div_scale_f32 v3, vcc_lo, 1.0, v4, 1.0
	v_mul_f32_e32 v5, v3, v2
	v_fma_f32 v7, -v0, v5, v3
	v_fmac_f32_e32 v5, v7, v2
	v_fma_f32 v0, -v0, v5, v3
	v_div_fmas_f32 v0, v0, v2, v5
	v_div_fixup_f32 v2, v0, v4, 1.0
.LBB43_21:
	v_add_nc_u32_e32 v0, s1, v1
	v_mov_b32_e32 v4, 0
	v_cvt_f32_f16_e32 v1, v58
	v_cvt_f32_f16_sdwa v5, v58 dst_sel:DWORD dst_unused:UNUSED_PAD src0_sel:WORD_1
	v_cvt_f32_f16_e32 v9, v57
	v_lshl_add_u32 v3, v0, 7, v30
	v_cvt_f32_f16_sdwa v10, v57 dst_sel:DWORD dst_unused:UNUSED_PAD src0_sel:WORD_1
	v_mul_f32_e32 v7, v2, v1
	v_mul_f32_e32 v8, v2, v5
	;; [unrolled: 1-line block ×3, first 2 shown]
	v_lshlrev_b64 v[3:4], 2, v[3:4]
	v_mul_f32_e32 v10, v2, v10
	v_add_co_u32 v1, vcc_lo, s20, v3
	v_add_co_ci_u32_e64 v2, null, s21, v4, vcc_lo
	global_store_dwordx4 v[1:2], v[7:10], off
	s_and_b32 exec_lo, exec_lo, s0
	s_cbranch_execz .LBB43_13
; %bb.22:
	v_ashrrev_i32_e32 v1, 31, v0
	v_mov_b32_e32 v5, v21
	v_lshlrev_b64 v[0:1], 3, v[0:1]
	v_add_co_u32 v0, vcc_lo, s22, v0
	v_add_co_ci_u32_e64 v1, null, s23, v1, vcc_lo
	global_store_dwordx2 v[0:1], v[5:6], off
	s_endpgm
	.section	.rodata,"a",@progbits
	.p2align	6, 0x0
	.amdhsa_kernel _ZL15flash_attn_tileILi128ELi128ELi4ELi2ELb0EEvPKcS1_S1_S1_S1_PKiPfP15HIP_vector_typeIfLj2EEffffjfiS5_IjLj3EEiiiiiiiiiiiliiliiiiil
		.amdhsa_group_segment_fixed_size 12288
		.amdhsa_private_segment_fixed_size 0
		.amdhsa_kernarg_size 464
		.amdhsa_user_sgpr_count 6
		.amdhsa_user_sgpr_private_segment_buffer 1
		.amdhsa_user_sgpr_dispatch_ptr 0
		.amdhsa_user_sgpr_queue_ptr 0
		.amdhsa_user_sgpr_kernarg_segment_ptr 1
		.amdhsa_user_sgpr_dispatch_id 0
		.amdhsa_user_sgpr_flat_scratch_init 0
		.amdhsa_user_sgpr_private_segment_size 0
		.amdhsa_wavefront_size32 1
		.amdhsa_uses_dynamic_stack 0
		.amdhsa_system_sgpr_private_segment_wavefront_offset 0
		.amdhsa_system_sgpr_workgroup_id_x 1
		.amdhsa_system_sgpr_workgroup_id_y 1
		.amdhsa_system_sgpr_workgroup_id_z 1
		.amdhsa_system_sgpr_workgroup_info 0
		.amdhsa_system_vgpr_workitem_id 1
		.amdhsa_next_free_vgpr 99
		.amdhsa_next_free_sgpr 40
		.amdhsa_reserve_vcc 1
		.amdhsa_reserve_flat_scratch 0
		.amdhsa_float_round_mode_32 0
		.amdhsa_float_round_mode_16_64 0
		.amdhsa_float_denorm_mode_32 3
		.amdhsa_float_denorm_mode_16_64 3
		.amdhsa_dx10_clamp 1
		.amdhsa_ieee_mode 1
		.amdhsa_fp16_overflow 0
		.amdhsa_workgroup_processor_mode 1
		.amdhsa_memory_ordered 1
		.amdhsa_forward_progress 1
		.amdhsa_shared_vgpr_count 0
		.amdhsa_exception_fp_ieee_invalid_op 0
		.amdhsa_exception_fp_denorm_src 0
		.amdhsa_exception_fp_ieee_div_zero 0
		.amdhsa_exception_fp_ieee_overflow 0
		.amdhsa_exception_fp_ieee_underflow 0
		.amdhsa_exception_fp_ieee_inexact 0
		.amdhsa_exception_int_div_zero 0
	.end_amdhsa_kernel
	.section	.text._ZL15flash_attn_tileILi128ELi128ELi4ELi2ELb0EEvPKcS1_S1_S1_S1_PKiPfP15HIP_vector_typeIfLj2EEffffjfiS5_IjLj3EEiiiiiiiiiiiliiliiiiil,"axG",@progbits,_ZL15flash_attn_tileILi128ELi128ELi4ELi2ELb0EEvPKcS1_S1_S1_S1_PKiPfP15HIP_vector_typeIfLj2EEffffjfiS5_IjLj3EEiiiiiiiiiiiliiliiiiil,comdat
.Lfunc_end43:
	.size	_ZL15flash_attn_tileILi128ELi128ELi4ELi2ELb0EEvPKcS1_S1_S1_S1_PKiPfP15HIP_vector_typeIfLj2EEffffjfiS5_IjLj3EEiiiiiiiiiiiliiliiiiil, .Lfunc_end43-_ZL15flash_attn_tileILi128ELi128ELi4ELi2ELb0EEvPKcS1_S1_S1_S1_PKiPfP15HIP_vector_typeIfLj2EEffffjfiS5_IjLj3EEiiiiiiiiiiiliiliiiiil
                                        ; -- End function
	.set _ZL15flash_attn_tileILi128ELi128ELi4ELi2ELb0EEvPKcS1_S1_S1_S1_PKiPfP15HIP_vector_typeIfLj2EEffffjfiS5_IjLj3EEiiiiiiiiiiiliiliiiiil.num_vgpr, 99
	.set _ZL15flash_attn_tileILi128ELi128ELi4ELi2ELb0EEvPKcS1_S1_S1_S1_PKiPfP15HIP_vector_typeIfLj2EEffffjfiS5_IjLj3EEiiiiiiiiiiiliiliiiiil.num_agpr, 0
	.set _ZL15flash_attn_tileILi128ELi128ELi4ELi2ELb0EEvPKcS1_S1_S1_S1_PKiPfP15HIP_vector_typeIfLj2EEffffjfiS5_IjLj3EEiiiiiiiiiiiliiliiiiil.numbered_sgpr, 40
	.set _ZL15flash_attn_tileILi128ELi128ELi4ELi2ELb0EEvPKcS1_S1_S1_S1_PKiPfP15HIP_vector_typeIfLj2EEffffjfiS5_IjLj3EEiiiiiiiiiiiliiliiiiil.num_named_barrier, 0
	.set _ZL15flash_attn_tileILi128ELi128ELi4ELi2ELb0EEvPKcS1_S1_S1_S1_PKiPfP15HIP_vector_typeIfLj2EEffffjfiS5_IjLj3EEiiiiiiiiiiiliiliiiiil.private_seg_size, 0
	.set _ZL15flash_attn_tileILi128ELi128ELi4ELi2ELb0EEvPKcS1_S1_S1_S1_PKiPfP15HIP_vector_typeIfLj2EEffffjfiS5_IjLj3EEiiiiiiiiiiiliiliiiiil.uses_vcc, 1
	.set _ZL15flash_attn_tileILi128ELi128ELi4ELi2ELb0EEvPKcS1_S1_S1_S1_PKiPfP15HIP_vector_typeIfLj2EEffffjfiS5_IjLj3EEiiiiiiiiiiiliiliiiiil.uses_flat_scratch, 0
	.set _ZL15flash_attn_tileILi128ELi128ELi4ELi2ELb0EEvPKcS1_S1_S1_S1_PKiPfP15HIP_vector_typeIfLj2EEffffjfiS5_IjLj3EEiiiiiiiiiiiliiliiiiil.has_dyn_sized_stack, 0
	.set _ZL15flash_attn_tileILi128ELi128ELi4ELi2ELb0EEvPKcS1_S1_S1_S1_PKiPfP15HIP_vector_typeIfLj2EEffffjfiS5_IjLj3EEiiiiiiiiiiiliiliiiiil.has_recursion, 0
	.set _ZL15flash_attn_tileILi128ELi128ELi4ELi2ELb0EEvPKcS1_S1_S1_S1_PKiPfP15HIP_vector_typeIfLj2EEffffjfiS5_IjLj3EEiiiiiiiiiiiliiliiiiil.has_indirect_call, 0
	.section	.AMDGPU.csdata,"",@progbits
; Kernel info:
; codeLenInByte = 14488
; TotalNumSgprs: 42
; NumVgprs: 99
; ScratchSize: 0
; MemoryBound: 0
; FloatMode: 240
; IeeeMode: 1
; LDSByteSize: 12288 bytes/workgroup (compile time only)
; SGPRBlocks: 0
; VGPRBlocks: 12
; NumSGPRsForWavesPerEU: 42
; NumVGPRsForWavesPerEU: 99
; Occupancy: 9
; WaveLimiterHint : 1
; COMPUTE_PGM_RSRC2:SCRATCH_EN: 0
; COMPUTE_PGM_RSRC2:USER_SGPR: 6
; COMPUTE_PGM_RSRC2:TRAP_HANDLER: 0
; COMPUTE_PGM_RSRC2:TGID_X_EN: 1
; COMPUTE_PGM_RSRC2:TGID_Y_EN: 1
; COMPUTE_PGM_RSRC2:TGID_Z_EN: 1
; COMPUTE_PGM_RSRC2:TIDIG_COMP_CNT: 1
	.section	.text._ZL33flash_attn_stream_k_fixup_uniformILi128ELi4ELi2EEvPfPK15HIP_vector_typeIfLj2EEiiiiiiS1_IjLj3EES5_S5_,"axG",@progbits,_ZL33flash_attn_stream_k_fixup_uniformILi128ELi4ELi2EEvPfPK15HIP_vector_typeIfLj2EEiiiiiiS1_IjLj3EES5_S5_,comdat
	.globl	_ZL33flash_attn_stream_k_fixup_uniformILi128ELi4ELi2EEvPfPK15HIP_vector_typeIfLj2EEiiiiiiS1_IjLj3EES5_S5_ ; -- Begin function _ZL33flash_attn_stream_k_fixup_uniformILi128ELi4ELi2EEvPfPK15HIP_vector_typeIfLj2EEiiiiiiS1_IjLj3EES5_S5_
	.p2align	8
	.type	_ZL33flash_attn_stream_k_fixup_uniformILi128ELi4ELi2EEvPfPK15HIP_vector_typeIfLj2EEiiiiiiS1_IjLj3EES5_S5_,@function
_ZL33flash_attn_stream_k_fixup_uniformILi128ELi4ELi2EEvPfPK15HIP_vector_typeIfLj2EEiiiiiiS1_IjLj3EES5_S5_: ; @_ZL33flash_attn_stream_k_fixup_uniformILi128ELi4ELi2EEvPfPK15HIP_vector_typeIfLj2EEiiiiiiS1_IjLj3EES5_S5_
; %bb.0:
	s_clause 0x2
	s_load_dwordx8 s[12:19], s[4:5], 0x1c
	s_load_dwordx4 s[20:23], s[4:5], 0x3c
	s_load_dwordx2 s[10:11], s[4:5], 0x10
	s_waitcnt lgkmcnt(0)
	s_mul_hi_u32 s0, s15, s6
	s_add_i32 s0, s6, s0
	s_lshr_b32 s0, s0, s16
	s_mul_i32 s1, s0, s17
	s_sub_i32 s2, s6, s1
	s_mul_hi_u32 s1, s2, s18
	s_add_i32 s1, s2, s1
	s_lshr_b32 s1, s1, s19
	s_mul_i32 s3, s1, s20
	s_sub_i32 s2, s2, s3
	s_mul_hi_u32 s3, s2, s21
	s_add_i32 s3, s2, s3
	s_lshr_b32 s3, s3, s22
	s_mul_i32 s9, s3, s23
	s_lshl_b32 s15, s3, 1
	s_sub_i32 s9, s2, s9
	s_lshl_b32 s2, s9, 2
	s_add_i32 s2, s2, s7
	s_cmp_lt_i32 s2, s10
	s_cselect_b32 s2, -1, 0
	s_add_i32 s3, s15, s8
	s_cmp_lt_i32 s3, s13
	s_cselect_b32 s3, -1, 0
	s_and_b32 s2, s2, s3
	s_andn2_b32 vcc_lo, exec_lo, s2
	s_cbranch_vccnz .LBB44_6
; %bb.1:
	s_mul_i32 s0, s0, s10
	s_mul_i32 s10, s1, s13
	s_add_i32 s0, s0, s7
	s_mul_i32 s0, s0, s11
	s_add_i32 s13, s0, s8
	s_load_dwordx4 s[0:3], s[4:5], 0x0
	s_add_i32 s4, s13, s10
	s_mul_i32 s5, s11, s9
	s_add_i32 s4, s4, s15
	s_lshl_b32 s5, s5, 9
	s_lshl_b32 s4, s4, 7
	;; [unrolled: 1-line block ×3, first 2 shown]
	s_add_i32 s5, s5, s4
	s_mul_i32 s4, s14, s6
	v_or_b32_e32 v1, s5, v0
	s_add_i32 s11, s4, s14
	v_ashrrev_i32_e32 v2, 31, v1
	v_lshlrev_b64 v[1:2], 2, v[1:2]
	s_waitcnt lgkmcnt(0)
	v_add_co_u32 v1, vcc_lo, s0, v1
	v_add_co_ci_u32_e64 v2, null, s1, v2, vcc_lo
	s_add_i32 s0, s10, s8
	s_lshl_b32 s1, s11, 3
	s_add_i32 s0, s0, s1
	global_load_dword v5, v[1:2], off
	s_add_i32 s0, s0, -8
	s_ashr_i32 s1, s0, 31
	s_lshl_b64 s[0:1], s[0:1], 3
	s_add_u32 s0, s2, s0
	s_addc_u32 s1, s3, s1
	s_add_i32 s5, s11, -2
	s_load_dword s13, s[0:1], 0x4
	s_cmp_lt_i32 s5, s4
	s_cbranch_scc1 .LBB44_4
; %bb.2:
	s_lshl_b32 s16, s12, 5
	s_load_dword s15, s[0:1], 0x0
	s_ashr_i32 s17, s16, 31
	s_waitcnt lgkmcnt(0)
	v_mov_b32_e32 v6, s13
	s_lshl_b64 s[0:1], s[16:17], 2
	s_add_u32 s5, s2, s0
	s_addc_u32 s9, s3, s1
	s_add_i32 s6, s6, 1
	s_lshl_b32 s0, s7, 8
	s_lshl_b32 s1, s8, 7
	s_mul_i32 s6, s14, s6
	s_add_i32 s0, s1, s0
	s_lshl_b32 s1, s6, 10
	s_add_i32 s0, s0, s1
	s_lshl_b32 s1, s6, 3
	v_or_b32_e32 v0, s0, v0
	s_lshl_b32 s0, s12, 3
	s_add_i32 s1, s8, s1
	s_add_i32 s6, s11, -1
	s_add_i32 s0, s1, s0
	v_add_nc_u32_e32 v3, 0xfffff800, v0
	v_mov_b32_e32 v0, s15
	s_add_i32 s0, s0, s10
	s_add_i32 s0, s0, -16
.LBB44_3:                               ; =>This Inner Loop Header: Depth=1
	v_ashrrev_i32_e32 v4, 31, v3
	s_ashr_i32 s1, s0, 31
	s_lshl_b64 s[10:11], s[0:1], 3
	s_add_u32 s10, s2, s10
	v_lshlrev_b64 v[7:8], 2, v[3:4]
	s_addc_u32 s11, s3, s11
	v_add_nc_u32_e32 v3, 0xfffffc00, v3
	s_add_i32 s6, s6, -1
	s_add_i32 s0, s0, -8
	s_cmp_le_i32 s6, s4
	v_add_co_u32 v7, vcc_lo, s5, v7
	v_add_co_ci_u32_e64 v8, null, s9, v8, vcc_lo
	s_load_dwordx2 s[10:11], s[10:11], 0x0
	global_load_dword v4, v[7:8], off
	v_max_f32_e32 v7, v0, v0
	s_waitcnt lgkmcnt(0)
	v_max_f32_e64 v8, s10, s10
	v_max_f32_e32 v7, v7, v8
	v_sub_f32_e32 v8, s10, v7
	v_sub_f32_e32 v0, v0, v7
	v_mul_f32_e32 v9, 0x3fb8aa3b, v8
	v_mul_f32_e32 v12, 0x3fb8aa3b, v0
	v_cmp_ngt_f32_e32 vcc_lo, 0xc2ce8ed0, v8
	v_fma_f32 v10, 0x3fb8aa3b, v8, -v9
	v_rndne_f32_e32 v11, v9
	v_fma_f32 v13, 0x3fb8aa3b, v0, -v12
	v_rndne_f32_e32 v14, v12
	v_fmac_f32_e32 v10, 0x32a5705f, v8
	v_sub_f32_e32 v9, v9, v11
	v_fmac_f32_e32 v13, 0x32a5705f, v0
	v_cvt_i32_f32_e32 v11, v11
	v_add_f32_e32 v9, v9, v10
	v_sub_f32_e32 v10, v12, v14
	v_exp_f32_e32 v9, v9
	v_add_f32_e32 v10, v10, v13
	v_exp_f32_e32 v10, v10
	v_ldexp_f32 v9, v9, v11
	v_cvt_i32_f32_e32 v11, v14
	v_cndmask_b32_e32 v9, 0, v9, vcc_lo
	v_cmp_nlt_f32_e32 vcc_lo, 0x42b17218, v8
	v_ldexp_f32 v10, v10, v11
	v_mov_b32_e32 v11, v6
	v_cndmask_b32_e32 v9, 0x7f800000, v9, vcc_lo
	v_cmp_ngt_f32_e32 vcc_lo, 0xc2ce8ed0, v0
	v_cndmask_b32_e32 v10, 0, v10, vcc_lo
	v_cmp_le_f32_e32 vcc_lo, 0xc1a00000, v8
	v_cndmask_b32_e32 v8, 0, v9, vcc_lo
	v_cmp_nlt_f32_e32 vcc_lo, 0x42b17218, v0
	s_waitcnt vmcnt(1)
	v_mov_b32_e32 v9, v5
	v_cndmask_b32_e32 v5, 0x7f800000, v10, vcc_lo
	v_mul_f32_e32 v10, s11, v8
	v_cmp_le_f32_e32 vcc_lo, 0xc1a00000, v0
	v_mov_b32_e32 v0, v7
	v_mov_b32_e32 v6, v10
	v_cndmask_b32_e32 v12, 0, v5, vcc_lo
	v_fmac_f32_e32 v6, v11, v12
	s_waitcnt vmcnt(0)
	v_mul_f32_e32 v5, v4, v8
	v_fmac_f32_e32 v5, v9, v12
	s_cbranch_scc0 .LBB44_3
	s_branch .LBB44_5
.LBB44_4:
	s_waitcnt lgkmcnt(0)
	v_mov_b32_e32 v6, s13
.LBB44_5:
	s_waitcnt vmcnt(0)
	v_div_scale_f32 v0, null, v6, v6, v5
	v_rcp_f32_e32 v3, v0
	v_fma_f32 v4, -v0, v3, 1.0
	v_fmac_f32_e32 v3, v4, v3
	v_div_scale_f32 v4, vcc_lo, v5, v6, v5
	v_mul_f32_e32 v7, v4, v3
	v_fma_f32 v8, -v0, v7, v4
	v_fmac_f32_e32 v7, v8, v3
	v_fma_f32 v0, -v0, v7, v4
	v_div_fmas_f32 v0, v0, v3, v7
	v_div_fixup_f32 v0, v0, v6, v5
	global_store_dword v[1:2], v0, off
.LBB44_6:
	s_endpgm
	.section	.rodata,"a",@progbits
	.p2align	6, 0x0
	.amdhsa_kernel _ZL33flash_attn_stream_k_fixup_uniformILi128ELi4ELi2EEvPfPK15HIP_vector_typeIfLj2EEiiiiiiS1_IjLj3EES5_S5_
		.amdhsa_group_segment_fixed_size 0
		.amdhsa_private_segment_fixed_size 0
		.amdhsa_kernarg_size 76
		.amdhsa_user_sgpr_count 6
		.amdhsa_user_sgpr_private_segment_buffer 1
		.amdhsa_user_sgpr_dispatch_ptr 0
		.amdhsa_user_sgpr_queue_ptr 0
		.amdhsa_user_sgpr_kernarg_segment_ptr 1
		.amdhsa_user_sgpr_dispatch_id 0
		.amdhsa_user_sgpr_flat_scratch_init 0
		.amdhsa_user_sgpr_private_segment_size 0
		.amdhsa_wavefront_size32 1
		.amdhsa_uses_dynamic_stack 0
		.amdhsa_system_sgpr_private_segment_wavefront_offset 0
		.amdhsa_system_sgpr_workgroup_id_x 1
		.amdhsa_system_sgpr_workgroup_id_y 1
		.amdhsa_system_sgpr_workgroup_id_z 1
		.amdhsa_system_sgpr_workgroup_info 0
		.amdhsa_system_vgpr_workitem_id 0
		.amdhsa_next_free_vgpr 15
		.amdhsa_next_free_sgpr 24
		.amdhsa_reserve_vcc 1
		.amdhsa_reserve_flat_scratch 0
		.amdhsa_float_round_mode_32 0
		.amdhsa_float_round_mode_16_64 0
		.amdhsa_float_denorm_mode_32 3
		.amdhsa_float_denorm_mode_16_64 3
		.amdhsa_dx10_clamp 1
		.amdhsa_ieee_mode 1
		.amdhsa_fp16_overflow 0
		.amdhsa_workgroup_processor_mode 1
		.amdhsa_memory_ordered 1
		.amdhsa_forward_progress 1
		.amdhsa_shared_vgpr_count 0
		.amdhsa_exception_fp_ieee_invalid_op 0
		.amdhsa_exception_fp_denorm_src 0
		.amdhsa_exception_fp_ieee_div_zero 0
		.amdhsa_exception_fp_ieee_overflow 0
		.amdhsa_exception_fp_ieee_underflow 0
		.amdhsa_exception_fp_ieee_inexact 0
		.amdhsa_exception_int_div_zero 0
	.end_amdhsa_kernel
	.section	.text._ZL33flash_attn_stream_k_fixup_uniformILi128ELi4ELi2EEvPfPK15HIP_vector_typeIfLj2EEiiiiiiS1_IjLj3EES5_S5_,"axG",@progbits,_ZL33flash_attn_stream_k_fixup_uniformILi128ELi4ELi2EEvPfPK15HIP_vector_typeIfLj2EEiiiiiiS1_IjLj3EES5_S5_,comdat
.Lfunc_end44:
	.size	_ZL33flash_attn_stream_k_fixup_uniformILi128ELi4ELi2EEvPfPK15HIP_vector_typeIfLj2EEiiiiiiS1_IjLj3EES5_S5_, .Lfunc_end44-_ZL33flash_attn_stream_k_fixup_uniformILi128ELi4ELi2EEvPfPK15HIP_vector_typeIfLj2EEiiiiiiS1_IjLj3EES5_S5_
                                        ; -- End function
	.set _ZL33flash_attn_stream_k_fixup_uniformILi128ELi4ELi2EEvPfPK15HIP_vector_typeIfLj2EEiiiiiiS1_IjLj3EES5_S5_.num_vgpr, 15
	.set _ZL33flash_attn_stream_k_fixup_uniformILi128ELi4ELi2EEvPfPK15HIP_vector_typeIfLj2EEiiiiiiS1_IjLj3EES5_S5_.num_agpr, 0
	.set _ZL33flash_attn_stream_k_fixup_uniformILi128ELi4ELi2EEvPfPK15HIP_vector_typeIfLj2EEiiiiiiS1_IjLj3EES5_S5_.numbered_sgpr, 24
	.set _ZL33flash_attn_stream_k_fixup_uniformILi128ELi4ELi2EEvPfPK15HIP_vector_typeIfLj2EEiiiiiiS1_IjLj3EES5_S5_.num_named_barrier, 0
	.set _ZL33flash_attn_stream_k_fixup_uniformILi128ELi4ELi2EEvPfPK15HIP_vector_typeIfLj2EEiiiiiiS1_IjLj3EES5_S5_.private_seg_size, 0
	.set _ZL33flash_attn_stream_k_fixup_uniformILi128ELi4ELi2EEvPfPK15HIP_vector_typeIfLj2EEiiiiiiS1_IjLj3EES5_S5_.uses_vcc, 1
	.set _ZL33flash_attn_stream_k_fixup_uniformILi128ELi4ELi2EEvPfPK15HIP_vector_typeIfLj2EEiiiiiiS1_IjLj3EES5_S5_.uses_flat_scratch, 0
	.set _ZL33flash_attn_stream_k_fixup_uniformILi128ELi4ELi2EEvPfPK15HIP_vector_typeIfLj2EEiiiiiiS1_IjLj3EES5_S5_.has_dyn_sized_stack, 0
	.set _ZL33flash_attn_stream_k_fixup_uniformILi128ELi4ELi2EEvPfPK15HIP_vector_typeIfLj2EEiiiiiiS1_IjLj3EES5_S5_.has_recursion, 0
	.set _ZL33flash_attn_stream_k_fixup_uniformILi128ELi4ELi2EEvPfPK15HIP_vector_typeIfLj2EEiiiiiiS1_IjLj3EES5_S5_.has_indirect_call, 0
	.section	.AMDGPU.csdata,"",@progbits
; Kernel info:
; codeLenInByte = 848
; TotalNumSgprs: 26
; NumVgprs: 15
; ScratchSize: 0
; MemoryBound: 0
; FloatMode: 240
; IeeeMode: 1
; LDSByteSize: 0 bytes/workgroup (compile time only)
; SGPRBlocks: 0
; VGPRBlocks: 1
; NumSGPRsForWavesPerEU: 26
; NumVGPRsForWavesPerEU: 15
; Occupancy: 16
; WaveLimiterHint : 0
; COMPUTE_PGM_RSRC2:SCRATCH_EN: 0
; COMPUTE_PGM_RSRC2:USER_SGPR: 6
; COMPUTE_PGM_RSRC2:TRAP_HANDLER: 0
; COMPUTE_PGM_RSRC2:TGID_X_EN: 1
; COMPUTE_PGM_RSRC2:TGID_Y_EN: 1
; COMPUTE_PGM_RSRC2:TGID_Z_EN: 1
; COMPUTE_PGM_RSRC2:TIDIG_COMP_CNT: 0
	.section	.text._ZL33flash_attn_stream_k_fixup_generalILi128ELi4ELi2EEvPfPK15HIP_vector_typeIfLj2EEiiiiS1_IjLj3EES5_S5_S5_,"axG",@progbits,_ZL33flash_attn_stream_k_fixup_generalILi128ELi4ELi2EEvPfPK15HIP_vector_typeIfLj2EEiiiiS1_IjLj3EES5_S5_S5_,comdat
	.globl	_ZL33flash_attn_stream_k_fixup_generalILi128ELi4ELi2EEvPfPK15HIP_vector_typeIfLj2EEiiiiS1_IjLj3EES5_S5_S5_ ; -- Begin function _ZL33flash_attn_stream_k_fixup_generalILi128ELi4ELi2EEvPfPK15HIP_vector_typeIfLj2EEiiiiS1_IjLj3EES5_S5_S5_
	.p2align	8
	.type	_ZL33flash_attn_stream_k_fixup_generalILi128ELi4ELi2EEvPfPK15HIP_vector_typeIfLj2EEiiiiS1_IjLj3EES5_S5_S5_,@function
_ZL33flash_attn_stream_k_fixup_generalILi128ELi4ELi2EEvPfPK15HIP_vector_typeIfLj2EEiiiiS1_IjLj3EES5_S5_S5_: ; @_ZL33flash_attn_stream_k_fixup_generalILi128ELi4ELi2EEvPfPK15HIP_vector_typeIfLj2EEiiiiS1_IjLj3EES5_S5_S5_
; %bb.0:
	s_clause 0x1
	s_load_dwordx4 s[0:3], s[4:5], 0x10
	s_load_dword s9, s[4:5], 0x50
	s_mov_b32 s16, 0
	s_waitcnt lgkmcnt(0)
	s_mul_hi_i32 s17, s3, s6
	s_mul_i32 s18, s3, s6
	s_cmp_lg_u64 s[16:17], 0
	s_cbranch_scc0 .LBB45_21
; %bb.1:
	s_add_u32 s10, s9, 0
	s_addc_u32 s11, 0, 0
	s_xor_b64 s[10:11], s[10:11], 0
	v_cvt_f32_u32_e32 v1, s10
	v_cvt_f32_u32_e32 v2, s11
	s_sub_u32 s14, 0, s10
	s_subb_u32 s15, 0, s11
	v_fmamk_f32 v1, v2, 0x4f800000, v1
	v_rcp_f32_e32 v1, v1
	v_mul_f32_e32 v1, 0x5f7ffffc, v1
	v_mul_f32_e32 v2, 0x2f800000, v1
	v_trunc_f32_e32 v2, v2
	v_fmamk_f32 v1, v2, 0xcf800000, v1
	v_cvt_u32_f32_e32 v2, v2
	v_cvt_u32_f32_e32 v1, v1
	v_readfirstlane_b32 s12, v2
	v_readfirstlane_b32 s13, v1
	s_mul_i32 s19, s14, s12
	s_mul_hi_u32 s21, s14, s13
	s_mul_i32 s20, s15, s13
	s_add_i32 s19, s21, s19
	s_mul_i32 s22, s14, s13
	s_add_i32 s19, s19, s20
	s_mul_hi_u32 s21, s13, s22
	s_mul_i32 s24, s13, s19
	s_mul_hi_u32 s23, s12, s22
	s_mul_i32 s20, s12, s22
	s_mul_hi_u32 s22, s13, s19
	s_add_u32 s21, s21, s24
	s_addc_u32 s22, 0, s22
	s_mul_hi_u32 s25, s12, s19
	s_add_u32 s20, s21, s20
	s_mul_i32 s19, s12, s19
	s_addc_u32 s20, s22, s23
	s_addc_u32 s21, s25, 0
	s_add_u32 s19, s20, s19
	s_addc_u32 s20, 0, s21
	s_add_u32 s13, s13, s19
	s_cselect_b32 s19, -1, 0
	s_mul_hi_u32 s21, s14, s13
	s_cmp_lg_u32 s19, 0
	s_mul_i32 s19, s14, s13
	s_addc_u32 s12, s12, s20
	s_mul_i32 s15, s15, s13
	s_mul_i32 s14, s14, s12
	s_mul_hi_u32 s20, s13, s19
	s_add_i32 s14, s21, s14
	s_mul_hi_u32 s21, s12, s19
	s_add_i32 s14, s14, s15
	s_mul_i32 s15, s12, s19
	s_mul_i32 s23, s13, s14
	s_mul_hi_u32 s22, s13, s14
	s_add_u32 s20, s20, s23
	s_addc_u32 s22, 0, s22
	s_mul_hi_u32 s19, s12, s14
	s_add_u32 s15, s20, s15
	s_mul_i32 s14, s12, s14
	s_addc_u32 s15, s22, s21
	s_addc_u32 s19, s19, 0
	s_add_u32 s14, s15, s14
	s_addc_u32 s15, 0, s19
	s_add_u32 s19, s13, s14
	s_cselect_b32 s13, -1, 0
	s_cmp_lg_u32 s13, 0
	s_addc_u32 s20, s12, s15
	s_ashr_i32 s12, s17, 31
	s_add_u32 s14, s18, s12
	s_mov_b32 s13, s12
	s_addc_u32 s15, s17, s12
	s_xor_b64 s[14:15], s[14:15], s[12:13]
	s_mul_i32 s21, s14, s20
	s_mul_hi_u32 s22, s14, s19
	s_mul_hi_u32 s17, s14, s20
	s_mul_hi_u32 s24, s15, s19
	s_mul_i32 s19, s15, s19
	s_add_u32 s21, s22, s21
	s_addc_u32 s17, 0, s17
	s_mul_hi_u32 s23, s15, s20
	s_add_u32 s19, s21, s19
	s_mul_i32 s20, s15, s20
	s_addc_u32 s17, s17, s24
	s_addc_u32 s19, s23, 0
	s_add_u32 s17, s17, s20
	s_addc_u32 s19, 0, s19
	s_mul_hi_u32 s20, s10, s17
	s_mul_i32 s21, s10, s19
	s_mul_i32 s22, s11, s17
	s_add_i32 s20, s20, s21
	s_mul_i32 s21, s10, s17
	s_add_i32 s20, s20, s22
	s_sub_i32 s22, s15, s20
	s_sub_u32 s14, s14, s21
	s_cselect_b32 s21, -1, 0
	s_cmp_lg_u32 s21, 0
	s_subb_u32 s22, s22, s11
	s_sub_u32 s23, s14, s10
	s_cselect_b32 s24, -1, 0
	s_cmp_lg_u32 s24, 0
	s_subb_u32 s22, s22, 0
	s_cmp_ge_u32 s22, s11
	s_cselect_b32 s24, -1, 0
	s_cmp_ge_u32 s23, s10
	s_cselect_b32 s23, -1, 0
	s_cmp_eq_u32 s22, s11
	s_cselect_b32 s22, s23, s24
	s_add_u32 s23, s17, 1
	s_addc_u32 s24, s19, 0
	s_add_u32 s25, s17, 2
	s_addc_u32 s26, s19, 0
	s_cmp_lg_u32 s22, 0
	s_cselect_b32 s22, s25, s23
	s_cselect_b32 s23, s26, s24
	s_cmp_lg_u32 s21, 0
	s_subb_u32 s15, s15, s20
	s_cmp_ge_u32 s15, s11
	s_cselect_b32 s20, -1, 0
	s_cmp_ge_u32 s14, s10
	s_cselect_b32 s10, -1, 0
	s_cmp_eq_u32 s15, s11
	s_cselect_b32 s10, s10, s20
	s_cmp_lg_u32 s10, 0
	s_cselect_b32 s11, s23, s19
	s_cselect_b32 s10, s22, s17
	s_xor_b64 s[12:13], s[12:13], 0
	s_xor_b64 s[10:11], s[10:11], s[12:13]
	s_sub_u32 s10, s10, s12
	s_load_dwordx4 s[12:15], s[4:5], 0x44
	s_andn2_b32 vcc_lo, exec_lo, s16
	s_cbranch_vccnz .LBB45_3
.LBB45_2:
	v_cvt_f32_u32_e32 v1, s9
	s_sub_i32 s11, 0, s9
	v_rcp_iflag_f32_e32 v1, v1
	v_mul_f32_e32 v1, 0x4f7ffffe, v1
	v_cvt_u32_f32_e32 v1, v1
	v_readfirstlane_b32 s10, v1
	s_mul_i32 s11, s11, s10
	s_mul_hi_u32 s11, s10, s11
	s_add_i32 s10, s10, s11
	s_mul_hi_u32 s10, s18, s10
	s_mul_i32 s11, s10, s9
	s_waitcnt lgkmcnt(0)
	s_add_i32 s15, s10, 1
	s_sub_i32 s11, s18, s11
	s_sub_i32 s16, s11, s9
	s_cmp_ge_u32 s11, s9
	s_cselect_b32 s10, s15, s10
	s_cselect_b32 s11, s16, s11
	s_add_i32 s15, s10, 1
	s_cmp_ge_u32 s11, s9
	s_cselect_b32 s10, s15, s10
.LBB45_3:
	s_add_i32 s11, s6, 1
	s_mov_b32 s16, 0
	s_mul_hi_i32 s17, s3, s11
	s_mul_i32 s11, s3, s11
	s_cmp_lg_u64 s[16:17], 0
	s_cbranch_scc0 .LBB45_22
; %bb.4:
	s_add_u32 s18, s9, 0
	s_addc_u32 s19, 0, 0
	s_xor_b64 s[18:19], s[18:19], 0
	v_cvt_f32_u32_e32 v1, s18
	v_cvt_f32_u32_e32 v2, s19
	s_sub_u32 s21, 0, s18
	s_subb_u32 s22, 0, s19
	v_fmamk_f32 v1, v2, 0x4f800000, v1
	v_rcp_f32_e32 v1, v1
	v_mul_f32_e32 v1, 0x5f7ffffc, v1
	v_mul_f32_e32 v2, 0x2f800000, v1
	v_trunc_f32_e32 v2, v2
	v_fmamk_f32 v1, v2, 0xcf800000, v1
	v_cvt_u32_f32_e32 v2, v2
	v_cvt_u32_f32_e32 v1, v1
	s_waitcnt lgkmcnt(0)
	v_readfirstlane_b32 s15, v2
	v_readfirstlane_b32 s20, v1
	s_mul_i32 s23, s21, s15
	s_mul_hi_u32 s25, s21, s20
	s_mul_i32 s24, s22, s20
	s_add_i32 s23, s25, s23
	s_mul_i32 s26, s21, s20
	s_add_i32 s23, s23, s24
	s_mul_hi_u32 s25, s20, s26
	s_mul_i32 s28, s20, s23
	s_mul_hi_u32 s27, s15, s26
	s_mul_i32 s24, s15, s26
	s_mul_hi_u32 s26, s20, s23
	s_add_u32 s25, s25, s28
	s_addc_u32 s26, 0, s26
	s_mul_hi_u32 s29, s15, s23
	s_add_u32 s24, s25, s24
	s_mul_i32 s23, s15, s23
	s_addc_u32 s24, s26, s27
	s_addc_u32 s25, s29, 0
	s_add_u32 s23, s24, s23
	s_addc_u32 s24, 0, s25
	s_add_u32 s20, s20, s23
	s_cselect_b32 s23, -1, 0
	s_mul_hi_u32 s25, s21, s20
	s_cmp_lg_u32 s23, 0
	s_mul_i32 s23, s21, s20
	s_addc_u32 s15, s15, s24
	s_mul_i32 s22, s22, s20
	s_mul_i32 s21, s21, s15
	s_mul_hi_u32 s24, s20, s23
	s_add_i32 s21, s25, s21
	s_mul_hi_u32 s25, s15, s23
	s_add_i32 s21, s21, s22
	s_mul_i32 s22, s15, s23
	s_mul_i32 s27, s20, s21
	s_mul_hi_u32 s26, s20, s21
	s_add_u32 s24, s24, s27
	s_addc_u32 s26, 0, s26
	s_mul_hi_u32 s23, s15, s21
	s_add_u32 s22, s24, s22
	s_mul_i32 s21, s15, s21
	s_addc_u32 s22, s26, s25
	s_addc_u32 s23, s23, 0
	s_add_u32 s21, s22, s21
	s_addc_u32 s22, 0, s23
	s_add_u32 s24, s20, s21
	s_cselect_b32 s20, -1, 0
	s_cmp_lg_u32 s20, 0
	s_addc_u32 s15, s15, s22
	s_ashr_i32 s20, s17, 31
	s_add_u32 s22, s11, s20
	s_mov_b32 s21, s20
	s_addc_u32 s23, s17, s20
	s_xor_b64 s[22:23], s[22:23], s[20:21]
	s_mul_i32 s25, s22, s15
	s_mul_hi_u32 s26, s22, s24
	s_mul_hi_u32 s17, s22, s15
	;; [unrolled: 1-line block ×3, first 2 shown]
	s_mul_i32 s24, s23, s24
	s_add_u32 s25, s26, s25
	s_addc_u32 s17, 0, s17
	s_mul_hi_u32 s27, s23, s15
	s_add_u32 s24, s25, s24
	s_mul_i32 s15, s23, s15
	s_addc_u32 s17, s17, s28
	s_addc_u32 s24, s27, 0
	s_add_u32 s15, s17, s15
	s_addc_u32 s17, 0, s24
	s_mul_hi_u32 s24, s18, s15
	s_mul_i32 s25, s18, s17
	s_mul_i32 s26, s19, s15
	s_add_i32 s24, s24, s25
	s_mul_i32 s25, s18, s15
	s_add_i32 s24, s24, s26
	s_sub_i32 s26, s23, s24
	s_sub_u32 s22, s22, s25
	s_cselect_b32 s25, -1, 0
	s_cmp_lg_u32 s25, 0
	s_subb_u32 s26, s26, s19
	s_sub_u32 s27, s22, s18
	s_cselect_b32 s28, -1, 0
	s_cmp_lg_u32 s28, 0
	s_subb_u32 s26, s26, 0
	s_cmp_ge_u32 s26, s19
	s_cselect_b32 s28, -1, 0
	s_cmp_ge_u32 s27, s18
	s_cselect_b32 s27, -1, 0
	s_cmp_eq_u32 s26, s19
	s_cselect_b32 s26, s27, s28
	s_add_u32 s27, s15, 1
	s_addc_u32 s28, s17, 0
	s_add_u32 s29, s15, 2
	s_addc_u32 s30, s17, 0
	s_cmp_lg_u32 s26, 0
	s_cselect_b32 s26, s29, s27
	s_cselect_b32 s27, s30, s28
	s_cmp_lg_u32 s25, 0
	s_subb_u32 s23, s23, s24
	s_cmp_ge_u32 s23, s19
	s_cselect_b32 s24, -1, 0
	s_cmp_ge_u32 s22, s18
	s_cselect_b32 s18, -1, 0
	s_cmp_eq_u32 s23, s19
	s_cselect_b32 s18, s18, s24
	s_cmp_lg_u32 s18, 0
	s_cselect_b32 s19, s27, s17
	s_cselect_b32 s18, s26, s15
	s_xor_b64 s[20:21], s[20:21], 0
	s_xor_b64 s[18:19], s[18:19], s[20:21]
	s_sub_u32 s18, s18, s20
	s_andn2_b32 vcc_lo, exec_lo, s16
	s_cbranch_vccnz .LBB45_6
.LBB45_5:
	v_cvt_f32_u32_e32 v1, s9
	s_sub_i32 s16, 0, s9
	v_rcp_iflag_f32_e32 v1, v1
	v_mul_f32_e32 v1, 0x4f7ffffe, v1
	v_cvt_u32_f32_e32 v1, v1
	s_waitcnt lgkmcnt(0)
	v_readfirstlane_b32 s15, v1
	s_mul_i32 s16, s16, s15
	s_mul_hi_u32 s16, s15, s16
	s_add_i32 s15, s15, s16
	s_mul_hi_u32 s15, s11, s15
	s_mul_i32 s16, s15, s9
	s_sub_i32 s11, s11, s16
	s_add_i32 s16, s15, 1
	s_sub_i32 s17, s11, s9
	s_cmp_ge_u32 s11, s9
	s_cselect_b32 s15, s16, s15
	s_cselect_b32 s11, s17, s11
	s_add_i32 s16, s15, 1
	s_cmp_ge_u32 s11, s9
	s_cselect_b32 s18, s16, s15
.LBB45_6:
	s_cmp_eq_u32 s10, s18
	s_waitcnt lgkmcnt(0)
	s_mul_hi_u32 s11, s10, s12
	s_cselect_b32 s15, -1, 0
	s_add_i32 s11, s11, s10
	s_lshr_b32 s11, s11, s13
	s_mul_i32 s16, s11, s14
	s_cmp_eq_u32 s16, s10
	s_mul_hi_u32 s16, s18, s12
	s_cselect_b32 s17, -1, 0
	s_add_i32 s16, s16, s18
	s_lshr_b32 s16, s16, s13
	s_cmp_eq_u32 s11, s16
	s_mul_i32 s16, s16, s14
	s_cselect_b32 s19, -1, 0
	s_cmp_lg_u32 s16, s18
	s_cselect_b32 s16, -1, 0
	s_or_b32 s15, s15, s17
	s_and_b32 s16, s19, s16
	s_or_b32 s15, s15, s16
	s_and_b32 vcc_lo, exec_lo, s15
	s_cbranch_vccnz .LBB45_24
; %bb.7:
	s_clause 0x1
	s_load_dwordx8 s[20:27], s[4:5], 0x20
	s_load_dword s16, s[4:5], 0x40
	s_waitcnt lgkmcnt(0)
	s_mul_hi_u32 s15, s10, s20
	s_add_i32 s15, s15, s10
	s_lshr_b32 s15, s15, s21
	s_mul_i32 s17, s15, s22
	s_sub_i32 s17, s10, s17
	s_mul_hi_u32 s18, s17, s23
	s_add_i32 s18, s17, s18
	s_lshr_b32 s22, s18, s24
	s_mul_i32 s18, s22, s25
	s_sub_i32 s17, s17, s18
	s_mul_hi_u32 s18, s17, s26
	s_add_i32 s18, s17, s18
	s_lshr_b32 s18, s18, s27
	s_mul_i32 s16, s18, s16
	s_lshl_b32 s24, s18, 1
	s_sub_i32 s16, s17, s16
	s_mul_hi_u32 s17, s16, s12
	s_add_i32 s16, s16, s17
	s_lshr_b32 s23, s16, s13
	s_lshl_b32 s16, s23, 2
	s_add_i32 s16, s16, s7
	s_cmp_lt_i32 s16, s0
	s_cselect_b32 s16, -1, 0
	s_add_i32 s17, s24, s8
	s_cmp_lt_i32 s17, s2
	s_cselect_b32 s17, -1, 0
	s_and_b32 s16, s16, s17
	s_andn2_b32 vcc_lo, exec_lo, s16
	s_cbranch_vccnz .LBB45_24
; %bb.8:
	s_load_dwordx4 s[16:19], s[4:5], 0x0
	s_mov_b32 s4, 0
	s_lshl_b32 s20, s9, 5
	s_mov_b32 s21, s4
	s_lshl_b32 s5, s7, 1
	s_lshl_b64 s[20:21], s[20:21], 2
	s_mul_i32 s0, s15, s0
	s_add_i32 s15, s5, s8
	s_mul_i32 s22, s22, s2
	v_cvt_f32_u32_e32 v4, s9
	v_rcp_iflag_f32_e32 v4, v4
	s_waitcnt lgkmcnt(0)
	s_add_u32 s20, s18, s20
	s_addc_u32 s21, s19, s21
	s_add_i32 s0, s0, s7
	s_mul_i32 s0, s0, s1
	s_mul_i32 s1, s1, s23
	s_add_i32 s0, s0, s8
	s_lshl_b32 s1, s1, 9
	s_add_i32 s0, s0, s22
	v_mul_f32_e32 v4, 0x4f7ffffe, v4
	s_add_i32 s0, s0, s24
	s_lshl_b32 s0, s0, 7
	s_add_i32 s1, s1, s0
	s_lshl_b32 s0, s6, 3
	v_or_b32_e32 v1, s1, v0
	s_add_i32 s0, s15, s0
	v_lshl_or_b32 v0, s15, 7, v0
	s_ashr_i32 s1, s0, 31
	v_cvt_u32_f32_e32 v4, v4
	v_ashrrev_i32_e32 v2, 31, v1
	s_lshl_b64 s[0:1], s[0:1], 3
	s_add_u32 s0, s18, s0
	s_addc_u32 s1, s19, s1
	v_lshlrev_b64 v[1:2], 2, v[1:2]
	s_load_dwordx2 s[0:1], s[0:1], 0x0
	s_add_i32 s8, s6, -1
	s_sub_i32 s2, 0, s9
	v_add_co_u32 v1, vcc_lo, s16, v1
	v_add_co_ci_u32_e64 v2, null, s17, v2, vcc_lo
	global_load_dword v3, v[1:2], off
	s_waitcnt lgkmcnt(0)
	v_mov_b32_e32 v5, s1
	v_mov_b32_e32 v6, s0
.LBB45_9:                               ; =>This Inner Loop Header: Depth=1
	s_mul_hi_i32 s5, s8, s3
	s_mul_i32 s6, s8, s3
	s_cmp_lg_u64 s[4:5], 0
	s_mov_b32 s7, -1
                                        ; implicit-def: $sgpr0_sgpr1
	s_cbranch_scc0 .LBB45_11
; %bb.10:                               ;   in Loop: Header=BB45_9 Depth=1
	s_add_u32 s0, s9, 0
	s_addc_u32 s1, 0, 0
	s_xor_b64 s[0:1], s[0:1], 0
	v_cvt_f32_u32_e32 v7, s0
	v_cvt_f32_u32_e32 v8, s1
	s_sub_u32 s17, 0, s0
	s_subb_u32 s22, 0, s1
	v_fmac_f32_e32 v7, 0x4f800000, v8
	v_rcp_f32_e32 v7, v7
	v_mul_f32_e32 v7, 0x5f7ffffc, v7
	v_mul_f32_e32 v8, 0x2f800000, v7
	v_trunc_f32_e32 v8, v8
	v_fmac_f32_e32 v7, 0xcf800000, v8
	v_cvt_u32_f32_e32 v8, v8
	v_cvt_u32_f32_e32 v7, v7
	v_readfirstlane_b32 s7, v8
	v_readfirstlane_b32 s16, v7
	s_mul_i32 s23, s17, s7
	s_mul_hi_u32 s25, s17, s16
	s_mul_i32 s24, s22, s16
	s_add_i32 s23, s25, s23
	s_mul_i32 s26, s17, s16
	s_add_i32 s23, s23, s24
	s_mul_hi_u32 s25, s16, s26
	s_mul_i32 s28, s16, s23
	s_mul_hi_u32 s27, s7, s26
	s_mul_i32 s24, s7, s26
	s_mul_hi_u32 s26, s16, s23
	s_add_u32 s25, s25, s28
	s_addc_u32 s26, 0, s26
	s_mul_hi_u32 s29, s7, s23
	s_add_u32 s24, s25, s24
	s_mul_i32 s23, s7, s23
	s_addc_u32 s24, s26, s27
	s_addc_u32 s25, s29, 0
	s_add_u32 s23, s24, s23
	s_addc_u32 s24, 0, s25
	s_add_u32 s16, s16, s23
	s_cselect_b32 s23, -1, 0
	s_mul_hi_u32 s25, s17, s16
	s_cmp_lg_u32 s23, 0
	s_mul_i32 s23, s17, s16
	s_addc_u32 s7, s7, s24
	s_mul_i32 s22, s22, s16
	s_mul_i32 s17, s17, s7
	s_mul_hi_u32 s24, s16, s23
	s_add_i32 s17, s25, s17
	s_mul_hi_u32 s25, s7, s23
	s_add_i32 s17, s17, s22
	s_mul_i32 s22, s7, s23
	s_mul_i32 s27, s16, s17
	s_mul_hi_u32 s26, s16, s17
	s_add_u32 s24, s24, s27
	s_addc_u32 s26, 0, s26
	s_mul_hi_u32 s23, s7, s17
	s_add_u32 s22, s24, s22
	s_mul_i32 s17, s7, s17
	s_addc_u32 s22, s26, s25
	s_addc_u32 s23, s23, 0
	s_add_u32 s17, s22, s17
	s_addc_u32 s22, 0, s23
	s_add_u32 s24, s16, s17
	s_cselect_b32 s16, -1, 0
	s_cmp_lg_u32 s16, 0
	s_addc_u32 s7, s7, s22
	s_ashr_i32 s16, s5, 31
	s_add_u32 s22, s6, s16
	s_mov_b32 s17, s16
	s_addc_u32 s23, s5, s16
	s_xor_b64 s[22:23], s[22:23], s[16:17]
	s_mul_i32 s25, s22, s7
	s_mul_hi_u32 s26, s22, s24
	s_mul_hi_u32 s5, s22, s7
	;; [unrolled: 1-line block ×3, first 2 shown]
	s_mul_i32 s24, s23, s24
	s_add_u32 s25, s26, s25
	s_addc_u32 s5, 0, s5
	s_mul_hi_u32 s27, s23, s7
	s_add_u32 s24, s25, s24
	s_mul_i32 s7, s23, s7
	s_addc_u32 s5, s5, s28
	s_addc_u32 s24, s27, 0
	s_add_u32 s5, s5, s7
	s_addc_u32 s7, 0, s24
	s_mul_hi_u32 s24, s0, s5
	s_mul_i32 s25, s0, s7
	s_mul_i32 s26, s1, s5
	s_add_i32 s24, s24, s25
	s_mul_i32 s25, s0, s5
	s_add_i32 s24, s24, s26
	s_sub_i32 s26, s23, s24
	s_sub_u32 s22, s22, s25
	s_cselect_b32 s25, -1, 0
	s_cmp_lg_u32 s25, 0
	s_subb_u32 s26, s26, s1
	s_sub_u32 s27, s22, s0
	s_cselect_b32 s28, -1, 0
	s_cmp_lg_u32 s28, 0
	s_subb_u32 s26, s26, 0
	s_cmp_ge_u32 s26, s1
	s_cselect_b32 s28, -1, 0
	s_cmp_ge_u32 s27, s0
	s_cselect_b32 s27, -1, 0
	s_cmp_eq_u32 s26, s1
	s_cselect_b32 s26, s27, s28
	s_add_u32 s27, s5, 1
	s_addc_u32 s28, s7, 0
	s_add_u32 s29, s5, 2
	s_addc_u32 s30, s7, 0
	s_cmp_lg_u32 s26, 0
	s_cselect_b32 s26, s29, s27
	s_cselect_b32 s27, s30, s28
	s_cmp_lg_u32 s25, 0
	s_subb_u32 s23, s23, s24
	s_cmp_ge_u32 s23, s1
	s_cselect_b32 s24, -1, 0
	s_cmp_ge_u32 s22, s0
	s_cselect_b32 s0, -1, 0
	s_cmp_eq_u32 s23, s1
	s_cselect_b32 s0, s0, s24
	s_cmp_lg_u32 s0, 0
	s_cselect_b32 s1, s27, s7
	s_cselect_b32 s0, s26, s5
	s_xor_b64 s[16:17], s[16:17], 0
	s_mov_b32 s7, 0
	s_xor_b64 s[0:1], s[0:1], s[16:17]
	s_sub_u32 s0, s0, s16
.LBB45_11:                              ;   in Loop: Header=BB45_9 Depth=1
	s_andn2_b32 vcc_lo, exec_lo, s7
	s_cbranch_vccnz .LBB45_13
; %bb.12:                               ;   in Loop: Header=BB45_9 Depth=1
	v_readfirstlane_b32 s0, v4
	s_mul_i32 s1, s2, s0
	s_mul_hi_u32 s1, s0, s1
	s_add_i32 s0, s0, s1
	s_mul_hi_u32 s0, s6, s0
	s_mul_i32 s1, s0, s9
	s_add_i32 s5, s0, 1
	s_sub_i32 s1, s6, s1
	s_sub_i32 s6, s1, s9
	s_cmp_ge_u32 s1, s9
	s_cselect_b32 s0, s5, s0
	s_cselect_b32 s1, s6, s1
	s_add_i32 s5, s0, 1
	s_cmp_ge_u32 s1, s9
	s_cselect_b32 s0, s5, s0
.LBB45_13:                              ;   in Loop: Header=BB45_9 Depth=1
	s_cmp_lg_u32 s10, s0
	s_mov_b32 s6, -1
                                        ; implicit-def: $sgpr5
                                        ; implicit-def: $vgpr8
                                        ; implicit-def: $vgpr7
                                        ; implicit-def: $vgpr9
                                        ; implicit-def: $sgpr1
                                        ; implicit-def: $sgpr16
	s_cbranch_scc0 .LBB45_18
; %bb.14:                               ;   in Loop: Header=BB45_9 Depth=1
	s_add_i32 s1, s8, s9
	s_mov_b32 s7, s4
	s_lshl_b32 s1, s1, 3
	s_mov_b32 s16, s10
	s_add_i32 s6, s1, s15
	s_mul_hi_u32 s1, s0, s12
	s_lshl_b64 s[6:7], s[6:7], 3
	s_add_u32 s6, s18, s6
	s_addc_u32 s7, s19, s7
	s_add_i32 s1, s1, s0
	s_lshr_b32 s1, s1, s13
	s_mul_i32 s5, s1, s14
	s_cmp_eq_u32 s5, s0
	s_cselect_b32 s5, -1, 0
	s_cmp_lt_u32 s1, s11
	s_cselect_b32 s1, -1, 0
	s_or_b32 s1, s1, s5
	s_mov_b32 s5, -1
	s_and_b32 vcc_lo, exec_lo, s1
	s_mov_b32 s1, s8
	s_cbranch_vccnz .LBB45_16
; %bb.15:                               ;   in Loop: Header=BB45_9 Depth=1
	s_add_i32 s1, s8, -1
	s_mov_b32 s5, 0
	s_mov_b32 s16, s0
.LBB45_16:                              ;   in Loop: Header=BB45_9 Depth=1
	v_lshl_add_u32 v7, s8, 10, v0
	s_load_dwordx2 s[6:7], s[6:7], 0x0
	v_ashrrev_i32_e32 v8, 31, v7
	v_lshlrev_b64 v[7:8], 2, v[7:8]
	v_add_co_u32 v7, vcc_lo, s20, v7
	v_add_co_ci_u32_e64 v8, null, s21, v8, vcc_lo
	s_waitcnt lgkmcnt(0)
	v_max_f32_e64 v9, s6, s6
	global_load_dword v8, v[7:8], off
	v_max_f32_e32 v7, v6, v6
	v_max_f32_e32 v7, v7, v9
	v_sub_f32_e32 v9, s6, v7
	v_sub_f32_e32 v10, v6, v7
	v_mul_f32_e32 v11, 0x3fb8aa3b, v9
	v_mul_f32_e32 v12, 0x3fb8aa3b, v10
	v_cmp_ngt_f32_e32 vcc_lo, 0xc2ce8ed0, v9
	v_fma_f32 v13, 0x3fb8aa3b, v9, -v11
	v_rndne_f32_e32 v14, v11
	v_fma_f32 v15, 0x3fb8aa3b, v10, -v12
	v_rndne_f32_e32 v16, v12
	v_fmac_f32_e32 v13, 0x32a5705f, v9
	v_sub_f32_e32 v11, v11, v14
	v_fmac_f32_e32 v15, 0x32a5705f, v10
	v_sub_f32_e32 v12, v12, v16
	v_add_f32_e32 v11, v11, v13
	v_cvt_i32_f32_e32 v13, v14
	v_add_f32_e32 v12, v12, v15
	v_cvt_i32_f32_e32 v14, v16
	v_exp_f32_e32 v11, v11
	v_exp_f32_e32 v12, v12
	v_ldexp_f32 v11, v11, v13
	v_ldexp_f32 v12, v12, v14
	v_cndmask_b32_e32 v11, 0, v11, vcc_lo
	v_cmp_ngt_f32_e32 vcc_lo, 0xc2ce8ed0, v10
	v_cndmask_b32_e32 v12, 0, v12, vcc_lo
	v_cmp_nlt_f32_e32 vcc_lo, 0x42b17218, v9
	v_cndmask_b32_e32 v11, 0x7f800000, v11, vcc_lo
	v_cmp_nlt_f32_e32 vcc_lo, 0x42b17218, v10
	v_cndmask_b32_e32 v12, 0x7f800000, v12, vcc_lo
	v_cmp_le_f32_e32 vcc_lo, 0xc1a00000, v9
	v_cndmask_b32_e32 v9, 0, v11, vcc_lo
	v_cmp_le_f32_e32 vcc_lo, 0xc1a00000, v10
	v_cndmask_b32_e32 v10, 0, v12, vcc_lo
	s_waitcnt vmcnt(0)
	v_mul_f32_e32 v8, v8, v9
	v_mul_f32_e32 v9, s7, v9
	v_fmac_f32_e32 v8, v3, v10
	v_fmac_f32_e32 v9, v5, v10
	s_cbranch_execz .LBB45_19
.LBB45_17:                              ;   in Loop: Header=BB45_9 Depth=1
	s_andn2_b32 vcc_lo, exec_lo, s5
	s_cbranch_vccnz .LBB45_20
	s_branch .LBB45_23
.LBB45_18:                              ;   in Loop: Header=BB45_9 Depth=1
	s_andn2_b32 vcc_lo, exec_lo, s6
	s_cbranch_vccnz .LBB45_17
.LBB45_19:                              ;   in Loop: Header=BB45_9 Depth=1
	v_mov_b32_e32 v9, v5
	v_mov_b32_e32 v7, v6
	s_waitcnt vmcnt(0)
	v_mov_b32_e32 v8, v3
	s_add_i32 s1, s8, -1
	s_mov_b32 s16, s10
	s_cbranch_execz .LBB45_23
.LBB45_20:                              ;   in Loop: Header=BB45_9 Depth=1
	v_mov_b32_e32 v5, v9
	v_mov_b32_e32 v6, v7
	s_waitcnt vmcnt(0)
	v_mov_b32_e32 v3, v8
	s_mov_b32 s10, s16
	s_mov_b32 s8, s1
	s_branch .LBB45_9
.LBB45_21:
                                        ; implicit-def: $sgpr10_sgpr11
	s_load_dwordx4 s[12:15], s[4:5], 0x44
	s_branch .LBB45_2
.LBB45_22:
                                        ; implicit-def: $sgpr18_sgpr19
	s_branch .LBB45_5
.LBB45_23:
	v_div_scale_f32 v0, null, v9, v9, v8
	s_waitcnt vmcnt(0)
	v_rcp_f32_e32 v3, v0
	v_fma_f32 v4, -v0, v3, 1.0
	v_fmac_f32_e32 v3, v4, v3
	v_div_scale_f32 v4, vcc_lo, v8, v9, v8
	v_mul_f32_e32 v5, v4, v3
	v_fma_f32 v6, -v0, v5, v4
	v_fmac_f32_e32 v5, v6, v3
	v_fma_f32 v0, -v0, v5, v4
	v_div_fmas_f32 v0, v0, v3, v5
	v_div_fixup_f32 v0, v0, v9, v8
	global_store_dword v[1:2], v0, off
.LBB45_24:
	s_endpgm
	.section	.rodata,"a",@progbits
	.p2align	6, 0x0
	.amdhsa_kernel _ZL33flash_attn_stream_k_fixup_generalILi128ELi4ELi2EEvPfPK15HIP_vector_typeIfLj2EEiiiiS1_IjLj3EES5_S5_S5_
		.amdhsa_group_segment_fixed_size 0
		.amdhsa_private_segment_fixed_size 0
		.amdhsa_kernarg_size 336
		.amdhsa_user_sgpr_count 6
		.amdhsa_user_sgpr_private_segment_buffer 1
		.amdhsa_user_sgpr_dispatch_ptr 0
		.amdhsa_user_sgpr_queue_ptr 0
		.amdhsa_user_sgpr_kernarg_segment_ptr 1
		.amdhsa_user_sgpr_dispatch_id 0
		.amdhsa_user_sgpr_flat_scratch_init 0
		.amdhsa_user_sgpr_private_segment_size 0
		.amdhsa_wavefront_size32 1
		.amdhsa_uses_dynamic_stack 0
		.amdhsa_system_sgpr_private_segment_wavefront_offset 0
		.amdhsa_system_sgpr_workgroup_id_x 1
		.amdhsa_system_sgpr_workgroup_id_y 1
		.amdhsa_system_sgpr_workgroup_id_z 1
		.amdhsa_system_sgpr_workgroup_info 0
		.amdhsa_system_vgpr_workitem_id 0
		.amdhsa_next_free_vgpr 17
		.amdhsa_next_free_sgpr 31
		.amdhsa_reserve_vcc 1
		.amdhsa_reserve_flat_scratch 0
		.amdhsa_float_round_mode_32 0
		.amdhsa_float_round_mode_16_64 0
		.amdhsa_float_denorm_mode_32 3
		.amdhsa_float_denorm_mode_16_64 3
		.amdhsa_dx10_clamp 1
		.amdhsa_ieee_mode 1
		.amdhsa_fp16_overflow 0
		.amdhsa_workgroup_processor_mode 1
		.amdhsa_memory_ordered 1
		.amdhsa_forward_progress 1
		.amdhsa_shared_vgpr_count 0
		.amdhsa_exception_fp_ieee_invalid_op 0
		.amdhsa_exception_fp_denorm_src 0
		.amdhsa_exception_fp_ieee_div_zero 0
		.amdhsa_exception_fp_ieee_overflow 0
		.amdhsa_exception_fp_ieee_underflow 0
		.amdhsa_exception_fp_ieee_inexact 0
		.amdhsa_exception_int_div_zero 0
	.end_amdhsa_kernel
	.section	.text._ZL33flash_attn_stream_k_fixup_generalILi128ELi4ELi2EEvPfPK15HIP_vector_typeIfLj2EEiiiiS1_IjLj3EES5_S5_S5_,"axG",@progbits,_ZL33flash_attn_stream_k_fixup_generalILi128ELi4ELi2EEvPfPK15HIP_vector_typeIfLj2EEiiiiS1_IjLj3EES5_S5_S5_,comdat
.Lfunc_end45:
	.size	_ZL33flash_attn_stream_k_fixup_generalILi128ELi4ELi2EEvPfPK15HIP_vector_typeIfLj2EEiiiiS1_IjLj3EES5_S5_S5_, .Lfunc_end45-_ZL33flash_attn_stream_k_fixup_generalILi128ELi4ELi2EEvPfPK15HIP_vector_typeIfLj2EEiiiiS1_IjLj3EES5_S5_S5_
                                        ; -- End function
	.set _ZL33flash_attn_stream_k_fixup_generalILi128ELi4ELi2EEvPfPK15HIP_vector_typeIfLj2EEiiiiS1_IjLj3EES5_S5_S5_.num_vgpr, 17
	.set _ZL33flash_attn_stream_k_fixup_generalILi128ELi4ELi2EEvPfPK15HIP_vector_typeIfLj2EEiiiiS1_IjLj3EES5_S5_S5_.num_agpr, 0
	.set _ZL33flash_attn_stream_k_fixup_generalILi128ELi4ELi2EEvPfPK15HIP_vector_typeIfLj2EEiiiiS1_IjLj3EES5_S5_S5_.numbered_sgpr, 31
	.set _ZL33flash_attn_stream_k_fixup_generalILi128ELi4ELi2EEvPfPK15HIP_vector_typeIfLj2EEiiiiS1_IjLj3EES5_S5_S5_.num_named_barrier, 0
	.set _ZL33flash_attn_stream_k_fixup_generalILi128ELi4ELi2EEvPfPK15HIP_vector_typeIfLj2EEiiiiS1_IjLj3EES5_S5_S5_.private_seg_size, 0
	.set _ZL33flash_attn_stream_k_fixup_generalILi128ELi4ELi2EEvPfPK15HIP_vector_typeIfLj2EEiiiiS1_IjLj3EES5_S5_S5_.uses_vcc, 1
	.set _ZL33flash_attn_stream_k_fixup_generalILi128ELi4ELi2EEvPfPK15HIP_vector_typeIfLj2EEiiiiS1_IjLj3EES5_S5_S5_.uses_flat_scratch, 0
	.set _ZL33flash_attn_stream_k_fixup_generalILi128ELi4ELi2EEvPfPK15HIP_vector_typeIfLj2EEiiiiS1_IjLj3EES5_S5_S5_.has_dyn_sized_stack, 0
	.set _ZL33flash_attn_stream_k_fixup_generalILi128ELi4ELi2EEvPfPK15HIP_vector_typeIfLj2EEiiiiS1_IjLj3EES5_S5_S5_.has_recursion, 0
	.set _ZL33flash_attn_stream_k_fixup_generalILi128ELi4ELi2EEvPfPK15HIP_vector_typeIfLj2EEiiiiS1_IjLj3EES5_S5_S5_.has_indirect_call, 0
	.section	.AMDGPU.csdata,"",@progbits
; Kernel info:
; codeLenInByte = 2944
; TotalNumSgprs: 33
; NumVgprs: 17
; ScratchSize: 0
; MemoryBound: 0
; FloatMode: 240
; IeeeMode: 1
; LDSByteSize: 0 bytes/workgroup (compile time only)
; SGPRBlocks: 0
; VGPRBlocks: 2
; NumSGPRsForWavesPerEU: 33
; NumVGPRsForWavesPerEU: 17
; Occupancy: 16
; WaveLimiterHint : 0
; COMPUTE_PGM_RSRC2:SCRATCH_EN: 0
; COMPUTE_PGM_RSRC2:USER_SGPR: 6
; COMPUTE_PGM_RSRC2:TRAP_HANDLER: 0
; COMPUTE_PGM_RSRC2:TGID_X_EN: 1
; COMPUTE_PGM_RSRC2:TGID_Y_EN: 1
; COMPUTE_PGM_RSRC2:TGID_Z_EN: 1
; COMPUTE_PGM_RSRC2:TIDIG_COMP_CNT: 0
	.section	.text._ZL15flash_attn_tileILi128ELi128ELi2ELi2ELb0EEvPKcS1_S1_S1_S1_PKiPfP15HIP_vector_typeIfLj2EEffffjfiS5_IjLj3EEiiiiiiiiiiiliiliiiiil,"axG",@progbits,_ZL15flash_attn_tileILi128ELi128ELi2ELi2ELb0EEvPKcS1_S1_S1_S1_PKiPfP15HIP_vector_typeIfLj2EEffffjfiS5_IjLj3EEiiiiiiiiiiiliiliiiiil,comdat
	.globl	_ZL15flash_attn_tileILi128ELi128ELi2ELi2ELb0EEvPKcS1_S1_S1_S1_PKiPfP15HIP_vector_typeIfLj2EEffffjfiS5_IjLj3EEiiiiiiiiiiiliiliiiiil ; -- Begin function _ZL15flash_attn_tileILi128ELi128ELi2ELi2ELb0EEvPKcS1_S1_S1_S1_PKiPfP15HIP_vector_typeIfLj2EEffffjfiS5_IjLj3EEiiiiiiiiiiiliiliiiiil
	.p2align	8
	.type	_ZL15flash_attn_tileILi128ELi128ELi2ELi2ELb0EEvPKcS1_S1_S1_S1_PKiPfP15HIP_vector_typeIfLj2EEffffjfiS5_IjLj3EEiiiiiiiiiiiliiliiiiil,@function
_ZL15flash_attn_tileILi128ELi128ELi2ELi2ELb0EEvPKcS1_S1_S1_S1_PKiPfP15HIP_vector_typeIfLj2EEffffjfiS5_IjLj3EEiiiiiiiiiiiliiliiiiil: ; @_ZL15flash_attn_tileILi128ELi128ELi2ELi2ELb0EEvPKcS1_S1_S1_S1_PKiPfP15HIP_vector_typeIfLj2EEffffjfiS5_IjLj3EEiiiiiiiiiiiliiliiiiil
; %bb.0:
	s_clause 0x1
	s_load_dwordx4 s[24:27], s[4:5], 0x5c
	s_load_dwordx2 s[30:31], s[4:5], 0x80
	s_mov_b32 s28, s7
	s_mov_b64 s[34:35], 0
	s_waitcnt lgkmcnt(0)
	s_lshr_b32 s0, s27, 31
	s_add_i32 s0, s27, s0
	s_ashr_i32 s0, s0, 1
	v_cvt_f32_u32_e32 v2, s0
	s_sub_i32 s2, 0, s0
	v_rcp_iflag_f32_e32 v2, v2
	v_mul_f32_e32 v2, 0x4f7ffffe, v2
	v_cvt_u32_f32_e32 v2, v2
	v_readfirstlane_b32 s1, v2
	s_mul_i32 s2, s2, s1
	s_mul_hi_u32 s2, s1, s2
	s_add_i32 s1, s1, s2
	s_mul_hi_u32 s1, s8, s1
	s_mul_i32 s2, s1, s0
	s_add_i32 s3, s1, 1
	s_sub_i32 s2, s8, s2
	s_sub_i32 s7, s2, s0
	s_cmp_ge_u32 s2, s0
	s_cselect_b32 s1, s3, s1
	s_cselect_b32 s2, s7, s2
	s_add_i32 s3, s1, 1
	s_cmp_ge_u32 s2, s0
	s_cselect_b32 s29, s3, s1
	s_abs_i32 s0, s31
	s_lshl_b32 s3, s8, 1
	v_cvt_f32_u32_e32 v2, s0
	s_sub_i32 s2, 0, s0
	s_abs_i32 s8, s27
	s_mul_i32 s7, s29, s27
	v_rcp_iflag_f32_e32 v2, v2
	s_sub_i32 s33, s3, s7
	v_mul_f32_e32 v2, 0x4f7ffffe, v2
	v_cvt_u32_f32_e32 v2, v2
	v_readfirstlane_b32 s1, v2
	s_mul_i32 s2, s2, s1
	s_mul_hi_u32 s2, s1, s2
	s_add_i32 s1, s1, s2
	s_xor_b32 s2, s27, s31
	s_mul_hi_u32 s1, s8, s1
	s_ashr_i32 s2, s2, 31
	s_mul_i32 s3, s1, s0
	s_add_i32 s7, s1, 1
	s_sub_i32 s3, s8, s3
	s_sub_i32 s8, s3, s0
	s_cmp_ge_u32 s3, s0
	s_cselect_b32 s1, s7, s1
	s_cselect_b32 s3, s8, s3
	s_add_i32 s7, s1, 1
	s_cmp_ge_u32 s3, s0
	s_clause 0x1
	s_load_dwordx16 s[8:23], s[4:5], 0x0
	s_load_dwordx2 s[36:37], s[4:5], 0xb8
	s_cselect_b32 s0, s7, s1
	s_xor_b32 s0, s0, s2
	s_sub_i32 s31, s0, s2
	s_abs_i32 s7, s31
	v_cvt_f32_u32_e32 v2, s7
	v_rcp_iflag_f32_e32 v2, v2
	s_waitcnt lgkmcnt(0)
	s_cmp_eq_u64 s[14:15], 0
	v_mul_f32_e32 v2, 0x4f7ffffe, v2
	v_cvt_u32_f32_e32 v2, v2
	v_readfirstlane_b32 s38, v2
	s_cbranch_scc1 .LBB46_2
; %bb.1:
	s_abs_i32 s2, s36
	s_abs_i32 s3, s29
	v_cvt_f32_u32_e32 v2, s2
	s_sub_i32 s1, 0, s2
	v_rcp_iflag_f32_e32 v2, v2
	v_mul_f32_e32 v2, 0x4f7ffffe, v2
	v_cvt_u32_f32_e32 v2, v2
	v_readfirstlane_b32 s0, v2
	s_mul_i32 s1, s1, s0
	s_mul_hi_u32 s1, s0, s1
	s_add_i32 s0, s0, s1
	s_mul_hi_u32 s34, s3, s0
	s_load_dwordx2 s[0:1], s[4:5], 0xc8
	s_mul_i32 s34, s34, s2
	s_sub_i32 s3, s3, s34
	s_ashr_i32 s34, s29, 31
	s_sub_i32 s35, s3, s2
	s_cmp_ge_u32 s3, s2
	s_cselect_b32 s3, s35, s3
	s_sub_i32 s35, s3, s2
	s_cmp_ge_u32 s3, s2
	s_cselect_b32 s2, s35, s3
	s_xor_b32 s2, s2, s34
	s_sub_i32 s2, s2, s34
	s_ashr_i32 s3, s2, 31
	s_waitcnt lgkmcnt(0)
	s_mul_hi_u32 s34, s0, s2
	s_mul_i32 s3, s0, s3
	s_mul_i32 s1, s1, s2
	s_add_i32 s3, s34, s3
	s_mul_i32 s0, s0, s2
	s_add_i32 s3, s3, s1
	s_add_u32 s34, s14, s0
	s_addc_u32 s35, s15, s3
.LBB46_2:
	v_lshrrev_b32_e32 v2, 1, v1
	s_load_dwordx4 s[0:3], s[4:5], 0x70
	v_and_b32_e32 v35, 1, v1
	v_lshlrev_b32_e32 v8, 4, v0
	v_lshlrev_b32_e32 v37, 3, v0
	v_lshl_add_u32 v2, s6, 1, v2
	v_lshl_add_u32 v38, v1, 8, 0x2400
	v_mul_hi_u32 v3, s24, v2
	v_add_nc_u32_e32 v3, v2, v3
	s_waitcnt lgkmcnt(0)
	s_mul_i32 s3, s29, s2
	s_mul_i32 s14, s33, s1
	v_lshrrev_b32_e32 v3, s25, v3
	s_ashr_i32 s15, s3, 31
	s_add_u32 s3, s8, s3
	s_addc_u32 s8, s9, s15
	s_ashr_i32 s9, s14, 31
	v_mul_lo_u32 v3, v3, s26
	s_add_u32 s14, s3, s14
	s_mov_b32 s2, s1
	s_addc_u32 s15, s8, s9
	s_ashr_i32 s3, s1, 31
	s_ashr_i32 s1, s0, 31
	s_lshr_b64 s[8:9], s[0:1], 2
	v_sub_nc_u32_e32 v3, v2, v3
	s_lshr_b32 s1, s1, 2
	s_lshr_b32 s0, s3, 2
	v_mul_lo_u32 v7, s0, v35
	v_mad_u64_u32 v[4:5], null, s8, v3, 0
	s_lshr_b64 s[8:9], s[2:3], 2
	s_load_dword s0, s[4:5], 0x40
	s_cmp_eq_u64 s[18:19], 0
	v_mad_u64_u32 v[5:6], null, s1, v3, v[5:6]
	v_mul_lo_u32 v6, s8, v35
	v_lshlrev_b64 v[4:5], 2, v[4:5]
	v_lshlrev_b64 v[6:7], 2, v[6:7]
	v_add_co_u32 v6, vcc_lo, s14, v6
	v_add_co_ci_u32_e64 v7, null, s15, v7, vcc_lo
	v_add_co_u32 v4, vcc_lo, v6, v4
	v_add_co_ci_u32_e64 v5, null, v7, v5, vcc_lo
	;; [unrolled: 2-line block ×3, first 2 shown]
	v_add_nc_u32_e32 v8, v38, v37
	global_load_dwordx4 v[4:7], v[4:5], off
	s_waitcnt vmcnt(0) lgkmcnt(0)
	v_fma_mixlo_f16 v5, s0, v5, 0
	v_fma_mixlo_f16 v4, s0, v4, 0
	;; [unrolled: 1-line block ×4, first 2 shown]
	v_lshlrev_b32_e32 v5, 16, v5
	v_and_b32_e32 v4, 0xffff, v4
	v_and_b32_e32 v6, 0xffff, v6
	v_lshlrev_b32_e32 v7, 16, v7
	v_or_b32_e32 v4, v5, v4
	v_or3_b32 v5, v7, v6, 0
	v_or3_b32 v4, 0, 0, v4
	ds_write_b64 v8, v[4:5]
	s_waitcnt lgkmcnt(0)
	s_barrier
	buffer_gl0_inv
	s_cbranch_scc1 .LBB46_4
; %bb.3:
	s_load_dword s0, s[4:5], 0xd0
	s_mov_b32 s1, 0
	s_waitcnt lgkmcnt(0)
	s_mul_i32 s0, s0, s29
	s_add_i32 s0, s0, s6
	s_lshl_b64 s[0:1], s[0:1], 2
	s_add_u32 s0, s18, s0
	s_addc_u32 s1, s19, s1
	s_load_dword s30, s[0:1], 0x0
.LBB46_4:
	v_mbcnt_lo_u32_b32 v39, -1, 0
	s_lshl_b32 s8, s28, 6
	s_waitcnt lgkmcnt(0)
	s_cmp_lt_i32 s8, s30
	s_cbranch_scc1 .LBB46_7
; %bb.5:
	v_mbcnt_lo_u32_b32 v5, -1, 0
	v_mov_b32_e32 v4, 32
	v_xor_b32_e32 v44, 16, v5
	v_xor_b32_e32 v43, 8, v5
	;; [unrolled: 1-line block ×5, first 2 shown]
	v_lshlrev_b32_e32 v36, 2, v0
	s_cbranch_execz .LBB46_8
; %bb.6:
	v_mov_b32_e32 v63, 0
	v_mov_b32_e32 v61, 0
	;; [unrolled: 1-line block ×4, first 2 shown]
	s_branch .LBB46_11
.LBB46_7:
                                        ; implicit-def: $vgpr5
                                        ; implicit-def: $vgpr4
                                        ; implicit-def: $vgpr44
                                        ; implicit-def: $vgpr43
                                        ; implicit-def: $vgpr42
                                        ; implicit-def: $vgpr41
                                        ; implicit-def: $vgpr40
	v_lshlrev_b32_e32 v36, 2, v0
.LBB46_8:
	s_clause 0x1
	s_load_dwordx4 s[0:3], s[4:5], 0x98
	s_load_dwordx2 s[14:15], s[4:5], 0x8c
	s_sub_i32 s6, 0, s7
	s_abs_i32 s24, s33
	s_mul_i32 s6, s6, s38
	s_ashr_i32 s25, s33, 31
	s_mul_hi_u32 s6, s38, s6
	s_ashr_i32 s31, s31, 31
	s_add_i32 s38, s38, s6
	s_ashr_i32 s6, s37, 1
	s_ashr_i32 s37, s29, 31
	s_mul_hi_u32 s36, s24, s38
	s_load_dwordx2 s[18:19], s[4:5], 0xa8
	s_mul_i32 s38, s36, s7
	v_lshrrev_b32_e32 v4, 3, v0
	v_and_b32_e32 v11, 28, v36
	v_lshrrev_b32_e32 v8, 4, v0
	v_and_b32_e32 v23, 60, v36
	v_mov_b32_e32 v62, 0
	v_lshl_add_u32 v4, v1, 2, v4
	s_waitcnt lgkmcnt(0)
	s_ashr_i32 s9, s2, 2
	s_mul_hi_u32 s2, s0, s29
	s_mul_i32 s39, s0, s37
	s_mul_i32 s1, s1, s29
	s_add_i32 s2, s2, s39
	s_mul_i32 s0, s0, s29
	s_ashr_i32 s14, s14, 2
	s_add_i32 s2, s2, s1
	s_add_u32 s0, s10, s0
	s_addc_u32 s1, s11, s2
	s_sub_i32 s10, s24, s38
	s_xor_b32 s2, s25, s31
	s_add_i32 s11, s36, 1
	s_sub_i32 s24, s10, s7
	s_cmp_ge_u32 s10, s7
	v_mul_lo_u32 v5, s14, v4
	s_cselect_b32 s11, s11, s36
	s_cselect_b32 s10, s24, s10
	s_add_i32 s24, s11, 1
	s_cmp_ge_u32 s10, s7
	v_lshlrev_b32_e32 v6, 2, v11
	s_cselect_b32 s7, s24, s11
	s_mul_hi_u32 s24, s18, s29
	s_xor_b32 s7, s7, s2
	v_lshlrev_b32_e32 v13, 2, v23
	s_sub_i32 s2, s7, s2
	s_mul_i32 s7, s18, s37
	s_mul_i32 s10, s2, s15
	;; [unrolled: 1-line block ×3, first 2 shown]
	s_ashr_i32 s11, s10, 31
	s_add_u32 s10, s0, s10
	s_addc_u32 s11, s1, s11
	s_add_i32 s0, s24, s7
	s_mul_i32 s1, s18, s29
	s_add_i32 s0, s0, s15
	s_mul_i32 s2, s2, s3
	s_add_u32 s1, s12, s1
	s_addc_u32 s0, s13, s0
	s_ashr_i32 s3, s2, 31
	s_add_u32 s12, s1, s2
	s_addc_u32 s13, s0, s3
	s_lshl_b32 s0, s14, 4
	v_mad_u32_u24 v45, 0x90, v4, v6
	v_lshl_add_u32 v4, v1, 1, v8
	v_add_nc_u32_e32 v7, s0, v5
	v_lshl_add_u32 v1, v1, 7, 0x2800
	v_ashrrev_i32_e32 v6, 31, v5
	v_lshlrev_b32_e32 v55, 2, v11
	v_mul_lo_u32 v12, s9, v4
	v_add_nc_u32_e32 v9, s0, v7
	v_ashrrev_i32_e32 v8, 31, v7
	v_lshl_or_b32 v50, v4, 8, v13
	v_mad_u64_u32 v[3:4], null, v3, s6, v[0:1]
	v_add_nc_u32_e32 v14, s0, v9
	s_lshl_b32 s0, s9, 3
	v_ashrrev_i32_e32 v10, 31, v9
	v_add_nc_u32_e32 v16, s0, v12
	v_ashrrev_i32_e32 v13, 31, v12
	v_ashrrev_i32_e32 v15, 31, v14
	v_lshlrev_b64 v[4:5], 2, v[5:6]
	v_lshlrev_b64 v[6:7], 2, v[7:8]
	v_add_nc_u32_e32 v18, s0, v16
	v_ashrrev_i32_e32 v17, 31, v16
	v_lshlrev_b64 v[8:9], 2, v[9:10]
	v_lshlrev_b64 v[10:11], 2, v[14:15]
	;; [unrolled: 1-line block ×3, first 2 shown]
	v_add_nc_u32_e32 v21, s0, v18
	v_ashrrev_i32_e32 v19, 31, v18
	v_lshlrev_b64 v[14:15], 2, v[16:17]
	v_add_nc_u32_e32 v46, 0x900, v45
	v_add_nc_u32_e32 v47, 0x1200, v45
	v_ashrrev_i32_e32 v22, 31, v21
	v_lshlrev_b64 v[16:17], 2, v[18:19]
	v_add_nc_u32_e32 v48, 0x1b00, v45
	v_mul_u32_u24_e32 v49, 0x90, v0
	v_lshl_add_u32 v51, v0, 1, v1
	v_lshlrev_b64 v[18:19], 2, v[21:22]
	v_add_nc_u32_e32 v52, 0x800, v50
	v_add_nc_u32_e32 v53, 0x1000, v50
	;; [unrolled: 1-line block ×3, first 2 shown]
	v_mov_b32_e32 v20, 0xfeffffff
	v_xor_b32_e32 v44, 16, v39
	v_xor_b32_e32 v43, 8, v39
	;; [unrolled: 1-line block ×5, first 2 shown]
	v_lshlrev_b32_e32 v56, 2, v23
	v_mov_b32_e32 v57, 0x10001
	v_add_nc_u32_e32 v58, 0x800, v37
	v_add_nc_u32_e32 v59, 0x1000, v37
	;; [unrolled: 1-line block ×3, first 2 shown]
	v_mov_b32_e32 v63, 0
	v_mov_b32_e32 v61, 0
	s_add_u32 s6, s4, 0xd0
	s_addc_u32 s7, s5, 0
.LBB46_9:                               ; =>This Inner Loop Header: Depth=1
	v_cmp_gt_i32_e32 vcc_lo, 32, v44
	s_mul_hi_i32 s1, s8, s14
	s_mul_i32 s0, s8, s14
	s_mul_hi_i32 s3, s8, s9
	s_lshl_b64 s[0:1], s[0:1], 2
	v_cndmask_b32_e32 v22, v39, v44, vcc_lo
	v_cmp_gt_i32_e32 vcc_lo, 32, v43
	s_mul_i32 s2, s8, s9
	s_add_u32 s15, s10, s0
	s_addc_u32 s24, s11, s1
	s_lshl_b64 s[18:19], s[2:3], 2
	v_cndmask_b32_e32 v23, v39, v43, vcc_lo
	v_cmp_gt_i32_e32 vcc_lo, 32, v42
	v_lshlrev_b32_e32 v71, 2, v22
	v_mov_b32_e32 v65, 0
	v_mov_b32_e32 v66, 0
	v_lshlrev_b32_e32 v70, 2, v23
	v_cndmask_b32_e32 v24, v39, v42, vcc_lo
	v_cmp_gt_i32_e32 vcc_lo, 32, v41
	v_add_co_u32 v23, s0, s15, v8
	v_add_co_ci_u32_e64 v28, null, s24, v9, s0
	v_cndmask_b32_e32 v25, v39, v41, vcc_lo
	v_cmp_gt_i32_e32 vcc_lo, 32, v40
	v_lshlrev_b32_e32 v69, 2, v24
	v_add_co_u32 v24, s1, s15, v10
	v_lshlrev_b32_e32 v68, 2, v25
	v_cndmask_b32_e32 v26, v39, v40, vcc_lo
	v_add_co_u32 v25, s2, s15, v4
	v_add_co_u32 v22, vcc_lo, s15, v6
	v_lshlrev_b32_e32 v67, 2, v26
	v_add_co_ci_u32_e64 v26, null, s24, v5, s2
	v_add_co_ci_u32_e64 v27, null, s24, v7, vcc_lo
	v_add_co_u32 v78, s2, v25, v55
	v_add_co_u32 v72, vcc_lo, v22, v55
	v_add_co_ci_u32_e64 v29, null, s24, v11, s1
	v_add_co_u32 v74, s0, v23, v55
	v_add_co_ci_u32_e64 v79, null, 0, v26, s2
	v_add_co_ci_u32_e64 v73, null, 0, v27, vcc_lo
	v_add_co_ci_u32_e64 v75, null, 0, v28, s0
	v_add_co_u32 v76, s1, v24, v55
	v_add_co_ci_u32_e64 v77, null, 0, v29, s1
	s_clause 0x2
	global_load_dwordx4 v[22:25], v[78:79], off
	global_load_dwordx4 v[26:29], v[72:73], off
	;; [unrolled: 1-line block ×3, first 2 shown]
	v_mov_b32_e32 v64, v20
	v_add_nc_u32_e32 v20, s8, v3
	s_add_u32 s3, s12, s18
	s_addc_u32 s15, s13, s19
	s_or_b32 s18, s8, 32
	v_ashrrev_i32_e32 v21, 31, v20
	s_mul_hi_i32 s19, s18, s9
	s_mul_i32 s18, s18, s9
	v_lshlrev_b64 v[80:81], 1, v[20:21]
	s_waitcnt vmcnt(2)
	ds_write_b128 v45, v[22:25]
	global_load_dwordx4 v[22:25], v[76:77], off
	s_waitcnt vmcnt(2)
	ds_write_b128 v46, v[26:29]
	s_waitcnt vmcnt(1)
	ds_write_b128 v47, v[30:33]
	;; [unrolled: 2-line block ×3, first 2 shown]
	s_waitcnt lgkmcnt(0)
	s_barrier
	buffer_gl0_inv
	ds_read_b128 v[22:25], v49
	ds_read_b128 v[26:29], v38
	ds_read_b128 v[30:33], v49 offset:4608
	s_waitcnt lgkmcnt(1)
	;;#ASMSTART
	v_dot2_f32_f16 v65, v22, v26, v65
	;;#ASMEND
	;;#ASMSTART
	v_dot2_f32_f16 v65, v23, v27, v65
	;;#ASMEND
	;;#ASMSTART
	v_dot2_f32_f16 v65, v24, v28, v65
	;;#ASMEND
	;;#ASMSTART
	v_dot2_f32_f16 v65, v25, v29, v65
	;;#ASMEND
	s_waitcnt lgkmcnt(0)
	;;#ASMSTART
	v_dot2_f32_f16 v66, v30, v26, v66
	;;#ASMEND
	;;#ASMSTART
	v_dot2_f32_f16 v66, v31, v27, v66
	;;#ASMEND
	;;#ASMSTART
	v_dot2_f32_f16 v66, v32, v28, v66
	;;#ASMEND
	;;#ASMSTART
	v_dot2_f32_f16 v66, v33, v29, v66
	;;#ASMEND
	ds_read_b128 v[22:25], v49 offset:16
	ds_read_b128 v[26:29], v38 offset:16
	ds_read_b128 v[30:33], v49 offset:4624
	s_waitcnt lgkmcnt(1)
	;;#ASMSTART
	v_dot2_f32_f16 v65, v22, v26, v65
	;;#ASMEND
	;;#ASMSTART
	v_dot2_f32_f16 v65, v23, v27, v65
	;;#ASMEND
	;;#ASMSTART
	v_dot2_f32_f16 v65, v24, v28, v65
	;;#ASMEND
	;;#ASMSTART
	v_dot2_f32_f16 v65, v25, v29, v65
	;;#ASMEND
	s_waitcnt lgkmcnt(0)
	;;#ASMSTART
	v_dot2_f32_f16 v66, v30, v26, v66
	;;#ASMEND
	;;#ASMSTART
	v_dot2_f32_f16 v66, v31, v27, v66
	;;#ASMEND
	;;#ASMSTART
	v_dot2_f32_f16 v66, v32, v28, v66
	;;#ASMEND
	;;#ASMSTART
	v_dot2_f32_f16 v66, v33, v29, v66
	;;#ASMEND
	ds_read_b128 v[22:25], v49 offset:32
	ds_read_b128 v[26:29], v38 offset:32
	;; [unrolled: 29-line block ×7, first 2 shown]
	ds_read_b128 v[30:33], v49 offset:4720
	s_waitcnt lgkmcnt(1)
	;;#ASMSTART
	v_dot2_f32_f16 v65, v22, v26, v65
	;;#ASMEND
	;;#ASMSTART
	v_dot2_f32_f16 v65, v23, v27, v65
	;;#ASMEND
	;; [unrolled: 3-line block ×4, first 2 shown]
	v_add_co_u32 v22, vcc_lo, s3, v12
	v_add_co_u32 v23, s0, s3, v14
	v_add_co_u32 v24, s1, s3, v16
	;; [unrolled: 1-line block ×3, first 2 shown]
	s_waitcnt lgkmcnt(0)
	;;#ASMSTART
	v_dot2_f32_f16 v66, v30, v26, v66
	;;#ASMEND
	;;#ASMSTART
	v_dot2_f32_f16 v66, v31, v27, v66
	;;#ASMEND
	v_add_co_ci_u32_e64 v20, null, s15, v13, vcc_lo
	v_add_co_ci_u32_e64 v21, null, s15, v15, s0
	v_add_co_ci_u32_e64 v26, null, s15, v17, s1
	;; [unrolled: 1-line block ×3, first 2 shown]
	s_lshl_b64 s[2:3], s[18:19], 2
	;;#ASMSTART
	v_dot2_f32_f16 v66, v32, v28, v66
	;;#ASMEND
	;;#ASMSTART
	v_dot2_f32_f16 v66, v33, v29, v66
	;;#ASMEND
	v_add_co_u32 v33, vcc_lo, v23, v56
	v_add_co_u32 v31, s0, v24, v56
	v_add_co_u32 v29, s1, v25, v56
	s_add_u32 s15, s12, s2
	v_add_co_u32 v82, s2, v22, v56
	v_add_co_ci_u32_e64 v83, null, 0, v20, s2
	v_add_co_ci_u32_e64 v34, null, 0, v21, vcc_lo
	v_add_co_ci_u32_e64 v32, null, 0, v26, s0
	v_add_co_ci_u32_e64 v30, null, 0, v27, s1
	s_barrier
	buffer_gl0_inv
	s_clause 0x1
	global_load_dwordx4 v[20:23], v[78:79], off offset:128
	global_load_dwordx4 v[24:27], v[72:73], off offset:128
	s_addc_u32 s3, s13, s3
	s_waitcnt vmcnt(1)
	ds_write_b128 v45, v[20:23]
	s_clause 0x1
	global_load_dwordx4 v[20:23], v[74:75], off offset:128
	global_load_dwordx4 v[72:75], v[76:77], off offset:128
	v_add_co_u32 v76, s1, s34, v80
	v_add_co_ci_u32_e64 v77, null, s35, v81, s1
	s_waitcnt vmcnt(2)
	ds_write_b128 v46, v[24:27]
	s_waitcnt vmcnt(1)
	ds_write_b128 v47, v[20:23]
	;; [unrolled: 2-line block ×3, first 2 shown]
	s_waitcnt lgkmcnt(0)
	s_barrier
	buffer_gl0_inv
	ds_read_b128 v[20:23], v49
	ds_read_b128 v[24:27], v38 offset:128
	ds_read_b128 v[72:75], v49 offset:4608
	s_waitcnt lgkmcnt(1)
	;;#ASMSTART
	v_dot2_f32_f16 v65, v20, v24, v65
	;;#ASMEND
	;;#ASMSTART
	v_dot2_f32_f16 v65, v21, v25, v65
	;;#ASMEND
	;;#ASMSTART
	v_dot2_f32_f16 v65, v22, v26, v65
	;;#ASMEND
	;;#ASMSTART
	v_dot2_f32_f16 v65, v23, v27, v65
	;;#ASMEND
	s_waitcnt lgkmcnt(0)
	;;#ASMSTART
	v_dot2_f32_f16 v66, v72, v24, v66
	;;#ASMEND
	;;#ASMSTART
	v_dot2_f32_f16 v66, v73, v25, v66
	;;#ASMEND
	;;#ASMSTART
	v_dot2_f32_f16 v66, v74, v26, v66
	;;#ASMEND
	;;#ASMSTART
	v_dot2_f32_f16 v66, v75, v27, v66
	;;#ASMEND
	ds_read_b128 v[20:23], v49 offset:16
	ds_read_b128 v[24:27], v38 offset:144
	ds_read_b128 v[72:75], v49 offset:4624
	s_waitcnt lgkmcnt(1)
	;;#ASMSTART
	v_dot2_f32_f16 v65, v20, v24, v65
	;;#ASMEND
	;;#ASMSTART
	v_dot2_f32_f16 v65, v21, v25, v65
	;;#ASMEND
	;;#ASMSTART
	v_dot2_f32_f16 v65, v22, v26, v65
	;;#ASMEND
	;;#ASMSTART
	v_dot2_f32_f16 v65, v23, v27, v65
	;;#ASMEND
	s_waitcnt lgkmcnt(0)
	;;#ASMSTART
	v_dot2_f32_f16 v66, v72, v24, v66
	;;#ASMEND
	;;#ASMSTART
	v_dot2_f32_f16 v66, v73, v25, v66
	;;#ASMEND
	;;#ASMSTART
	v_dot2_f32_f16 v66, v74, v26, v66
	;;#ASMEND
	;;#ASMSTART
	v_dot2_f32_f16 v66, v75, v27, v66
	;;#ASMEND
	ds_read_b128 v[20:23], v49 offset:32
	;; [unrolled: 29-line block ×7, first 2 shown]
	ds_read_b128 v[24:27], v38 offset:240
	ds_read_b128 v[72:75], v49 offset:4720
	s_waitcnt lgkmcnt(1)
	;;#ASMSTART
	v_dot2_f32_f16 v65, v20, v24, v65
	;;#ASMEND
	;;#ASMSTART
	v_dot2_f32_f16 v65, v21, v25, v65
	;;#ASMEND
	v_add_co_u32 v20, vcc_lo, s15, v12
	;;#ASMSTART
	v_dot2_f32_f16 v65, v22, v26, v65
	;;#ASMEND
	;;#ASMSTART
	v_dot2_f32_f16 v65, v23, v27, v65
	;;#ASMEND
	s_waitcnt lgkmcnt(0)
	;;#ASMSTART
	v_dot2_f32_f16 v66, v72, v24, v66
	;;#ASMEND
	v_add_co_u32 v23, s2, s15, v18
	;;#ASMSTART
	v_dot2_f32_f16 v66, v73, v25, v66
	;;#ASMEND
	;;#ASMSTART
	v_dot2_f32_f16 v66, v74, v26, v66
	;;#ASMEND
	;; [unrolled: 3-line block ×3, first 2 shown]
	v_add_co_ci_u32_e64 v73, null, s3, v19, s2
	v_add_co_u32 v27, s2, v20, v56
	s_clause 0x1
	global_load_ushort v20, v[76:77], off
	global_load_ushort v76, v[76:77], off offset:64
	v_add_co_u32 v21, s0, s15, v14
	v_add_co_u32 v22, s1, s15, v16
	v_add_co_ci_u32_e64 v26, null, s3, v15, s0
	v_add_co_ci_u32_e64 v72, null, s3, v17, s1
	s_waitcnt vmcnt(0)
	s_barrier
	buffer_gl0_inv
	v_add_co_ci_u32_e64 v24, null, s3, v13, vcc_lo
	v_add_co_u32 v25, vcc_lo, v21, v56
	v_add_co_u32 v21, s0, v22, v56
	v_add_co_u32 v23, s1, v23, v56
	v_add_co_ci_u32_e64 v26, null, 0, v26, vcc_lo
	v_add_co_ci_u32_e64 v22, null, 0, v72, s0
	v_add_co_ci_u32_e64 v28, null, 0, v24, s2
	;; [unrolled: 1-line block ×3, first 2 shown]
	global_load_dwordx4 v[72:75], v[82:83], off
	v_cvt_f32_f16_e32 v20, v20
	v_cvt_f32_f16_e32 v76, v76
	v_add_f32_e32 v65, v65, v20
	v_add_f32_e32 v66, v66, v76
	;; [unrolled: 1-line block ×4, first 2 shown]
	v_max3_f32 v20, v64, v20, v76
	ds_bpermute_b32 v71, v71, v20
	s_waitcnt lgkmcnt(0)
	v_max_f32_e32 v71, v71, v71
	v_max_f32_e32 v20, v20, v71
	ds_bpermute_b32 v70, v70, v20
	s_waitcnt lgkmcnt(0)
	v_max_f32_e32 v70, v70, v70
	v_max_f32_e32 v20, v20, v70
	;; [unrolled: 4-line block ×5, first 2 shown]
	v_sub_f32_e32 v80, v65, v20
	v_sub_f32_e32 v76, v66, v20
	;; [unrolled: 1-line block ×3, first 2 shown]
	v_mul_f32_e32 v64, 0x3fb8aa3b, v80
	v_mul_f32_e32 v65, 0x3fb8aa3b, v76
	v_mul_f32_e32 v66, 0x3fb8aa3b, v77
	v_cmp_ngt_f32_e32 vcc_lo, 0xc2ce8ed0, v77
	v_cmp_ngt_f32_e64 s0, 0xc2ce8ed0, v76
	v_fma_f32 v67, 0x3fb8aa3b, v80, -v64
	v_rndne_f32_e32 v68, v64
	v_fma_f32 v69, 0x3fb8aa3b, v76, -v65
	v_rndne_f32_e32 v70, v65
	v_rndne_f32_e32 v71, v66
	v_fmac_f32_e32 v67, 0x32a5705f, v80
	v_sub_f32_e32 v64, v64, v68
	v_fmac_f32_e32 v69, 0x32a5705f, v76
	v_sub_f32_e32 v65, v65, v70
	v_cmp_ngt_f32_e64 s1, 0xc2ce8ed0, v80
	v_add_f32_e32 v64, v64, v67
	v_fma_f32 v67, 0x3fb8aa3b, v77, -v66
	v_add_f32_e32 v69, v65, v69
	v_sub_f32_e32 v65, v66, v71
	v_cvt_i32_f32_e32 v66, v68
	v_exp_f32_e32 v64, v64
	v_fmac_f32_e32 v67, 0x32a5705f, v77
	v_exp_f32_e32 v69, v69
	v_add_f32_e32 v68, v65, v67
	v_ldexp_f32 v81, v64, v66
	v_exp_f32_e32 v68, v68
	global_load_dwordx4 v[64:67], v[33:34], off
	v_cvt_i32_f32_e32 v33, v70
	v_cvt_i32_f32_e32 v34, v71
	v_ldexp_f32 v33, v69, v33
	v_ldexp_f32 v34, v68, v34
	global_load_dwordx4 v[68:71], v[31:32], off
	v_cndmask_b32_e64 v31, 0, v33, s0
	v_cmp_nlt_f32_e64 s0, 0x42b17218, v76
	v_cndmask_b32_e32 v32, 0, v34, vcc_lo
	v_cmp_nlt_f32_e32 vcc_lo, 0x42b17218, v77
	global_load_dwordx4 v[76:79], v[29:30], off
	v_cndmask_b32_e64 v29, 0, v81, s1
	v_cmp_nlt_f32_e64 s1, 0x42b17218, v80
	v_cndmask_b32_e64 v31, 0x7f800000, v31, s0
	v_cndmask_b32_e64 v30, 0x7f800000, v29, s1
	v_cndmask_b32_e32 v29, 0x7f800000, v32, vcc_lo
	v_cvt_f16_f32_e32 v32, v30
	ds_write_b16 v51, v32
	v_cvt_f16_f32_e32 v32, v31
	ds_write_b16 v51, v32 offset:64
	v_cvt_f16_f32_e32 v32, v29
	s_waitcnt vmcnt(3)
	ds_write_b128 v50, v[72:75]
	s_waitcnt vmcnt(2)
	ds_write_b128 v52, v[64:67]
	;; [unrolled: 2-line block ×4, first 2 shown]
	s_waitcnt lgkmcnt(0)
	s_barrier
	buffer_gl0_inv
	ds_read_b128 v[64:67], v1
	ds_read2_b64 v[68:71], v37 offset1:32
	v_mul_u32_u24_sdwa v32, v32, v57 dst_sel:DWORD dst_unused:UNUSED_PAD src0_sel:WORD_0 src1_sel:DWORD
	ds_read2_b64 v[76:79], v37 offset0:64 offset1:96
	ds_read_b128 v[72:75], v1 offset:16
	s_waitcnt lgkmcnt(3)
	v_mul_u32_u24_sdwa v33, v64, v57 dst_sel:DWORD dst_unused:UNUSED_PAD src0_sel:WORD_0 src1_sel:DWORD
	s_waitcnt lgkmcnt(2)
	v_pk_mul_f16 v34, v68, v33
	v_pk_mul_f16 v33, v69, v33
	v_pk_fma_f16 v34, v62, v32, v34
	v_pk_fma_f16 v32, v63, v32, v33
	v_mul_u32_u24_sdwa v33, v64, v57 dst_sel:DWORD dst_unused:UNUSED_PAD src0_sel:WORD_1 src1_sel:DWORD
	v_pk_fma_f16 v34, v70, v33, v34
	v_pk_fma_f16 v32, v71, v33, v32
	ds_read2_b64 v[68:71], v37 offset0:128 offset1:160
	v_mul_u32_u24_sdwa v33, v65, v57 dst_sel:DWORD dst_unused:UNUSED_PAD src0_sel:WORD_0 src1_sel:DWORD
	s_waitcnt lgkmcnt(2)
	v_pk_fma_f16 v34, v76, v33, v34
	v_pk_fma_f16 v32, v77, v33, v32
	v_mul_u32_u24_sdwa v33, v65, v57 dst_sel:DWORD dst_unused:UNUSED_PAD src0_sel:WORD_1 src1_sel:DWORD
	ds_read2_b64 v[62:65], v37 offset0:192 offset1:224
	v_pk_fma_f16 v34, v78, v33, v34
	v_pk_fma_f16 v32, v79, v33, v32
	v_mul_u32_u24_sdwa v33, v66, v57 dst_sel:DWORD dst_unused:UNUSED_PAD src0_sel:WORD_0 src1_sel:DWORD
	ds_read2_b64 v[76:79], v58 offset0:64 offset1:96
	s_waitcnt lgkmcnt(2)
	v_pk_fma_f16 v34, v68, v33, v34
	v_pk_fma_f16 v32, v69, v33, v32
	v_mul_u32_u24_sdwa v33, v66, v57 dst_sel:DWORD dst_unused:UNUSED_PAD src0_sel:WORD_1 src1_sel:DWORD
	v_mul_u32_u24_sdwa v66, v67, v57 dst_sel:DWORD dst_unused:UNUSED_PAD src0_sel:WORD_1 src1_sel:DWORD
	v_pk_fma_f16 v34, v70, v33, v34
	v_pk_fma_f16 v32, v71, v33, v32
	ds_read2_b64 v[68:71], v58 offset1:32
	v_mul_u32_u24_sdwa v33, v67, v57 dst_sel:DWORD dst_unused:UNUSED_PAD src0_sel:WORD_0 src1_sel:DWORD
	s_waitcnt lgkmcnt(2)
	v_pk_fma_f16 v34, v62, v33, v34
	v_pk_fma_f16 v32, v63, v33, v32
	;; [unrolled: 1-line block ×4, first 2 shown]
	v_mul_u32_u24_sdwa v34, v72, v57 dst_sel:DWORD dst_unused:UNUSED_PAD src0_sel:WORD_0 src1_sel:DWORD
	ds_read2_b64 v[62:65], v58 offset0:128 offset1:160
	s_waitcnt lgkmcnt(1)
	v_pk_fma_f16 v33, v68, v34, v33
	v_pk_fma_f16 v32, v69, v34, v32
	v_mul_u32_u24_sdwa v34, v72, v57 dst_sel:DWORD dst_unused:UNUSED_PAD src0_sel:WORD_1 src1_sel:DWORD
	ds_read2_b64 v[66:69], v58 offset0:192 offset1:224
	v_pk_fma_f16 v33, v70, v34, v33
	v_pk_fma_f16 v32, v71, v34, v32
	v_mul_u32_u24_sdwa v34, v73, v57 dst_sel:DWORD dst_unused:UNUSED_PAD src0_sel:WORD_0 src1_sel:DWORD
	v_pk_fma_f16 v33, v76, v34, v33
	v_pk_fma_f16 v32, v77, v34, v32
	v_mul_u32_u24_sdwa v34, v73, v57 dst_sel:DWORD dst_unused:UNUSED_PAD src0_sel:WORD_1 src1_sel:DWORD
	ds_read_b128 v[70:73], v1 offset:32
	v_pk_fma_f16 v33, v78, v34, v33
	v_pk_fma_f16 v32, v79, v34, v32
	v_mul_u32_u24_sdwa v34, v74, v57 dst_sel:DWORD dst_unused:UNUSED_PAD src0_sel:WORD_0 src1_sel:DWORD
	v_mul_u32_u24_sdwa v78, v75, v57 dst_sel:DWORD dst_unused:UNUSED_PAD src0_sel:WORD_1 src1_sel:DWORD
	s_waitcnt lgkmcnt(2)
	v_pk_fma_f16 v33, v62, v34, v33
	v_pk_fma_f16 v32, v63, v34, v32
	v_mul_u32_u24_sdwa v34, v74, v57 dst_sel:DWORD dst_unused:UNUSED_PAD src0_sel:WORD_1 src1_sel:DWORD
	v_pk_fma_f16 v33, v64, v34, v33
	v_pk_fma_f16 v32, v65, v34, v32
	ds_read2_b64 v[62:65], v59 offset1:32
	v_mul_u32_u24_sdwa v34, v75, v57 dst_sel:DWORD dst_unused:UNUSED_PAD src0_sel:WORD_0 src1_sel:DWORD
	ds_read2_b64 v[74:77], v59 offset0:64 offset1:96
	s_waitcnt lgkmcnt(3)
	v_pk_fma_f16 v33, v66, v34, v33
	v_pk_fma_f16 v32, v67, v34, v32
	;; [unrolled: 1-line block ×4, first 2 shown]
	ds_read_b128 v[66:69], v1 offset:48
	s_waitcnt lgkmcnt(3)
	v_mul_u32_u24_sdwa v34, v70, v57 dst_sel:DWORD dst_unused:UNUSED_PAD src0_sel:WORD_0 src1_sel:DWORD
	v_mul_u32_u24_sdwa v78, v73, v57 dst_sel:DWORD dst_unused:UNUSED_PAD src0_sel:WORD_1 src1_sel:DWORD
	s_waitcnt lgkmcnt(2)
	v_pk_fma_f16 v33, v62, v34, v33
	v_pk_fma_f16 v32, v63, v34, v32
	v_mul_u32_u24_sdwa v34, v70, v57 dst_sel:DWORD dst_unused:UNUSED_PAD src0_sel:WORD_1 src1_sel:DWORD
	v_pk_fma_f16 v33, v64, v34, v33
	v_pk_fma_f16 v32, v65, v34, v32
	ds_read2_b64 v[62:65], v59 offset0:128 offset1:160
	v_mul_u32_u24_sdwa v34, v71, v57 dst_sel:DWORD dst_unused:UNUSED_PAD src0_sel:WORD_0 src1_sel:DWORD
	s_waitcnt lgkmcnt(2)
	v_pk_fma_f16 v33, v74, v34, v33
	v_pk_fma_f16 v32, v75, v34, v32
	v_mul_u32_u24_sdwa v34, v71, v57 dst_sel:DWORD dst_unused:UNUSED_PAD src0_sel:WORD_1 src1_sel:DWORD
	v_pk_fma_f16 v33, v76, v34, v33
	v_pk_fma_f16 v32, v77, v34, v32
	ds_read2_b64 v[74:77], v59 offset0:192 offset1:224
	v_mul_u32_u24_sdwa v34, v72, v57 dst_sel:DWORD dst_unused:UNUSED_PAD src0_sel:WORD_0 src1_sel:DWORD
	s_waitcnt lgkmcnt(1)
	v_pk_fma_f16 v33, v62, v34, v33
	v_pk_fma_f16 v32, v63, v34, v32
	v_mul_u32_u24_sdwa v34, v72, v57 dst_sel:DWORD dst_unused:UNUSED_PAD src0_sel:WORD_1 src1_sel:DWORD
	v_pk_fma_f16 v33, v64, v34, v33
	v_pk_fma_f16 v32, v65, v34, v32
	ds_read2_b64 v[62:65], v60 offset1:32
	v_mul_u32_u24_sdwa v34, v73, v57 dst_sel:DWORD dst_unused:UNUSED_PAD src0_sel:WORD_0 src1_sel:DWORD
	ds_read2_b64 v[70:73], v60 offset0:64 offset1:96
	s_waitcnt lgkmcnt(2)
	v_pk_fma_f16 v33, v74, v34, v33
	v_pk_fma_f16 v32, v75, v34, v32
	v_mul_u32_u24_sdwa v34, v66, v57 dst_sel:DWORD dst_unused:UNUSED_PAD src0_sel:WORD_0 src1_sel:DWORD
	v_pk_fma_f16 v33, v76, v78, v33
	v_pk_fma_f16 v32, v77, v78, v32
	ds_read2_b64 v[74:77], v60 offset0:128 offset1:160
	s_waitcnt lgkmcnt(2)
	v_pk_fma_f16 v33, v62, v34, v33
	v_pk_fma_f16 v32, v63, v34, v32
	v_mul_u32_u24_sdwa v34, v66, v57 dst_sel:DWORD dst_unused:UNUSED_PAD src0_sel:WORD_1 src1_sel:DWORD
	v_pk_fma_f16 v33, v64, v34, v33
	v_pk_fma_f16 v32, v65, v34, v32
	v_mul_u32_u24_sdwa v34, v67, v57 dst_sel:DWORD dst_unused:UNUSED_PAD src0_sel:WORD_0 src1_sel:DWORD
	ds_read2_b64 v[62:65], v60 offset0:192 offset1:224
	s_waitcnt lgkmcnt(0)
	s_barrier
	buffer_gl0_inv
	v_pk_fma_f16 v33, v70, v34, v33
	v_pk_fma_f16 v32, v71, v34, v32
	v_mul_u32_u24_sdwa v34, v67, v57 dst_sel:DWORD dst_unused:UNUSED_PAD src0_sel:WORD_1 src1_sel:DWORD
	v_pk_fma_f16 v33, v72, v34, v33
	v_pk_fma_f16 v32, v73, v34, v32
	v_mul_u32_u24_sdwa v34, v68, v57 dst_sel:DWORD dst_unused:UNUSED_PAD src0_sel:WORD_0 src1_sel:DWORD
	s_clause 0x1
	global_load_dwordx4 v[70:73], v[27:28], off
	global_load_dwordx4 v[25:28], v[25:26], off
	v_pk_fma_f16 v33, v74, v34, v33
	v_pk_fma_f16 v32, v75, v34, v32
	v_mul_u32_u24_sdwa v34, v68, v57 dst_sel:DWORD dst_unused:UNUSED_PAD src0_sel:WORD_1 src1_sel:DWORD
	v_pk_fma_f16 v33, v76, v34, v33
	v_pk_fma_f16 v32, v77, v34, v32
	s_clause 0x1
	global_load_dwordx4 v[74:77], v[21:22], off
	global_load_dwordx4 v[78:81], v[23:24], off
	v_mul_u32_u24_sdwa v22, v69, v57 dst_sel:DWORD dst_unused:UNUSED_PAD src0_sel:WORD_0 src1_sel:DWORD
	v_mul_u32_u24_sdwa v23, v69, v57 dst_sel:DWORD dst_unused:UNUSED_PAD src0_sel:WORD_1 src1_sel:DWORD
	v_mov_b32_e32 v21, v61
	v_add_f32_e32 v61, v30, v31
	s_waitcnt vmcnt(3)
	ds_write_b128 v50, v[70:73]
	s_waitcnt vmcnt(2)
	ds_write_b128 v52, v[25:28]
	;; [unrolled: 2-line block ×4, first 2 shown]
	v_pk_fma_f16 v24, v62, v22, v33
	v_pk_fma_f16 v22, v63, v22, v32
	s_waitcnt lgkmcnt(0)
	s_barrier
	buffer_gl0_inv
	v_pk_fma_f16 v34, v64, v23, v24
	v_pk_fma_f16 v82, v65, v23, v22
	ds_read_b128 v[22:25], v1 offset:64
	ds_read2_b64 v[30:33], v37 offset1:32
	ds_read2_b64 v[62:65], v37 offset0:64 offset1:96
	ds_read2_b64 v[66:69], v37 offset0:128 offset1:160
	;; [unrolled: 1-line block ×3, first 2 shown]
	ds_read_b128 v[74:77], v1 offset:80
	v_fmac_f32_e32 v61, v21, v29
	s_waitcnt lgkmcnt(5)
	v_mul_u32_u24_sdwa v26, v22, v57 dst_sel:DWORD dst_unused:UNUSED_PAD src0_sel:WORD_0 src1_sel:DWORD
	v_mul_u32_u24_sdwa v22, v22, v57 dst_sel:DWORD dst_unused:UNUSED_PAD src0_sel:WORD_1 src1_sel:DWORD
	v_mul_u32_u24_sdwa v28, v25, v57 dst_sel:DWORD dst_unused:UNUSED_PAD src0_sel:WORD_0 src1_sel:DWORD
	s_waitcnt lgkmcnt(4)
	v_pk_fma_f16 v27, v30, v26, v34
	v_pk_fma_f16 v26, v31, v26, v82
	v_mul_u32_u24_sdwa v34, v25, v57 dst_sel:DWORD dst_unused:UNUSED_PAD src0_sel:WORD_1 src1_sel:DWORD
	v_pk_fma_f16 v27, v32, v22, v27
	v_pk_fma_f16 v22, v33, v22, v26
	v_mul_u32_u24_sdwa v26, v23, v57 dst_sel:DWORD dst_unused:UNUSED_PAD src0_sel:WORD_0 src1_sel:DWORD
	v_mul_u32_u24_sdwa v23, v23, v57 dst_sel:DWORD dst_unused:UNUSED_PAD src0_sel:WORD_1 src1_sel:DWORD
	ds_read2_b64 v[30:33], v58 offset1:32
	s_waitcnt lgkmcnt(4)
	v_pk_fma_f16 v27, v62, v26, v27
	v_pk_fma_f16 v22, v63, v26, v22
	v_pk_fma_f16 v26, v64, v23, v27
	v_pk_fma_f16 v22, v65, v23, v22
	v_mul_u32_u24_sdwa v23, v24, v57 dst_sel:DWORD dst_unused:UNUSED_PAD src0_sel:WORD_0 src1_sel:DWORD
	v_mul_u32_u24_sdwa v24, v24, v57 dst_sel:DWORD dst_unused:UNUSED_PAD src0_sel:WORD_1 src1_sel:DWORD
	ds_read2_b64 v[62:65], v58 offset0:64 offset1:96
	s_waitcnt lgkmcnt(4)
	v_pk_fma_f16 v26, v66, v23, v26
	v_pk_fma_f16 v22, v67, v23, v22
	;; [unrolled: 1-line block ×4, first 2 shown]
	ds_read2_b64 v[66:69], v58 offset0:128 offset1:160
	ds_read2_b64 v[22:25], v58 offset0:192 offset1:224
	s_waitcnt lgkmcnt(5)
	v_pk_fma_f16 v26, v70, v28, v26
	v_pk_fma_f16 v27, v71, v28, v27
	s_waitcnt lgkmcnt(4)
	v_mul_u32_u24_sdwa v28, v74, v57 dst_sel:DWORD dst_unused:UNUSED_PAD src0_sel:WORD_0 src1_sel:DWORD
	v_pk_fma_f16 v26, v72, v34, v26
	v_pk_fma_f16 v27, v73, v34, v27
	v_mul_u32_u24_sdwa v34, v74, v57 dst_sel:DWORD dst_unused:UNUSED_PAD src0_sel:WORD_1 src1_sel:DWORD
	ds_read_b128 v[70:73], v1 offset:96
	s_waitcnt lgkmcnt(4)
	v_pk_fma_f16 v26, v30, v28, v26
	v_pk_fma_f16 v27, v31, v28, v27
	v_mul_u32_u24_sdwa v28, v75, v57 dst_sel:DWORD dst_unused:UNUSED_PAD src0_sel:WORD_0 src1_sel:DWORD
	v_pk_fma_f16 v26, v32, v34, v26
	v_pk_fma_f16 v27, v33, v34, v27
	v_mul_u32_u24_sdwa v34, v75, v57 dst_sel:DWORD dst_unused:UNUSED_PAD src0_sel:WORD_1 src1_sel:DWORD
	ds_read2_b64 v[30:33], v59 offset1:32
	s_waitcnt lgkmcnt(4)
	v_pk_fma_f16 v26, v62, v28, v26
	v_pk_fma_f16 v27, v63, v28, v27
	v_mul_u32_u24_sdwa v28, v76, v57 dst_sel:DWORD dst_unused:UNUSED_PAD src0_sel:WORD_0 src1_sel:DWORD
	v_pk_fma_f16 v26, v64, v34, v26
	v_pk_fma_f16 v27, v65, v34, v27
	v_mul_u32_u24_sdwa v34, v76, v57 dst_sel:DWORD dst_unused:UNUSED_PAD src0_sel:WORD_1 src1_sel:DWORD
	ds_read2_b64 v[62:65], v59 offset0:64 offset1:96
	s_waitcnt lgkmcnt(4)
	v_pk_fma_f16 v26, v66, v28, v26
	v_pk_fma_f16 v27, v67, v28, v27
	v_mul_u32_u24_sdwa v28, v77, v57 dst_sel:DWORD dst_unused:UNUSED_PAD src0_sel:WORD_0 src1_sel:DWORD
	v_pk_fma_f16 v26, v68, v34, v26
	v_pk_fma_f16 v27, v69, v34, v27
	v_mul_u32_u24_sdwa v34, v77, v57 dst_sel:DWORD dst_unused:UNUSED_PAD src0_sel:WORD_1 src1_sel:DWORD
	ds_read2_b64 v[66:69], v59 offset0:128 offset1:160
	ds_read2_b64 v[74:77], v59 offset0:192 offset1:224
	s_waitcnt lgkmcnt(5)
	v_pk_fma_f16 v22, v22, v28, v26
	v_pk_fma_f16 v23, v23, v28, v27
	;; [unrolled: 1-line block ×4, first 2 shown]
	ds_read_b128 v[22:25], v1 offset:112
	s_waitcnt lgkmcnt(5)
	v_mul_u32_u24_sdwa v28, v70, v57 dst_sel:DWORD dst_unused:UNUSED_PAD src0_sel:WORD_0 src1_sel:DWORD
	v_mul_u32_u24_sdwa v34, v70, v57 dst_sel:DWORD dst_unused:UNUSED_PAD src0_sel:WORD_1 src1_sel:DWORD
	s_waitcnt lgkmcnt(4)
	v_pk_fma_f16 v26, v30, v28, v26
	v_pk_fma_f16 v27, v31, v28, v27
	v_mul_u32_u24_sdwa v28, v71, v57 dst_sel:DWORD dst_unused:UNUSED_PAD src0_sel:WORD_0 src1_sel:DWORD
	v_pk_fma_f16 v26, v32, v34, v26
	v_pk_fma_f16 v27, v33, v34, v27
	v_mul_u32_u24_sdwa v34, v71, v57 dst_sel:DWORD dst_unused:UNUSED_PAD src0_sel:WORD_1 src1_sel:DWORD
	ds_read2_b64 v[30:33], v60 offset1:32
	s_waitcnt lgkmcnt(4)
	v_pk_fma_f16 v26, v62, v28, v26
	v_pk_fma_f16 v27, v63, v28, v27
	v_mul_u32_u24_sdwa v28, v72, v57 dst_sel:DWORD dst_unused:UNUSED_PAD src0_sel:WORD_0 src1_sel:DWORD
	s_waitcnt lgkmcnt(1)
	v_mul_u32_u24_sdwa v21, v25, v57 dst_sel:DWORD dst_unused:UNUSED_PAD src0_sel:WORD_1 src1_sel:DWORD
	v_pk_fma_f16 v26, v64, v34, v26
	v_pk_fma_f16 v27, v65, v34, v27
	v_mul_u32_u24_sdwa v34, v72, v57 dst_sel:DWORD dst_unused:UNUSED_PAD src0_sel:WORD_1 src1_sel:DWORD
	ds_read2_b64 v[62:65], v60 offset0:64 offset1:96
	v_pk_fma_f16 v26, v66, v28, v26
	v_pk_fma_f16 v27, v67, v28, v27
	v_mul_u32_u24_sdwa v28, v73, v57 dst_sel:DWORD dst_unused:UNUSED_PAD src0_sel:WORD_0 src1_sel:DWORD
	v_pk_fma_f16 v26, v68, v34, v26
	v_pk_fma_f16 v27, v69, v34, v27
	v_mul_u32_u24_sdwa v34, v73, v57 dst_sel:DWORD dst_unused:UNUSED_PAD src0_sel:WORD_1 src1_sel:DWORD
	ds_read2_b64 v[66:69], v60 offset0:128 offset1:160
	ds_read2_b64 v[70:73], v60 offset0:192 offset1:224
	v_pk_fma_f16 v26, v74, v28, v26
	v_pk_fma_f16 v27, v75, v28, v27
	v_mul_u32_u24_sdwa v28, v22, v57 dst_sel:DWORD dst_unused:UNUSED_PAD src0_sel:WORD_0 src1_sel:DWORD
	v_mul_u32_u24_sdwa v22, v22, v57 dst_sel:DWORD dst_unused:UNUSED_PAD src0_sel:WORD_1 src1_sel:DWORD
	s_waitcnt lgkmcnt(0)
	v_pk_fma_f16 v26, v76, v34, v26
	v_pk_fma_f16 v27, v77, v34, v27
	v_mul_u32_u24_sdwa v34, v23, v57 dst_sel:DWORD dst_unused:UNUSED_PAD src0_sel:WORD_0 src1_sel:DWORD
	v_mul_u32_u24_sdwa v23, v23, v57 dst_sel:DWORD dst_unused:UNUSED_PAD src0_sel:WORD_1 src1_sel:DWORD
	s_barrier
	v_pk_fma_f16 v26, v30, v28, v26
	v_pk_fma_f16 v27, v31, v28, v27
	buffer_gl0_inv
	s_load_dword s0, s[6:7], 0x4
	v_mul_u32_u24_sdwa v74, v24, v57 dst_sel:DWORD dst_unused:UNUSED_PAD src0_sel:WORD_0 src1_sel:DWORD
	v_pk_fma_f16 v26, v32, v22, v26
	v_pk_fma_f16 v22, v33, v22, v27
	v_mul_u32_u24_sdwa v24, v24, v57 dst_sel:DWORD dst_unused:UNUSED_PAD src0_sel:WORD_1 src1_sel:DWORD
	v_mul_u32_u24_sdwa v28, v25, v57 dst_sel:DWORD dst_unused:UNUSED_PAD src0_sel:WORD_0 src1_sel:DWORD
	v_pk_fma_f16 v26, v62, v34, v26
	v_pk_fma_f16 v22, v63, v34, v22
	;; [unrolled: 1-line block ×6, first 2 shown]
	s_waitcnt lgkmcnt(0)
	s_lshl_b32 s0, s0, 6
	v_pk_fma_f16 v23, v68, v24, v23
	v_pk_fma_f16 v22, v69, v24, v22
	s_add_i32 s8, s0, s8
	s_cmp_ge_i32 s8, s30
	v_pk_fma_f16 v23, v70, v28, v23
	v_pk_fma_f16 v22, v71, v28, v22
	;; [unrolled: 1-line block ×4, first 2 shown]
	s_cbranch_scc0 .LBB46_9
; %bb.10:
	v_mov_b32_e32 v4, 32
	v_mov_b32_e32 v5, v39
.LBB46_11:
	v_cmp_lt_i32_e32 vcc_lo, v44, v4
	s_cmp_lg_u64 s[16:17], 0
	s_cselect_b32 s0, -1, 0
	s_cmp_eq_u32 s28, 0
	v_cndmask_b32_e32 v1, v5, v44, vcc_lo
	v_cmp_lt_i32_e32 vcc_lo, v43, v4
	s_cselect_b32 s1, -1, 0
	s_and_b32 s0, s1, s0
	v_lshlrev_b32_e32 v1, 2, v1
	v_cndmask_b32_e32 v3, v5, v43, vcc_lo
	v_cmp_lt_i32_e32 vcc_lo, v42, v4
	ds_bpermute_b32 v1, v1, v61
	v_lshlrev_b32_e32 v3, 2, v3
	v_cndmask_b32_e32 v6, v5, v42, vcc_lo
	v_cmp_lt_i32_e32 vcc_lo, v41, v4
	v_lshlrev_b32_e32 v6, 2, v6
	s_waitcnt lgkmcnt(0)
	v_add_f32_e32 v1, v61, v1
	ds_bpermute_b32 v3, v3, v1
	s_waitcnt lgkmcnt(0)
	v_add_f32_e32 v1, v1, v3
	ds_bpermute_b32 v3, v6, v1
	v_cndmask_b32_e32 v6, v5, v41, vcc_lo
	v_cmp_lt_i32_e32 vcc_lo, v40, v4
	v_lshlrev_b32_e32 v6, 2, v6
	v_cndmask_b32_e32 v4, v5, v40, vcc_lo
	s_and_b32 vcc_lo, exec_lo, s0
	v_lshlrev_b32_e32 v4, 2, v4
	s_waitcnt lgkmcnt(0)
	v_add_f32_e32 v1, v1, v3
	ds_bpermute_b32 v3, v6, v1
	s_waitcnt lgkmcnt(0)
	v_add_f32_e32 v1, v1, v3
	ds_bpermute_b32 v3, v4, v1
	s_waitcnt lgkmcnt(0)
	v_add_f32_e32 v21, v1, v3
	s_cbranch_vccz .LBB46_13
; %bb.12:
	v_add_nc_u32_e32 v3, s33, v35
	v_ashrrev_i32_e32 v4, 31, v3
	v_lshlrev_b64 v[3:4], 2, v[3:4]
	v_add_co_u32 v3, vcc_lo, s16, v3
	v_add_co_ci_u32_e64 v4, null, s17, v4, vcc_lo
	global_load_dword v1, v[3:4], off
	v_max_f32_e32 v3, v20, v20
	s_waitcnt vmcnt(0)
	v_max_f32_e32 v4, v1, v1
	v_max_f32_e32 v3, v3, v4
	v_sub_f32_e32 v4, v20, v3
	v_sub_f32_e32 v1, v1, v3
	v_mov_b32_e32 v20, v3
	v_mul_f32_e32 v5, 0x3fb8aa3b, v4
	v_mul_f32_e32 v6, 0x3fb8aa3b, v1
	v_cmp_ngt_f32_e32 vcc_lo, 0xc2ce8ed0, v4
	v_fma_f32 v7, 0x3fb8aa3b, v4, -v5
	v_rndne_f32_e32 v8, v5
	v_fma_f32 v9, 0x3fb8aa3b, v1, -v6
	v_rndne_f32_e32 v10, v6
	v_fmac_f32_e32 v7, 0x32a5705f, v4
	v_sub_f32_e32 v5, v5, v8
	v_fmac_f32_e32 v9, 0x32a5705f, v1
	v_sub_f32_e32 v6, v6, v10
	v_add_f32_e32 v5, v5, v7
	v_cvt_i32_f32_e32 v7, v8
	v_add_f32_e32 v6, v6, v9
	v_cvt_i32_f32_e32 v8, v10
	v_exp_f32_e32 v5, v5
	v_exp_f32_e32 v6, v6
	v_ldexp_f32 v5, v5, v7
	v_ldexp_f32 v6, v6, v8
	v_cndmask_b32_e32 v5, 0, v5, vcc_lo
	v_cmp_ngt_f32_e32 vcc_lo, 0xc2ce8ed0, v1
	v_cndmask_b32_e32 v6, 0, v6, vcc_lo
	v_cmp_nlt_f32_e32 vcc_lo, 0x42b17218, v4
	v_cndmask_b32_e32 v4, 0x7f800000, v5, vcc_lo
	v_cmp_nlt_f32_e32 vcc_lo, 0x42b17218, v1
	v_mov_b32_e32 v5, 0x10001
	v_cndmask_b32_e32 v1, 0x7f800000, v6, vcc_lo
	v_cvt_f16_f32_e32 v6, v4
	v_fmac_f32_e32 v1, v21, v4
	v_mul_u32_u24_sdwa v4, v6, v5 dst_sel:DWORD dst_unused:UNUSED_PAD src0_sel:WORD_0 src1_sel:DWORD
	v_mov_b32_e32 v21, v1
	v_pk_mul_f16 v62, v62, v4
	v_pk_mul_f16 v63, v63, v4
.LBB46_13:
	s_mov_b32 s0, exec_lo
	v_cmpx_gt_i32_e64 s26, v2
	s_cbranch_execz .LBB46_16
; %bb.14:
	v_div_scale_f32 v3, null, v21, v21, 1.0
	s_load_dword s1, s[4:5], 0xd4
	v_div_scale_f32 v6, vcc_lo, 1.0, v21, 1.0
	v_rcp_f32_e32 v4, v3
	v_mad_u64_u32 v[1:2], null, s29, s26, v[2:3]
	v_cmp_eq_u32_e64 s0, 0, v0
	v_cvt_f32_f16_e32 v8, v63
	v_cvt_f32_f16_sdwa v9, v63 dst_sel:DWORD dst_unused:UNUSED_PAD src0_sel:WORD_1
	v_mul_lo_u32 v1, v1, s27
	v_fma_f32 v5, -v3, v4, 1.0
	v_fmac_f32_e32 v4, v5, v4
	v_add3_u32 v1, s33, v35, v1
	s_waitcnt lgkmcnt(0)
	s_cmp_lg_u32 s1, 1
	v_mul_f32_e32 v5, v6, v4
	v_fma_f32 v2, -v3, v5, v6
	v_fmac_f32_e32 v5, v2, v4
	v_mad_u64_u32 v[1:2], null, s1, v1, s[28:29]
	s_cselect_b32 s1, -1, 0
	s_and_b32 s0, s0, s1
	v_fma_f32 v2, -v3, v5, v6
	v_mov_b32_e32 v3, 0
	v_div_fmas_f32 v0, v2, v4, v5
	v_lshl_add_u32 v2, v1, 7, v36
	v_cvt_f32_f16_e32 v4, v62
	v_cvt_f32_f16_sdwa v5, v62 dst_sel:DWORD dst_unused:UNUSED_PAD src0_sel:WORD_1
	v_div_fixup_f32 v0, v0, v21, 1.0
	v_lshlrev_b64 v[2:3], 2, v[2:3]
	v_cndmask_b32_e64 v0, v0, 1.0, s1
	v_add_co_u32 v6, vcc_lo, s20, v2
	v_add_co_ci_u32_e64 v7, null, s21, v3, vcc_lo
	v_mul_f32_e32 v2, v0, v4
	v_mul_f32_e32 v3, v0, v5
	;; [unrolled: 1-line block ×4, first 2 shown]
	global_store_dwordx4 v[6:7], v[2:5], off
	s_and_b32 exec_lo, exec_lo, s0
	s_cbranch_execz .LBB46_16
; %bb.15:
	v_ashrrev_i32_e32 v2, 31, v1
	v_lshlrev_b64 v[0:1], 3, v[1:2]
	v_add_co_u32 v0, vcc_lo, s22, v0
	v_add_co_ci_u32_e64 v1, null, s23, v1, vcc_lo
	global_store_dwordx2 v[0:1], v[20:21], off
.LBB46_16:
	s_endpgm
	.section	.rodata,"a",@progbits
	.p2align	6, 0x0
	.amdhsa_kernel _ZL15flash_attn_tileILi128ELi128ELi2ELi2ELb0EEvPKcS1_S1_S1_S1_PKiPfP15HIP_vector_typeIfLj2EEffffjfiS5_IjLj3EEiiiiiiiiiiiliiliiiiil
		.amdhsa_group_segment_fixed_size 10752
		.amdhsa_private_segment_fixed_size 0
		.amdhsa_kernarg_size 464
		.amdhsa_user_sgpr_count 6
		.amdhsa_user_sgpr_private_segment_buffer 1
		.amdhsa_user_sgpr_dispatch_ptr 0
		.amdhsa_user_sgpr_queue_ptr 0
		.amdhsa_user_sgpr_kernarg_segment_ptr 1
		.amdhsa_user_sgpr_dispatch_id 0
		.amdhsa_user_sgpr_flat_scratch_init 0
		.amdhsa_user_sgpr_private_segment_size 0
		.amdhsa_wavefront_size32 1
		.amdhsa_uses_dynamic_stack 0
		.amdhsa_system_sgpr_private_segment_wavefront_offset 0
		.amdhsa_system_sgpr_workgroup_id_x 1
		.amdhsa_system_sgpr_workgroup_id_y 1
		.amdhsa_system_sgpr_workgroup_id_z 1
		.amdhsa_system_sgpr_workgroup_info 0
		.amdhsa_system_vgpr_workitem_id 1
		.amdhsa_next_free_vgpr 84
		.amdhsa_next_free_sgpr 40
		.amdhsa_reserve_vcc 1
		.amdhsa_reserve_flat_scratch 0
		.amdhsa_float_round_mode_32 0
		.amdhsa_float_round_mode_16_64 0
		.amdhsa_float_denorm_mode_32 3
		.amdhsa_float_denorm_mode_16_64 3
		.amdhsa_dx10_clamp 1
		.amdhsa_ieee_mode 1
		.amdhsa_fp16_overflow 0
		.amdhsa_workgroup_processor_mode 1
		.amdhsa_memory_ordered 1
		.amdhsa_forward_progress 1
		.amdhsa_shared_vgpr_count 0
		.amdhsa_exception_fp_ieee_invalid_op 0
		.amdhsa_exception_fp_denorm_src 0
		.amdhsa_exception_fp_ieee_div_zero 0
		.amdhsa_exception_fp_ieee_overflow 0
		.amdhsa_exception_fp_ieee_underflow 0
		.amdhsa_exception_fp_ieee_inexact 0
		.amdhsa_exception_int_div_zero 0
	.end_amdhsa_kernel
	.section	.text._ZL15flash_attn_tileILi128ELi128ELi2ELi2ELb0EEvPKcS1_S1_S1_S1_PKiPfP15HIP_vector_typeIfLj2EEffffjfiS5_IjLj3EEiiiiiiiiiiiliiliiiiil,"axG",@progbits,_ZL15flash_attn_tileILi128ELi128ELi2ELi2ELb0EEvPKcS1_S1_S1_S1_PKiPfP15HIP_vector_typeIfLj2EEffffjfiS5_IjLj3EEiiiiiiiiiiiliiliiiiil,comdat
.Lfunc_end46:
	.size	_ZL15flash_attn_tileILi128ELi128ELi2ELi2ELb0EEvPKcS1_S1_S1_S1_PKiPfP15HIP_vector_typeIfLj2EEffffjfiS5_IjLj3EEiiiiiiiiiiiliiliiiiil, .Lfunc_end46-_ZL15flash_attn_tileILi128ELi128ELi2ELi2ELb0EEvPKcS1_S1_S1_S1_PKiPfP15HIP_vector_typeIfLj2EEffffjfiS5_IjLj3EEiiiiiiiiiiiliiliiiiil
                                        ; -- End function
	.set _ZL15flash_attn_tileILi128ELi128ELi2ELi2ELb0EEvPKcS1_S1_S1_S1_PKiPfP15HIP_vector_typeIfLj2EEffffjfiS5_IjLj3EEiiiiiiiiiiiliiliiiiil.num_vgpr, 84
	.set _ZL15flash_attn_tileILi128ELi128ELi2ELi2ELb0EEvPKcS1_S1_S1_S1_PKiPfP15HIP_vector_typeIfLj2EEffffjfiS5_IjLj3EEiiiiiiiiiiiliiliiiiil.num_agpr, 0
	.set _ZL15flash_attn_tileILi128ELi128ELi2ELi2ELb0EEvPKcS1_S1_S1_S1_PKiPfP15HIP_vector_typeIfLj2EEffffjfiS5_IjLj3EEiiiiiiiiiiiliiliiiiil.numbered_sgpr, 40
	.set _ZL15flash_attn_tileILi128ELi128ELi2ELi2ELb0EEvPKcS1_S1_S1_S1_PKiPfP15HIP_vector_typeIfLj2EEffffjfiS5_IjLj3EEiiiiiiiiiiiliiliiiiil.num_named_barrier, 0
	.set _ZL15flash_attn_tileILi128ELi128ELi2ELi2ELb0EEvPKcS1_S1_S1_S1_PKiPfP15HIP_vector_typeIfLj2EEffffjfiS5_IjLj3EEiiiiiiiiiiiliiliiiiil.private_seg_size, 0
	.set _ZL15flash_attn_tileILi128ELi128ELi2ELi2ELb0EEvPKcS1_S1_S1_S1_PKiPfP15HIP_vector_typeIfLj2EEffffjfiS5_IjLj3EEiiiiiiiiiiiliiliiiiil.uses_vcc, 1
	.set _ZL15flash_attn_tileILi128ELi128ELi2ELi2ELb0EEvPKcS1_S1_S1_S1_PKiPfP15HIP_vector_typeIfLj2EEffffjfiS5_IjLj3EEiiiiiiiiiiiliiliiiiil.uses_flat_scratch, 0
	.set _ZL15flash_attn_tileILi128ELi128ELi2ELi2ELb0EEvPKcS1_S1_S1_S1_PKiPfP15HIP_vector_typeIfLj2EEffffjfiS5_IjLj3EEiiiiiiiiiiiliiliiiiil.has_dyn_sized_stack, 0
	.set _ZL15flash_attn_tileILi128ELi128ELi2ELi2ELb0EEvPKcS1_S1_S1_S1_PKiPfP15HIP_vector_typeIfLj2EEffffjfiS5_IjLj3EEiiiiiiiiiiiliiliiiiil.has_recursion, 0
	.set _ZL15flash_attn_tileILi128ELi128ELi2ELi2ELb0EEvPKcS1_S1_S1_S1_PKiPfP15HIP_vector_typeIfLj2EEffffjfiS5_IjLj3EEiiiiiiiiiiiliiliiiiil.has_indirect_call, 0
	.section	.AMDGPU.csdata,"",@progbits
; Kernel info:
; codeLenInByte = 8912
; TotalNumSgprs: 42
; NumVgprs: 84
; ScratchSize: 0
; MemoryBound: 0
; FloatMode: 240
; IeeeMode: 1
; LDSByteSize: 10752 bytes/workgroup (compile time only)
; SGPRBlocks: 0
; VGPRBlocks: 10
; NumSGPRsForWavesPerEU: 42
; NumVGPRsForWavesPerEU: 84
; Occupancy: 10
; WaveLimiterHint : 1
; COMPUTE_PGM_RSRC2:SCRATCH_EN: 0
; COMPUTE_PGM_RSRC2:USER_SGPR: 6
; COMPUTE_PGM_RSRC2:TRAP_HANDLER: 0
; COMPUTE_PGM_RSRC2:TGID_X_EN: 1
; COMPUTE_PGM_RSRC2:TGID_Y_EN: 1
; COMPUTE_PGM_RSRC2:TGID_Z_EN: 1
; COMPUTE_PGM_RSRC2:TIDIG_COMP_CNT: 1
	.section	.text._ZL33flash_attn_stream_k_fixup_uniformILi128ELi2ELi2EEvPfPK15HIP_vector_typeIfLj2EEiiiiiiS1_IjLj3EES5_S5_,"axG",@progbits,_ZL33flash_attn_stream_k_fixup_uniformILi128ELi2ELi2EEvPfPK15HIP_vector_typeIfLj2EEiiiiiiS1_IjLj3EES5_S5_,comdat
	.globl	_ZL33flash_attn_stream_k_fixup_uniformILi128ELi2ELi2EEvPfPK15HIP_vector_typeIfLj2EEiiiiiiS1_IjLj3EES5_S5_ ; -- Begin function _ZL33flash_attn_stream_k_fixup_uniformILi128ELi2ELi2EEvPfPK15HIP_vector_typeIfLj2EEiiiiiiS1_IjLj3EES5_S5_
	.p2align	8
	.type	_ZL33flash_attn_stream_k_fixup_uniformILi128ELi2ELi2EEvPfPK15HIP_vector_typeIfLj2EEiiiiiiS1_IjLj3EES5_S5_,@function
_ZL33flash_attn_stream_k_fixup_uniformILi128ELi2ELi2EEvPfPK15HIP_vector_typeIfLj2EEiiiiiiS1_IjLj3EES5_S5_: ; @_ZL33flash_attn_stream_k_fixup_uniformILi128ELi2ELi2EEvPfPK15HIP_vector_typeIfLj2EEiiiiiiS1_IjLj3EES5_S5_
; %bb.0:
	s_clause 0x2
	s_load_dwordx8 s[12:19], s[4:5], 0x1c
	s_load_dwordx4 s[20:23], s[4:5], 0x3c
	s_load_dwordx2 s[10:11], s[4:5], 0x10
	s_waitcnt lgkmcnt(0)
	s_mul_hi_u32 s0, s15, s6
	s_add_i32 s0, s6, s0
	s_lshr_b32 s0, s0, s16
	s_mul_i32 s1, s0, s17
	s_sub_i32 s2, s6, s1
	s_mul_hi_u32 s1, s2, s18
	s_add_i32 s1, s2, s1
	s_lshr_b32 s1, s1, s19
	s_mul_i32 s3, s1, s20
	s_sub_i32 s2, s2, s3
	s_mul_hi_u32 s3, s2, s21
	s_add_i32 s3, s2, s3
	s_lshr_b32 s3, s3, s22
	s_mul_i32 s9, s3, s23
	s_lshl_b32 s15, s3, 1
	s_sub_i32 s9, s2, s9
	s_lshl_b32 s2, s9, 1
	s_add_i32 s2, s2, s7
	s_cmp_lt_i32 s2, s10
	s_cselect_b32 s2, -1, 0
	s_add_i32 s3, s15, s8
	s_cmp_lt_i32 s3, s13
	s_cselect_b32 s3, -1, 0
	s_and_b32 s2, s2, s3
	s_andn2_b32 vcc_lo, exec_lo, s2
	s_cbranch_vccnz .LBB47_6
; %bb.1:
	s_mul_i32 s0, s0, s10
	s_mul_i32 s10, s1, s13
	s_add_i32 s0, s0, s7
	s_mul_i32 s0, s0, s11
	s_add_i32 s13, s0, s8
	s_load_dwordx4 s[0:3], s[4:5], 0x0
	s_add_i32 s4, s13, s10
	s_mul_i32 s5, s11, s9
	s_add_i32 s4, s4, s15
	s_lshl_b32 s5, s5, 8
	s_lshl_b32 s4, s4, 7
	;; [unrolled: 1-line block ×3, first 2 shown]
	s_add_i32 s5, s5, s4
	s_mul_i32 s4, s14, s6
	v_or_b32_e32 v1, s5, v0
	s_add_i32 s11, s4, s14
	v_ashrrev_i32_e32 v2, 31, v1
	v_lshlrev_b64 v[1:2], 2, v[1:2]
	s_waitcnt lgkmcnt(0)
	v_add_co_u32 v1, vcc_lo, s0, v1
	v_add_co_ci_u32_e64 v2, null, s1, v2, vcc_lo
	s_add_i32 s0, s10, s8
	s_lshl_b32 s1, s11, 2
	s_add_i32 s0, s0, s1
	global_load_dword v5, v[1:2], off
	s_add_i32 s0, s0, -4
	s_ashr_i32 s1, s0, 31
	s_lshl_b64 s[0:1], s[0:1], 3
	s_add_u32 s0, s2, s0
	s_addc_u32 s1, s3, s1
	s_add_i32 s5, s11, -2
	s_load_dword s13, s[0:1], 0x4
	s_cmp_lt_i32 s5, s4
	s_cbranch_scc1 .LBB47_4
; %bb.2:
	s_lshl_b32 s16, s12, 4
	s_load_dword s15, s[0:1], 0x0
	s_ashr_i32 s17, s16, 31
	s_waitcnt lgkmcnt(0)
	v_mov_b32_e32 v6, s13
	s_lshl_b64 s[0:1], s[16:17], 2
	s_add_u32 s5, s2, s0
	s_addc_u32 s9, s3, s1
	s_add_i32 s6, s6, 1
	s_lshl_b32 s0, s7, 8
	s_lshl_b32 s1, s8, 7
	s_mul_i32 s6, s14, s6
	s_add_i32 s0, s1, s0
	s_lshl_b32 s1, s6, 9
	s_add_i32 s0, s0, s1
	s_lshl_b32 s1, s6, 2
	v_or_b32_e32 v0, s0, v0
	s_lshl_b32 s0, s12, 2
	s_add_i32 s1, s8, s1
	s_add_i32 s6, s11, -1
	s_add_i32 s0, s1, s0
	v_add_nc_u32_e32 v3, 0xfffffc00, v0
	v_mov_b32_e32 v0, s15
	s_add_i32 s0, s0, s10
	s_add_i32 s0, s0, -8
.LBB47_3:                               ; =>This Inner Loop Header: Depth=1
	v_ashrrev_i32_e32 v4, 31, v3
	s_ashr_i32 s1, s0, 31
	s_lshl_b64 s[10:11], s[0:1], 3
	s_add_u32 s10, s2, s10
	v_lshlrev_b64 v[7:8], 2, v[3:4]
	s_addc_u32 s11, s3, s11
	v_add_nc_u32_e32 v3, 0xfffffe00, v3
	s_add_i32 s6, s6, -1
	s_add_i32 s0, s0, -4
	s_cmp_le_i32 s6, s4
	v_add_co_u32 v7, vcc_lo, s5, v7
	v_add_co_ci_u32_e64 v8, null, s9, v8, vcc_lo
	s_load_dwordx2 s[10:11], s[10:11], 0x0
	global_load_dword v4, v[7:8], off
	v_max_f32_e32 v7, v0, v0
	s_waitcnt lgkmcnt(0)
	v_max_f32_e64 v8, s10, s10
	v_max_f32_e32 v7, v7, v8
	v_sub_f32_e32 v8, s10, v7
	v_sub_f32_e32 v0, v0, v7
	v_mul_f32_e32 v9, 0x3fb8aa3b, v8
	v_mul_f32_e32 v12, 0x3fb8aa3b, v0
	v_cmp_ngt_f32_e32 vcc_lo, 0xc2ce8ed0, v8
	v_fma_f32 v10, 0x3fb8aa3b, v8, -v9
	v_rndne_f32_e32 v11, v9
	v_fma_f32 v13, 0x3fb8aa3b, v0, -v12
	v_rndne_f32_e32 v14, v12
	v_fmac_f32_e32 v10, 0x32a5705f, v8
	v_sub_f32_e32 v9, v9, v11
	v_fmac_f32_e32 v13, 0x32a5705f, v0
	v_cvt_i32_f32_e32 v11, v11
	v_add_f32_e32 v9, v9, v10
	v_sub_f32_e32 v10, v12, v14
	v_exp_f32_e32 v9, v9
	v_add_f32_e32 v10, v10, v13
	v_exp_f32_e32 v10, v10
	v_ldexp_f32 v9, v9, v11
	v_cvt_i32_f32_e32 v11, v14
	v_cndmask_b32_e32 v9, 0, v9, vcc_lo
	v_cmp_nlt_f32_e32 vcc_lo, 0x42b17218, v8
	v_ldexp_f32 v10, v10, v11
	v_mov_b32_e32 v11, v6
	v_cndmask_b32_e32 v9, 0x7f800000, v9, vcc_lo
	v_cmp_ngt_f32_e32 vcc_lo, 0xc2ce8ed0, v0
	v_cndmask_b32_e32 v10, 0, v10, vcc_lo
	v_cmp_le_f32_e32 vcc_lo, 0xc1a00000, v8
	v_cndmask_b32_e32 v8, 0, v9, vcc_lo
	v_cmp_nlt_f32_e32 vcc_lo, 0x42b17218, v0
	s_waitcnt vmcnt(1)
	v_mov_b32_e32 v9, v5
	v_cndmask_b32_e32 v5, 0x7f800000, v10, vcc_lo
	v_mul_f32_e32 v10, s11, v8
	v_cmp_le_f32_e32 vcc_lo, 0xc1a00000, v0
	v_mov_b32_e32 v0, v7
	v_mov_b32_e32 v6, v10
	v_cndmask_b32_e32 v12, 0, v5, vcc_lo
	v_fmac_f32_e32 v6, v11, v12
	s_waitcnt vmcnt(0)
	v_mul_f32_e32 v5, v4, v8
	v_fmac_f32_e32 v5, v9, v12
	s_cbranch_scc0 .LBB47_3
	s_branch .LBB47_5
.LBB47_4:
	s_waitcnt lgkmcnt(0)
	v_mov_b32_e32 v6, s13
.LBB47_5:
	s_waitcnt vmcnt(0)
	v_div_scale_f32 v0, null, v6, v6, v5
	v_rcp_f32_e32 v3, v0
	v_fma_f32 v4, -v0, v3, 1.0
	v_fmac_f32_e32 v3, v4, v3
	v_div_scale_f32 v4, vcc_lo, v5, v6, v5
	v_mul_f32_e32 v7, v4, v3
	v_fma_f32 v8, -v0, v7, v4
	v_fmac_f32_e32 v7, v8, v3
	v_fma_f32 v0, -v0, v7, v4
	v_div_fmas_f32 v0, v0, v3, v7
	v_div_fixup_f32 v0, v0, v6, v5
	global_store_dword v[1:2], v0, off
.LBB47_6:
	s_endpgm
	.section	.rodata,"a",@progbits
	.p2align	6, 0x0
	.amdhsa_kernel _ZL33flash_attn_stream_k_fixup_uniformILi128ELi2ELi2EEvPfPK15HIP_vector_typeIfLj2EEiiiiiiS1_IjLj3EES5_S5_
		.amdhsa_group_segment_fixed_size 0
		.amdhsa_private_segment_fixed_size 0
		.amdhsa_kernarg_size 76
		.amdhsa_user_sgpr_count 6
		.amdhsa_user_sgpr_private_segment_buffer 1
		.amdhsa_user_sgpr_dispatch_ptr 0
		.amdhsa_user_sgpr_queue_ptr 0
		.amdhsa_user_sgpr_kernarg_segment_ptr 1
		.amdhsa_user_sgpr_dispatch_id 0
		.amdhsa_user_sgpr_flat_scratch_init 0
		.amdhsa_user_sgpr_private_segment_size 0
		.amdhsa_wavefront_size32 1
		.amdhsa_uses_dynamic_stack 0
		.amdhsa_system_sgpr_private_segment_wavefront_offset 0
		.amdhsa_system_sgpr_workgroup_id_x 1
		.amdhsa_system_sgpr_workgroup_id_y 1
		.amdhsa_system_sgpr_workgroup_id_z 1
		.amdhsa_system_sgpr_workgroup_info 0
		.amdhsa_system_vgpr_workitem_id 0
		.amdhsa_next_free_vgpr 15
		.amdhsa_next_free_sgpr 24
		.amdhsa_reserve_vcc 1
		.amdhsa_reserve_flat_scratch 0
		.amdhsa_float_round_mode_32 0
		.amdhsa_float_round_mode_16_64 0
		.amdhsa_float_denorm_mode_32 3
		.amdhsa_float_denorm_mode_16_64 3
		.amdhsa_dx10_clamp 1
		.amdhsa_ieee_mode 1
		.amdhsa_fp16_overflow 0
		.amdhsa_workgroup_processor_mode 1
		.amdhsa_memory_ordered 1
		.amdhsa_forward_progress 1
		.amdhsa_shared_vgpr_count 0
		.amdhsa_exception_fp_ieee_invalid_op 0
		.amdhsa_exception_fp_denorm_src 0
		.amdhsa_exception_fp_ieee_div_zero 0
		.amdhsa_exception_fp_ieee_overflow 0
		.amdhsa_exception_fp_ieee_underflow 0
		.amdhsa_exception_fp_ieee_inexact 0
		.amdhsa_exception_int_div_zero 0
	.end_amdhsa_kernel
	.section	.text._ZL33flash_attn_stream_k_fixup_uniformILi128ELi2ELi2EEvPfPK15HIP_vector_typeIfLj2EEiiiiiiS1_IjLj3EES5_S5_,"axG",@progbits,_ZL33flash_attn_stream_k_fixup_uniformILi128ELi2ELi2EEvPfPK15HIP_vector_typeIfLj2EEiiiiiiS1_IjLj3EES5_S5_,comdat
.Lfunc_end47:
	.size	_ZL33flash_attn_stream_k_fixup_uniformILi128ELi2ELi2EEvPfPK15HIP_vector_typeIfLj2EEiiiiiiS1_IjLj3EES5_S5_, .Lfunc_end47-_ZL33flash_attn_stream_k_fixup_uniformILi128ELi2ELi2EEvPfPK15HIP_vector_typeIfLj2EEiiiiiiS1_IjLj3EES5_S5_
                                        ; -- End function
	.set _ZL33flash_attn_stream_k_fixup_uniformILi128ELi2ELi2EEvPfPK15HIP_vector_typeIfLj2EEiiiiiiS1_IjLj3EES5_S5_.num_vgpr, 15
	.set _ZL33flash_attn_stream_k_fixup_uniformILi128ELi2ELi2EEvPfPK15HIP_vector_typeIfLj2EEiiiiiiS1_IjLj3EES5_S5_.num_agpr, 0
	.set _ZL33flash_attn_stream_k_fixup_uniformILi128ELi2ELi2EEvPfPK15HIP_vector_typeIfLj2EEiiiiiiS1_IjLj3EES5_S5_.numbered_sgpr, 24
	.set _ZL33flash_attn_stream_k_fixup_uniformILi128ELi2ELi2EEvPfPK15HIP_vector_typeIfLj2EEiiiiiiS1_IjLj3EES5_S5_.num_named_barrier, 0
	.set _ZL33flash_attn_stream_k_fixup_uniformILi128ELi2ELi2EEvPfPK15HIP_vector_typeIfLj2EEiiiiiiS1_IjLj3EES5_S5_.private_seg_size, 0
	.set _ZL33flash_attn_stream_k_fixup_uniformILi128ELi2ELi2EEvPfPK15HIP_vector_typeIfLj2EEiiiiiiS1_IjLj3EES5_S5_.uses_vcc, 1
	.set _ZL33flash_attn_stream_k_fixup_uniformILi128ELi2ELi2EEvPfPK15HIP_vector_typeIfLj2EEiiiiiiS1_IjLj3EES5_S5_.uses_flat_scratch, 0
	.set _ZL33flash_attn_stream_k_fixup_uniformILi128ELi2ELi2EEvPfPK15HIP_vector_typeIfLj2EEiiiiiiS1_IjLj3EES5_S5_.has_dyn_sized_stack, 0
	.set _ZL33flash_attn_stream_k_fixup_uniformILi128ELi2ELi2EEvPfPK15HIP_vector_typeIfLj2EEiiiiiiS1_IjLj3EES5_S5_.has_recursion, 0
	.set _ZL33flash_attn_stream_k_fixup_uniformILi128ELi2ELi2EEvPfPK15HIP_vector_typeIfLj2EEiiiiiiS1_IjLj3EES5_S5_.has_indirect_call, 0
	.section	.AMDGPU.csdata,"",@progbits
; Kernel info:
; codeLenInByte = 848
; TotalNumSgprs: 26
; NumVgprs: 15
; ScratchSize: 0
; MemoryBound: 0
; FloatMode: 240
; IeeeMode: 1
; LDSByteSize: 0 bytes/workgroup (compile time only)
; SGPRBlocks: 0
; VGPRBlocks: 1
; NumSGPRsForWavesPerEU: 26
; NumVGPRsForWavesPerEU: 15
; Occupancy: 16
; WaveLimiterHint : 0
; COMPUTE_PGM_RSRC2:SCRATCH_EN: 0
; COMPUTE_PGM_RSRC2:USER_SGPR: 6
; COMPUTE_PGM_RSRC2:TRAP_HANDLER: 0
; COMPUTE_PGM_RSRC2:TGID_X_EN: 1
; COMPUTE_PGM_RSRC2:TGID_Y_EN: 1
; COMPUTE_PGM_RSRC2:TGID_Z_EN: 1
; COMPUTE_PGM_RSRC2:TIDIG_COMP_CNT: 0
	.section	.text._ZL33flash_attn_stream_k_fixup_generalILi128ELi2ELi2EEvPfPK15HIP_vector_typeIfLj2EEiiiiS1_IjLj3EES5_S5_S5_,"axG",@progbits,_ZL33flash_attn_stream_k_fixup_generalILi128ELi2ELi2EEvPfPK15HIP_vector_typeIfLj2EEiiiiS1_IjLj3EES5_S5_S5_,comdat
	.globl	_ZL33flash_attn_stream_k_fixup_generalILi128ELi2ELi2EEvPfPK15HIP_vector_typeIfLj2EEiiiiS1_IjLj3EES5_S5_S5_ ; -- Begin function _ZL33flash_attn_stream_k_fixup_generalILi128ELi2ELi2EEvPfPK15HIP_vector_typeIfLj2EEiiiiS1_IjLj3EES5_S5_S5_
	.p2align	8
	.type	_ZL33flash_attn_stream_k_fixup_generalILi128ELi2ELi2EEvPfPK15HIP_vector_typeIfLj2EEiiiiS1_IjLj3EES5_S5_S5_,@function
_ZL33flash_attn_stream_k_fixup_generalILi128ELi2ELi2EEvPfPK15HIP_vector_typeIfLj2EEiiiiS1_IjLj3EES5_S5_S5_: ; @_ZL33flash_attn_stream_k_fixup_generalILi128ELi2ELi2EEvPfPK15HIP_vector_typeIfLj2EEiiiiS1_IjLj3EES5_S5_S5_
; %bb.0:
	s_clause 0x1
	s_load_dwordx4 s[0:3], s[4:5], 0x10
	s_load_dword s9, s[4:5], 0x50
	s_mov_b32 s16, 0
	s_waitcnt lgkmcnt(0)
	s_mul_hi_i32 s17, s3, s6
	s_mul_i32 s18, s3, s6
	s_cmp_lg_u64 s[16:17], 0
	s_cbranch_scc0 .LBB48_21
; %bb.1:
	s_add_u32 s10, s9, 0
	s_addc_u32 s11, 0, 0
	s_xor_b64 s[10:11], s[10:11], 0
	v_cvt_f32_u32_e32 v1, s10
	v_cvt_f32_u32_e32 v2, s11
	s_sub_u32 s14, 0, s10
	s_subb_u32 s15, 0, s11
	v_fmamk_f32 v1, v2, 0x4f800000, v1
	v_rcp_f32_e32 v1, v1
	v_mul_f32_e32 v1, 0x5f7ffffc, v1
	v_mul_f32_e32 v2, 0x2f800000, v1
	v_trunc_f32_e32 v2, v2
	v_fmamk_f32 v1, v2, 0xcf800000, v1
	v_cvt_u32_f32_e32 v2, v2
	v_cvt_u32_f32_e32 v1, v1
	v_readfirstlane_b32 s12, v2
	v_readfirstlane_b32 s13, v1
	s_mul_i32 s19, s14, s12
	s_mul_hi_u32 s21, s14, s13
	s_mul_i32 s20, s15, s13
	s_add_i32 s19, s21, s19
	s_mul_i32 s22, s14, s13
	s_add_i32 s19, s19, s20
	s_mul_hi_u32 s21, s13, s22
	s_mul_i32 s24, s13, s19
	s_mul_hi_u32 s23, s12, s22
	s_mul_i32 s20, s12, s22
	s_mul_hi_u32 s22, s13, s19
	s_add_u32 s21, s21, s24
	s_addc_u32 s22, 0, s22
	s_mul_hi_u32 s25, s12, s19
	s_add_u32 s20, s21, s20
	s_mul_i32 s19, s12, s19
	s_addc_u32 s20, s22, s23
	s_addc_u32 s21, s25, 0
	s_add_u32 s19, s20, s19
	s_addc_u32 s20, 0, s21
	s_add_u32 s13, s13, s19
	s_cselect_b32 s19, -1, 0
	s_mul_hi_u32 s21, s14, s13
	s_cmp_lg_u32 s19, 0
	s_mul_i32 s19, s14, s13
	s_addc_u32 s12, s12, s20
	s_mul_i32 s15, s15, s13
	s_mul_i32 s14, s14, s12
	s_mul_hi_u32 s20, s13, s19
	s_add_i32 s14, s21, s14
	s_mul_hi_u32 s21, s12, s19
	s_add_i32 s14, s14, s15
	s_mul_i32 s15, s12, s19
	s_mul_i32 s23, s13, s14
	s_mul_hi_u32 s22, s13, s14
	s_add_u32 s20, s20, s23
	s_addc_u32 s22, 0, s22
	s_mul_hi_u32 s19, s12, s14
	s_add_u32 s15, s20, s15
	s_mul_i32 s14, s12, s14
	s_addc_u32 s15, s22, s21
	s_addc_u32 s19, s19, 0
	s_add_u32 s14, s15, s14
	s_addc_u32 s15, 0, s19
	s_add_u32 s19, s13, s14
	s_cselect_b32 s13, -1, 0
	s_cmp_lg_u32 s13, 0
	s_addc_u32 s20, s12, s15
	s_ashr_i32 s12, s17, 31
	s_add_u32 s14, s18, s12
	s_mov_b32 s13, s12
	s_addc_u32 s15, s17, s12
	s_xor_b64 s[14:15], s[14:15], s[12:13]
	s_mul_i32 s21, s14, s20
	s_mul_hi_u32 s22, s14, s19
	s_mul_hi_u32 s17, s14, s20
	;; [unrolled: 1-line block ×3, first 2 shown]
	s_mul_i32 s19, s15, s19
	s_add_u32 s21, s22, s21
	s_addc_u32 s17, 0, s17
	s_mul_hi_u32 s23, s15, s20
	s_add_u32 s19, s21, s19
	s_mul_i32 s20, s15, s20
	s_addc_u32 s17, s17, s24
	s_addc_u32 s19, s23, 0
	s_add_u32 s17, s17, s20
	s_addc_u32 s19, 0, s19
	s_mul_hi_u32 s20, s10, s17
	s_mul_i32 s21, s10, s19
	s_mul_i32 s22, s11, s17
	s_add_i32 s20, s20, s21
	s_mul_i32 s21, s10, s17
	s_add_i32 s20, s20, s22
	s_sub_i32 s22, s15, s20
	s_sub_u32 s14, s14, s21
	s_cselect_b32 s21, -1, 0
	s_cmp_lg_u32 s21, 0
	s_subb_u32 s22, s22, s11
	s_sub_u32 s23, s14, s10
	s_cselect_b32 s24, -1, 0
	s_cmp_lg_u32 s24, 0
	s_subb_u32 s22, s22, 0
	s_cmp_ge_u32 s22, s11
	s_cselect_b32 s24, -1, 0
	s_cmp_ge_u32 s23, s10
	s_cselect_b32 s23, -1, 0
	s_cmp_eq_u32 s22, s11
	s_cselect_b32 s22, s23, s24
	s_add_u32 s23, s17, 1
	s_addc_u32 s24, s19, 0
	s_add_u32 s25, s17, 2
	s_addc_u32 s26, s19, 0
	s_cmp_lg_u32 s22, 0
	s_cselect_b32 s22, s25, s23
	s_cselect_b32 s23, s26, s24
	s_cmp_lg_u32 s21, 0
	s_subb_u32 s15, s15, s20
	s_cmp_ge_u32 s15, s11
	s_cselect_b32 s20, -1, 0
	s_cmp_ge_u32 s14, s10
	s_cselect_b32 s10, -1, 0
	s_cmp_eq_u32 s15, s11
	s_cselect_b32 s10, s10, s20
	s_cmp_lg_u32 s10, 0
	s_cselect_b32 s11, s23, s19
	s_cselect_b32 s10, s22, s17
	s_xor_b64 s[12:13], s[12:13], 0
	s_xor_b64 s[10:11], s[10:11], s[12:13]
	s_sub_u32 s10, s10, s12
	s_load_dwordx4 s[12:15], s[4:5], 0x44
	s_andn2_b32 vcc_lo, exec_lo, s16
	s_cbranch_vccnz .LBB48_3
.LBB48_2:
	v_cvt_f32_u32_e32 v1, s9
	s_sub_i32 s11, 0, s9
	v_rcp_iflag_f32_e32 v1, v1
	v_mul_f32_e32 v1, 0x4f7ffffe, v1
	v_cvt_u32_f32_e32 v1, v1
	v_readfirstlane_b32 s10, v1
	s_mul_i32 s11, s11, s10
	s_mul_hi_u32 s11, s10, s11
	s_add_i32 s10, s10, s11
	s_mul_hi_u32 s10, s18, s10
	s_mul_i32 s11, s10, s9
	s_waitcnt lgkmcnt(0)
	s_add_i32 s15, s10, 1
	s_sub_i32 s11, s18, s11
	s_sub_i32 s16, s11, s9
	s_cmp_ge_u32 s11, s9
	s_cselect_b32 s10, s15, s10
	s_cselect_b32 s11, s16, s11
	s_add_i32 s15, s10, 1
	s_cmp_ge_u32 s11, s9
	s_cselect_b32 s10, s15, s10
.LBB48_3:
	s_add_i32 s11, s6, 1
	s_mov_b32 s16, 0
	s_mul_hi_i32 s17, s3, s11
	s_mul_i32 s11, s3, s11
	s_cmp_lg_u64 s[16:17], 0
	s_cbranch_scc0 .LBB48_22
; %bb.4:
	s_add_u32 s18, s9, 0
	s_addc_u32 s19, 0, 0
	s_xor_b64 s[18:19], s[18:19], 0
	v_cvt_f32_u32_e32 v1, s18
	v_cvt_f32_u32_e32 v2, s19
	s_sub_u32 s21, 0, s18
	s_subb_u32 s22, 0, s19
	v_fmamk_f32 v1, v2, 0x4f800000, v1
	v_rcp_f32_e32 v1, v1
	v_mul_f32_e32 v1, 0x5f7ffffc, v1
	v_mul_f32_e32 v2, 0x2f800000, v1
	v_trunc_f32_e32 v2, v2
	v_fmamk_f32 v1, v2, 0xcf800000, v1
	v_cvt_u32_f32_e32 v2, v2
	v_cvt_u32_f32_e32 v1, v1
	s_waitcnt lgkmcnt(0)
	v_readfirstlane_b32 s15, v2
	v_readfirstlane_b32 s20, v1
	s_mul_i32 s23, s21, s15
	s_mul_hi_u32 s25, s21, s20
	s_mul_i32 s24, s22, s20
	s_add_i32 s23, s25, s23
	s_mul_i32 s26, s21, s20
	s_add_i32 s23, s23, s24
	s_mul_hi_u32 s25, s20, s26
	s_mul_i32 s28, s20, s23
	s_mul_hi_u32 s27, s15, s26
	s_mul_i32 s24, s15, s26
	s_mul_hi_u32 s26, s20, s23
	s_add_u32 s25, s25, s28
	s_addc_u32 s26, 0, s26
	s_mul_hi_u32 s29, s15, s23
	s_add_u32 s24, s25, s24
	s_mul_i32 s23, s15, s23
	s_addc_u32 s24, s26, s27
	s_addc_u32 s25, s29, 0
	s_add_u32 s23, s24, s23
	s_addc_u32 s24, 0, s25
	s_add_u32 s20, s20, s23
	s_cselect_b32 s23, -1, 0
	s_mul_hi_u32 s25, s21, s20
	s_cmp_lg_u32 s23, 0
	s_mul_i32 s23, s21, s20
	s_addc_u32 s15, s15, s24
	s_mul_i32 s22, s22, s20
	s_mul_i32 s21, s21, s15
	s_mul_hi_u32 s24, s20, s23
	s_add_i32 s21, s25, s21
	s_mul_hi_u32 s25, s15, s23
	s_add_i32 s21, s21, s22
	s_mul_i32 s22, s15, s23
	s_mul_i32 s27, s20, s21
	s_mul_hi_u32 s26, s20, s21
	s_add_u32 s24, s24, s27
	s_addc_u32 s26, 0, s26
	s_mul_hi_u32 s23, s15, s21
	s_add_u32 s22, s24, s22
	s_mul_i32 s21, s15, s21
	s_addc_u32 s22, s26, s25
	s_addc_u32 s23, s23, 0
	s_add_u32 s21, s22, s21
	s_addc_u32 s22, 0, s23
	s_add_u32 s24, s20, s21
	s_cselect_b32 s20, -1, 0
	s_cmp_lg_u32 s20, 0
	s_addc_u32 s15, s15, s22
	s_ashr_i32 s20, s17, 31
	s_add_u32 s22, s11, s20
	s_mov_b32 s21, s20
	s_addc_u32 s23, s17, s20
	s_xor_b64 s[22:23], s[22:23], s[20:21]
	s_mul_i32 s25, s22, s15
	s_mul_hi_u32 s26, s22, s24
	s_mul_hi_u32 s17, s22, s15
	;; [unrolled: 1-line block ×3, first 2 shown]
	s_mul_i32 s24, s23, s24
	s_add_u32 s25, s26, s25
	s_addc_u32 s17, 0, s17
	s_mul_hi_u32 s27, s23, s15
	s_add_u32 s24, s25, s24
	s_mul_i32 s15, s23, s15
	s_addc_u32 s17, s17, s28
	s_addc_u32 s24, s27, 0
	s_add_u32 s15, s17, s15
	s_addc_u32 s17, 0, s24
	s_mul_hi_u32 s24, s18, s15
	s_mul_i32 s25, s18, s17
	s_mul_i32 s26, s19, s15
	s_add_i32 s24, s24, s25
	s_mul_i32 s25, s18, s15
	s_add_i32 s24, s24, s26
	s_sub_i32 s26, s23, s24
	s_sub_u32 s22, s22, s25
	s_cselect_b32 s25, -1, 0
	s_cmp_lg_u32 s25, 0
	s_subb_u32 s26, s26, s19
	s_sub_u32 s27, s22, s18
	s_cselect_b32 s28, -1, 0
	s_cmp_lg_u32 s28, 0
	s_subb_u32 s26, s26, 0
	s_cmp_ge_u32 s26, s19
	s_cselect_b32 s28, -1, 0
	s_cmp_ge_u32 s27, s18
	s_cselect_b32 s27, -1, 0
	s_cmp_eq_u32 s26, s19
	s_cselect_b32 s26, s27, s28
	s_add_u32 s27, s15, 1
	s_addc_u32 s28, s17, 0
	s_add_u32 s29, s15, 2
	s_addc_u32 s30, s17, 0
	s_cmp_lg_u32 s26, 0
	s_cselect_b32 s26, s29, s27
	s_cselect_b32 s27, s30, s28
	s_cmp_lg_u32 s25, 0
	s_subb_u32 s23, s23, s24
	s_cmp_ge_u32 s23, s19
	s_cselect_b32 s24, -1, 0
	s_cmp_ge_u32 s22, s18
	s_cselect_b32 s18, -1, 0
	s_cmp_eq_u32 s23, s19
	s_cselect_b32 s18, s18, s24
	s_cmp_lg_u32 s18, 0
	s_cselect_b32 s19, s27, s17
	s_cselect_b32 s18, s26, s15
	s_xor_b64 s[20:21], s[20:21], 0
	s_xor_b64 s[18:19], s[18:19], s[20:21]
	s_sub_u32 s18, s18, s20
	s_andn2_b32 vcc_lo, exec_lo, s16
	s_cbranch_vccnz .LBB48_6
.LBB48_5:
	v_cvt_f32_u32_e32 v1, s9
	s_sub_i32 s16, 0, s9
	v_rcp_iflag_f32_e32 v1, v1
	v_mul_f32_e32 v1, 0x4f7ffffe, v1
	v_cvt_u32_f32_e32 v1, v1
	s_waitcnt lgkmcnt(0)
	v_readfirstlane_b32 s15, v1
	s_mul_i32 s16, s16, s15
	s_mul_hi_u32 s16, s15, s16
	s_add_i32 s15, s15, s16
	s_mul_hi_u32 s15, s11, s15
	s_mul_i32 s16, s15, s9
	s_sub_i32 s11, s11, s16
	s_add_i32 s16, s15, 1
	s_sub_i32 s17, s11, s9
	s_cmp_ge_u32 s11, s9
	s_cselect_b32 s15, s16, s15
	s_cselect_b32 s11, s17, s11
	s_add_i32 s16, s15, 1
	s_cmp_ge_u32 s11, s9
	s_cselect_b32 s18, s16, s15
.LBB48_6:
	s_cmp_eq_u32 s10, s18
	s_waitcnt lgkmcnt(0)
	s_mul_hi_u32 s11, s10, s12
	s_cselect_b32 s15, -1, 0
	s_add_i32 s11, s11, s10
	s_lshr_b32 s11, s11, s13
	s_mul_i32 s16, s11, s14
	s_cmp_eq_u32 s16, s10
	s_mul_hi_u32 s16, s18, s12
	s_cselect_b32 s17, -1, 0
	s_add_i32 s16, s16, s18
	s_lshr_b32 s16, s16, s13
	s_cmp_eq_u32 s11, s16
	s_mul_i32 s16, s16, s14
	s_cselect_b32 s19, -1, 0
	s_cmp_lg_u32 s16, s18
	s_cselect_b32 s16, -1, 0
	s_or_b32 s15, s15, s17
	s_and_b32 s16, s19, s16
	s_or_b32 s15, s15, s16
	s_and_b32 vcc_lo, exec_lo, s15
	s_cbranch_vccnz .LBB48_24
; %bb.7:
	s_clause 0x1
	s_load_dwordx8 s[20:27], s[4:5], 0x20
	s_load_dword s16, s[4:5], 0x40
	s_waitcnt lgkmcnt(0)
	s_mul_hi_u32 s15, s10, s20
	s_add_i32 s15, s15, s10
	s_lshr_b32 s15, s15, s21
	s_mul_i32 s17, s15, s22
	s_sub_i32 s17, s10, s17
	s_mul_hi_u32 s18, s17, s23
	s_add_i32 s18, s17, s18
	s_lshr_b32 s22, s18, s24
	s_mul_i32 s18, s22, s25
	s_sub_i32 s17, s17, s18
	s_mul_hi_u32 s18, s17, s26
	s_add_i32 s18, s17, s18
	s_lshr_b32 s18, s18, s27
	s_mul_i32 s16, s18, s16
	s_lshl_b32 s24, s18, 1
	s_sub_i32 s16, s17, s16
	s_mul_hi_u32 s17, s16, s12
	s_add_i32 s16, s16, s17
	s_lshr_b32 s23, s16, s13
	s_lshl_b32 s16, s23, 1
	s_add_i32 s16, s16, s7
	s_cmp_lt_i32 s16, s0
	s_cselect_b32 s16, -1, 0
	s_add_i32 s17, s24, s8
	s_cmp_lt_i32 s17, s2
	s_cselect_b32 s17, -1, 0
	s_and_b32 s16, s16, s17
	s_andn2_b32 vcc_lo, exec_lo, s16
	s_cbranch_vccnz .LBB48_24
; %bb.8:
	s_load_dwordx4 s[16:19], s[4:5], 0x0
	s_mov_b32 s4, 0
	s_lshl_b32 s20, s9, 4
	s_mov_b32 s21, s4
	s_lshl_b32 s5, s7, 1
	s_lshl_b64 s[20:21], s[20:21], 2
	s_mul_i32 s0, s15, s0
	s_add_i32 s15, s5, s8
	s_mul_i32 s22, s22, s2
	v_cvt_f32_u32_e32 v4, s9
	v_rcp_iflag_f32_e32 v4, v4
	s_waitcnt lgkmcnt(0)
	s_add_u32 s20, s18, s20
	s_addc_u32 s21, s19, s21
	s_add_i32 s0, s0, s7
	s_mul_i32 s0, s0, s1
	s_mul_i32 s1, s1, s23
	s_add_i32 s0, s0, s8
	s_lshl_b32 s1, s1, 8
	s_add_i32 s0, s0, s22
	v_mul_f32_e32 v4, 0x4f7ffffe, v4
	s_add_i32 s0, s0, s24
	s_lshl_b32 s0, s0, 7
	s_add_i32 s1, s1, s0
	s_lshl_b32 s0, s6, 2
	v_or_b32_e32 v1, s1, v0
	s_add_i32 s0, s15, s0
	v_lshl_or_b32 v0, s15, 7, v0
	s_ashr_i32 s1, s0, 31
	v_cvt_u32_f32_e32 v4, v4
	v_ashrrev_i32_e32 v2, 31, v1
	s_lshl_b64 s[0:1], s[0:1], 3
	s_add_u32 s0, s18, s0
	s_addc_u32 s1, s19, s1
	v_lshlrev_b64 v[1:2], 2, v[1:2]
	s_load_dwordx2 s[0:1], s[0:1], 0x0
	s_add_i32 s8, s6, -1
	s_sub_i32 s2, 0, s9
	v_add_co_u32 v1, vcc_lo, s16, v1
	v_add_co_ci_u32_e64 v2, null, s17, v2, vcc_lo
	global_load_dword v3, v[1:2], off
	s_waitcnt lgkmcnt(0)
	v_mov_b32_e32 v5, s1
	v_mov_b32_e32 v6, s0
.LBB48_9:                               ; =>This Inner Loop Header: Depth=1
	s_mul_hi_i32 s5, s8, s3
	s_mul_i32 s6, s8, s3
	s_cmp_lg_u64 s[4:5], 0
	s_mov_b32 s7, -1
                                        ; implicit-def: $sgpr0_sgpr1
	s_cbranch_scc0 .LBB48_11
; %bb.10:                               ;   in Loop: Header=BB48_9 Depth=1
	s_add_u32 s0, s9, 0
	s_addc_u32 s1, 0, 0
	s_xor_b64 s[0:1], s[0:1], 0
	v_cvt_f32_u32_e32 v7, s0
	v_cvt_f32_u32_e32 v8, s1
	s_sub_u32 s17, 0, s0
	s_subb_u32 s22, 0, s1
	v_fmac_f32_e32 v7, 0x4f800000, v8
	v_rcp_f32_e32 v7, v7
	v_mul_f32_e32 v7, 0x5f7ffffc, v7
	v_mul_f32_e32 v8, 0x2f800000, v7
	v_trunc_f32_e32 v8, v8
	v_fmac_f32_e32 v7, 0xcf800000, v8
	v_cvt_u32_f32_e32 v8, v8
	v_cvt_u32_f32_e32 v7, v7
	v_readfirstlane_b32 s7, v8
	v_readfirstlane_b32 s16, v7
	s_mul_i32 s23, s17, s7
	s_mul_hi_u32 s25, s17, s16
	s_mul_i32 s24, s22, s16
	s_add_i32 s23, s25, s23
	s_mul_i32 s26, s17, s16
	s_add_i32 s23, s23, s24
	s_mul_hi_u32 s25, s16, s26
	s_mul_i32 s28, s16, s23
	s_mul_hi_u32 s27, s7, s26
	s_mul_i32 s24, s7, s26
	s_mul_hi_u32 s26, s16, s23
	s_add_u32 s25, s25, s28
	s_addc_u32 s26, 0, s26
	s_mul_hi_u32 s29, s7, s23
	s_add_u32 s24, s25, s24
	s_mul_i32 s23, s7, s23
	s_addc_u32 s24, s26, s27
	s_addc_u32 s25, s29, 0
	s_add_u32 s23, s24, s23
	s_addc_u32 s24, 0, s25
	s_add_u32 s16, s16, s23
	s_cselect_b32 s23, -1, 0
	s_mul_hi_u32 s25, s17, s16
	s_cmp_lg_u32 s23, 0
	s_mul_i32 s23, s17, s16
	s_addc_u32 s7, s7, s24
	s_mul_i32 s22, s22, s16
	s_mul_i32 s17, s17, s7
	s_mul_hi_u32 s24, s16, s23
	s_add_i32 s17, s25, s17
	s_mul_hi_u32 s25, s7, s23
	s_add_i32 s17, s17, s22
	s_mul_i32 s22, s7, s23
	s_mul_i32 s27, s16, s17
	s_mul_hi_u32 s26, s16, s17
	s_add_u32 s24, s24, s27
	s_addc_u32 s26, 0, s26
	s_mul_hi_u32 s23, s7, s17
	s_add_u32 s22, s24, s22
	s_mul_i32 s17, s7, s17
	s_addc_u32 s22, s26, s25
	s_addc_u32 s23, s23, 0
	s_add_u32 s17, s22, s17
	s_addc_u32 s22, 0, s23
	s_add_u32 s24, s16, s17
	s_cselect_b32 s16, -1, 0
	s_cmp_lg_u32 s16, 0
	s_addc_u32 s7, s7, s22
	s_ashr_i32 s16, s5, 31
	s_add_u32 s22, s6, s16
	s_mov_b32 s17, s16
	s_addc_u32 s23, s5, s16
	s_xor_b64 s[22:23], s[22:23], s[16:17]
	s_mul_i32 s25, s22, s7
	s_mul_hi_u32 s26, s22, s24
	s_mul_hi_u32 s5, s22, s7
	;; [unrolled: 1-line block ×3, first 2 shown]
	s_mul_i32 s24, s23, s24
	s_add_u32 s25, s26, s25
	s_addc_u32 s5, 0, s5
	s_mul_hi_u32 s27, s23, s7
	s_add_u32 s24, s25, s24
	s_mul_i32 s7, s23, s7
	s_addc_u32 s5, s5, s28
	s_addc_u32 s24, s27, 0
	s_add_u32 s5, s5, s7
	s_addc_u32 s7, 0, s24
	s_mul_hi_u32 s24, s0, s5
	s_mul_i32 s25, s0, s7
	s_mul_i32 s26, s1, s5
	s_add_i32 s24, s24, s25
	s_mul_i32 s25, s0, s5
	s_add_i32 s24, s24, s26
	s_sub_i32 s26, s23, s24
	s_sub_u32 s22, s22, s25
	s_cselect_b32 s25, -1, 0
	s_cmp_lg_u32 s25, 0
	s_subb_u32 s26, s26, s1
	s_sub_u32 s27, s22, s0
	s_cselect_b32 s28, -1, 0
	s_cmp_lg_u32 s28, 0
	s_subb_u32 s26, s26, 0
	s_cmp_ge_u32 s26, s1
	s_cselect_b32 s28, -1, 0
	s_cmp_ge_u32 s27, s0
	s_cselect_b32 s27, -1, 0
	s_cmp_eq_u32 s26, s1
	s_cselect_b32 s26, s27, s28
	s_add_u32 s27, s5, 1
	s_addc_u32 s28, s7, 0
	s_add_u32 s29, s5, 2
	s_addc_u32 s30, s7, 0
	s_cmp_lg_u32 s26, 0
	s_cselect_b32 s26, s29, s27
	s_cselect_b32 s27, s30, s28
	s_cmp_lg_u32 s25, 0
	s_subb_u32 s23, s23, s24
	s_cmp_ge_u32 s23, s1
	s_cselect_b32 s24, -1, 0
	s_cmp_ge_u32 s22, s0
	s_cselect_b32 s0, -1, 0
	s_cmp_eq_u32 s23, s1
	s_cselect_b32 s0, s0, s24
	s_cmp_lg_u32 s0, 0
	s_cselect_b32 s1, s27, s7
	s_cselect_b32 s0, s26, s5
	s_xor_b64 s[16:17], s[16:17], 0
	s_mov_b32 s7, 0
	s_xor_b64 s[0:1], s[0:1], s[16:17]
	s_sub_u32 s0, s0, s16
.LBB48_11:                              ;   in Loop: Header=BB48_9 Depth=1
	s_andn2_b32 vcc_lo, exec_lo, s7
	s_cbranch_vccnz .LBB48_13
; %bb.12:                               ;   in Loop: Header=BB48_9 Depth=1
	v_readfirstlane_b32 s0, v4
	s_mul_i32 s1, s2, s0
	s_mul_hi_u32 s1, s0, s1
	s_add_i32 s0, s0, s1
	s_mul_hi_u32 s0, s6, s0
	s_mul_i32 s1, s0, s9
	s_add_i32 s5, s0, 1
	s_sub_i32 s1, s6, s1
	s_sub_i32 s6, s1, s9
	s_cmp_ge_u32 s1, s9
	s_cselect_b32 s0, s5, s0
	s_cselect_b32 s1, s6, s1
	s_add_i32 s5, s0, 1
	s_cmp_ge_u32 s1, s9
	s_cselect_b32 s0, s5, s0
.LBB48_13:                              ;   in Loop: Header=BB48_9 Depth=1
	s_cmp_lg_u32 s10, s0
	s_mov_b32 s6, -1
                                        ; implicit-def: $sgpr5
                                        ; implicit-def: $vgpr8
                                        ; implicit-def: $vgpr7
                                        ; implicit-def: $vgpr9
                                        ; implicit-def: $sgpr1
                                        ; implicit-def: $sgpr16
	s_cbranch_scc0 .LBB48_18
; %bb.14:                               ;   in Loop: Header=BB48_9 Depth=1
	s_add_i32 s1, s8, s9
	s_mov_b32 s7, s4
	s_lshl_b32 s1, s1, 2
	s_mov_b32 s16, s10
	s_add_i32 s6, s1, s15
	s_mul_hi_u32 s1, s0, s12
	s_lshl_b64 s[6:7], s[6:7], 3
	s_add_u32 s6, s18, s6
	s_addc_u32 s7, s19, s7
	s_add_i32 s1, s1, s0
	s_lshr_b32 s1, s1, s13
	s_mul_i32 s5, s1, s14
	s_cmp_eq_u32 s5, s0
	s_cselect_b32 s5, -1, 0
	s_cmp_lt_u32 s1, s11
	s_cselect_b32 s1, -1, 0
	s_or_b32 s1, s1, s5
	s_mov_b32 s5, -1
	s_and_b32 vcc_lo, exec_lo, s1
	s_mov_b32 s1, s8
	s_cbranch_vccnz .LBB48_16
; %bb.15:                               ;   in Loop: Header=BB48_9 Depth=1
	s_add_i32 s1, s8, -1
	s_mov_b32 s5, 0
	s_mov_b32 s16, s0
.LBB48_16:                              ;   in Loop: Header=BB48_9 Depth=1
	v_lshl_add_u32 v7, s8, 9, v0
	s_load_dwordx2 s[6:7], s[6:7], 0x0
	v_ashrrev_i32_e32 v8, 31, v7
	v_lshlrev_b64 v[7:8], 2, v[7:8]
	v_add_co_u32 v7, vcc_lo, s20, v7
	v_add_co_ci_u32_e64 v8, null, s21, v8, vcc_lo
	s_waitcnt lgkmcnt(0)
	v_max_f32_e64 v9, s6, s6
	global_load_dword v8, v[7:8], off
	v_max_f32_e32 v7, v6, v6
	v_max_f32_e32 v7, v7, v9
	v_sub_f32_e32 v9, s6, v7
	v_sub_f32_e32 v10, v6, v7
	v_mul_f32_e32 v11, 0x3fb8aa3b, v9
	v_mul_f32_e32 v12, 0x3fb8aa3b, v10
	v_cmp_ngt_f32_e32 vcc_lo, 0xc2ce8ed0, v9
	v_fma_f32 v13, 0x3fb8aa3b, v9, -v11
	v_rndne_f32_e32 v14, v11
	v_fma_f32 v15, 0x3fb8aa3b, v10, -v12
	v_rndne_f32_e32 v16, v12
	v_fmac_f32_e32 v13, 0x32a5705f, v9
	v_sub_f32_e32 v11, v11, v14
	v_fmac_f32_e32 v15, 0x32a5705f, v10
	v_sub_f32_e32 v12, v12, v16
	v_add_f32_e32 v11, v11, v13
	v_cvt_i32_f32_e32 v13, v14
	v_add_f32_e32 v12, v12, v15
	v_cvt_i32_f32_e32 v14, v16
	v_exp_f32_e32 v11, v11
	v_exp_f32_e32 v12, v12
	v_ldexp_f32 v11, v11, v13
	v_ldexp_f32 v12, v12, v14
	v_cndmask_b32_e32 v11, 0, v11, vcc_lo
	v_cmp_ngt_f32_e32 vcc_lo, 0xc2ce8ed0, v10
	v_cndmask_b32_e32 v12, 0, v12, vcc_lo
	v_cmp_nlt_f32_e32 vcc_lo, 0x42b17218, v9
	v_cndmask_b32_e32 v11, 0x7f800000, v11, vcc_lo
	v_cmp_nlt_f32_e32 vcc_lo, 0x42b17218, v10
	v_cndmask_b32_e32 v12, 0x7f800000, v12, vcc_lo
	v_cmp_le_f32_e32 vcc_lo, 0xc1a00000, v9
	v_cndmask_b32_e32 v9, 0, v11, vcc_lo
	v_cmp_le_f32_e32 vcc_lo, 0xc1a00000, v10
	v_cndmask_b32_e32 v10, 0, v12, vcc_lo
	s_waitcnt vmcnt(0)
	v_mul_f32_e32 v8, v8, v9
	v_mul_f32_e32 v9, s7, v9
	v_fmac_f32_e32 v8, v3, v10
	v_fmac_f32_e32 v9, v5, v10
	s_cbranch_execz .LBB48_19
.LBB48_17:                              ;   in Loop: Header=BB48_9 Depth=1
	s_andn2_b32 vcc_lo, exec_lo, s5
	s_cbranch_vccnz .LBB48_20
	s_branch .LBB48_23
.LBB48_18:                              ;   in Loop: Header=BB48_9 Depth=1
	s_andn2_b32 vcc_lo, exec_lo, s6
	s_cbranch_vccnz .LBB48_17
.LBB48_19:                              ;   in Loop: Header=BB48_9 Depth=1
	v_mov_b32_e32 v9, v5
	v_mov_b32_e32 v7, v6
	s_waitcnt vmcnt(0)
	v_mov_b32_e32 v8, v3
	s_add_i32 s1, s8, -1
	s_mov_b32 s16, s10
	s_cbranch_execz .LBB48_23
.LBB48_20:                              ;   in Loop: Header=BB48_9 Depth=1
	v_mov_b32_e32 v5, v9
	v_mov_b32_e32 v6, v7
	s_waitcnt vmcnt(0)
	v_mov_b32_e32 v3, v8
	s_mov_b32 s10, s16
	s_mov_b32 s8, s1
	s_branch .LBB48_9
.LBB48_21:
                                        ; implicit-def: $sgpr10_sgpr11
	s_load_dwordx4 s[12:15], s[4:5], 0x44
	s_branch .LBB48_2
.LBB48_22:
                                        ; implicit-def: $sgpr18_sgpr19
	s_branch .LBB48_5
.LBB48_23:
	v_div_scale_f32 v0, null, v9, v9, v8
	s_waitcnt vmcnt(0)
	v_rcp_f32_e32 v3, v0
	v_fma_f32 v4, -v0, v3, 1.0
	v_fmac_f32_e32 v3, v4, v3
	v_div_scale_f32 v4, vcc_lo, v8, v9, v8
	v_mul_f32_e32 v5, v4, v3
	v_fma_f32 v6, -v0, v5, v4
	v_fmac_f32_e32 v5, v6, v3
	v_fma_f32 v0, -v0, v5, v4
	v_div_fmas_f32 v0, v0, v3, v5
	v_div_fixup_f32 v0, v0, v9, v8
	global_store_dword v[1:2], v0, off
.LBB48_24:
	s_endpgm
	.section	.rodata,"a",@progbits
	.p2align	6, 0x0
	.amdhsa_kernel _ZL33flash_attn_stream_k_fixup_generalILi128ELi2ELi2EEvPfPK15HIP_vector_typeIfLj2EEiiiiS1_IjLj3EES5_S5_S5_
		.amdhsa_group_segment_fixed_size 0
		.amdhsa_private_segment_fixed_size 0
		.amdhsa_kernarg_size 336
		.amdhsa_user_sgpr_count 6
		.amdhsa_user_sgpr_private_segment_buffer 1
		.amdhsa_user_sgpr_dispatch_ptr 0
		.amdhsa_user_sgpr_queue_ptr 0
		.amdhsa_user_sgpr_kernarg_segment_ptr 1
		.amdhsa_user_sgpr_dispatch_id 0
		.amdhsa_user_sgpr_flat_scratch_init 0
		.amdhsa_user_sgpr_private_segment_size 0
		.amdhsa_wavefront_size32 1
		.amdhsa_uses_dynamic_stack 0
		.amdhsa_system_sgpr_private_segment_wavefront_offset 0
		.amdhsa_system_sgpr_workgroup_id_x 1
		.amdhsa_system_sgpr_workgroup_id_y 1
		.amdhsa_system_sgpr_workgroup_id_z 1
		.amdhsa_system_sgpr_workgroup_info 0
		.amdhsa_system_vgpr_workitem_id 0
		.amdhsa_next_free_vgpr 17
		.amdhsa_next_free_sgpr 31
		.amdhsa_reserve_vcc 1
		.amdhsa_reserve_flat_scratch 0
		.amdhsa_float_round_mode_32 0
		.amdhsa_float_round_mode_16_64 0
		.amdhsa_float_denorm_mode_32 3
		.amdhsa_float_denorm_mode_16_64 3
		.amdhsa_dx10_clamp 1
		.amdhsa_ieee_mode 1
		.amdhsa_fp16_overflow 0
		.amdhsa_workgroup_processor_mode 1
		.amdhsa_memory_ordered 1
		.amdhsa_forward_progress 1
		.amdhsa_shared_vgpr_count 0
		.amdhsa_exception_fp_ieee_invalid_op 0
		.amdhsa_exception_fp_denorm_src 0
		.amdhsa_exception_fp_ieee_div_zero 0
		.amdhsa_exception_fp_ieee_overflow 0
		.amdhsa_exception_fp_ieee_underflow 0
		.amdhsa_exception_fp_ieee_inexact 0
		.amdhsa_exception_int_div_zero 0
	.end_amdhsa_kernel
	.section	.text._ZL33flash_attn_stream_k_fixup_generalILi128ELi2ELi2EEvPfPK15HIP_vector_typeIfLj2EEiiiiS1_IjLj3EES5_S5_S5_,"axG",@progbits,_ZL33flash_attn_stream_k_fixup_generalILi128ELi2ELi2EEvPfPK15HIP_vector_typeIfLj2EEiiiiS1_IjLj3EES5_S5_S5_,comdat
.Lfunc_end48:
	.size	_ZL33flash_attn_stream_k_fixup_generalILi128ELi2ELi2EEvPfPK15HIP_vector_typeIfLj2EEiiiiS1_IjLj3EES5_S5_S5_, .Lfunc_end48-_ZL33flash_attn_stream_k_fixup_generalILi128ELi2ELi2EEvPfPK15HIP_vector_typeIfLj2EEiiiiS1_IjLj3EES5_S5_S5_
                                        ; -- End function
	.set _ZL33flash_attn_stream_k_fixup_generalILi128ELi2ELi2EEvPfPK15HIP_vector_typeIfLj2EEiiiiS1_IjLj3EES5_S5_S5_.num_vgpr, 17
	.set _ZL33flash_attn_stream_k_fixup_generalILi128ELi2ELi2EEvPfPK15HIP_vector_typeIfLj2EEiiiiS1_IjLj3EES5_S5_S5_.num_agpr, 0
	.set _ZL33flash_attn_stream_k_fixup_generalILi128ELi2ELi2EEvPfPK15HIP_vector_typeIfLj2EEiiiiS1_IjLj3EES5_S5_S5_.numbered_sgpr, 31
	.set _ZL33flash_attn_stream_k_fixup_generalILi128ELi2ELi2EEvPfPK15HIP_vector_typeIfLj2EEiiiiS1_IjLj3EES5_S5_S5_.num_named_barrier, 0
	.set _ZL33flash_attn_stream_k_fixup_generalILi128ELi2ELi2EEvPfPK15HIP_vector_typeIfLj2EEiiiiS1_IjLj3EES5_S5_S5_.private_seg_size, 0
	.set _ZL33flash_attn_stream_k_fixup_generalILi128ELi2ELi2EEvPfPK15HIP_vector_typeIfLj2EEiiiiS1_IjLj3EES5_S5_S5_.uses_vcc, 1
	.set _ZL33flash_attn_stream_k_fixup_generalILi128ELi2ELi2EEvPfPK15HIP_vector_typeIfLj2EEiiiiS1_IjLj3EES5_S5_S5_.uses_flat_scratch, 0
	.set _ZL33flash_attn_stream_k_fixup_generalILi128ELi2ELi2EEvPfPK15HIP_vector_typeIfLj2EEiiiiS1_IjLj3EES5_S5_S5_.has_dyn_sized_stack, 0
	.set _ZL33flash_attn_stream_k_fixup_generalILi128ELi2ELi2EEvPfPK15HIP_vector_typeIfLj2EEiiiiS1_IjLj3EES5_S5_S5_.has_recursion, 0
	.set _ZL33flash_attn_stream_k_fixup_generalILi128ELi2ELi2EEvPfPK15HIP_vector_typeIfLj2EEiiiiS1_IjLj3EES5_S5_S5_.has_indirect_call, 0
	.section	.AMDGPU.csdata,"",@progbits
; Kernel info:
; codeLenInByte = 2944
; TotalNumSgprs: 33
; NumVgprs: 17
; ScratchSize: 0
; MemoryBound: 0
; FloatMode: 240
; IeeeMode: 1
; LDSByteSize: 0 bytes/workgroup (compile time only)
; SGPRBlocks: 0
; VGPRBlocks: 2
; NumSGPRsForWavesPerEU: 33
; NumVGPRsForWavesPerEU: 17
; Occupancy: 16
; WaveLimiterHint : 0
; COMPUTE_PGM_RSRC2:SCRATCH_EN: 0
; COMPUTE_PGM_RSRC2:USER_SGPR: 6
; COMPUTE_PGM_RSRC2:TRAP_HANDLER: 0
; COMPUTE_PGM_RSRC2:TGID_X_EN: 1
; COMPUTE_PGM_RSRC2:TGID_Y_EN: 1
; COMPUTE_PGM_RSRC2:TGID_Z_EN: 1
; COMPUTE_PGM_RSRC2:TIDIG_COMP_CNT: 0
	.section	.text._ZL15flash_attn_tileILi128ELi128ELi1ELi2ELb0EEvPKcS1_S1_S1_S1_PKiPfP15HIP_vector_typeIfLj2EEffffjfiS5_IjLj3EEiiiiiiiiiiiliiliiiiil,"axG",@progbits,_ZL15flash_attn_tileILi128ELi128ELi1ELi2ELb0EEvPKcS1_S1_S1_S1_PKiPfP15HIP_vector_typeIfLj2EEffffjfiS5_IjLj3EEiiiiiiiiiiiliiliiiiil,comdat
	.globl	_ZL15flash_attn_tileILi128ELi128ELi1ELi2ELb0EEvPKcS1_S1_S1_S1_PKiPfP15HIP_vector_typeIfLj2EEffffjfiS5_IjLj3EEiiiiiiiiiiiliiliiiiil ; -- Begin function _ZL15flash_attn_tileILi128ELi128ELi1ELi2ELb0EEvPKcS1_S1_S1_S1_PKiPfP15HIP_vector_typeIfLj2EEffffjfiS5_IjLj3EEiiiiiiiiiiiliiliiiiil
	.p2align	8
	.type	_ZL15flash_attn_tileILi128ELi128ELi1ELi2ELb0EEvPKcS1_S1_S1_S1_PKiPfP15HIP_vector_typeIfLj2EEffffjfiS5_IjLj3EEiiiiiiiiiiiliiliiiiil,@function
_ZL15flash_attn_tileILi128ELi128ELi1ELi2ELb0EEvPKcS1_S1_S1_S1_PKiPfP15HIP_vector_typeIfLj2EEffffjfiS5_IjLj3EEiiiiiiiiiiiliiliiiiil: ; @_ZL15flash_attn_tileILi128ELi128ELi1ELi2ELb0EEvPKcS1_S1_S1_S1_PKiPfP15HIP_vector_typeIfLj2EEffffjfiS5_IjLj3EEiiiiiiiiiiiliiliiiiil
; %bb.0:
	s_clause 0x1
	s_load_dwordx4 s[24:27], s[4:5], 0x5c
	s_load_dwordx2 s[30:31], s[4:5], 0x80
	s_mov_b32 s28, s7
	s_mov_b64 s[34:35], 0
	s_waitcnt lgkmcnt(0)
	s_lshr_b32 s0, s27, 31
	s_add_i32 s0, s27, s0
	s_ashr_i32 s0, s0, 1
	v_cvt_f32_u32_e32 v2, s0
	s_sub_i32 s2, 0, s0
	v_rcp_iflag_f32_e32 v2, v2
	v_mul_f32_e32 v2, 0x4f7ffffe, v2
	v_cvt_u32_f32_e32 v2, v2
	v_readfirstlane_b32 s1, v2
	s_mul_i32 s2, s2, s1
	s_mul_hi_u32 s2, s1, s2
	s_add_i32 s1, s1, s2
	s_mul_hi_u32 s1, s8, s1
	s_mul_i32 s2, s1, s0
	s_add_i32 s3, s1, 1
	s_sub_i32 s2, s8, s2
	s_sub_i32 s7, s2, s0
	s_cmp_ge_u32 s2, s0
	s_cselect_b32 s1, s3, s1
	s_cselect_b32 s2, s7, s2
	s_add_i32 s3, s1, 1
	s_cmp_ge_u32 s2, s0
	s_cselect_b32 s7, s3, s1
	s_abs_i32 s0, s31
	s_abs_i32 s9, s27
	v_cvt_f32_u32_e32 v2, s0
	s_sub_i32 s2, 0, s0
	s_lshl_b32 s3, s8, 1
	s_mul_i32 s8, s7, s27
	v_rcp_iflag_f32_e32 v2, v2
	s_sub_i32 s29, s3, s8
	v_mul_f32_e32 v2, 0x4f7ffffe, v2
	v_cvt_u32_f32_e32 v2, v2
	v_readfirstlane_b32 s1, v2
	s_mul_i32 s2, s2, s1
	s_mul_hi_u32 s2, s1, s2
	s_add_i32 s1, s1, s2
	s_xor_b32 s2, s27, s31
	s_mul_hi_u32 s1, s9, s1
	s_ashr_i32 s2, s2, 31
	s_mul_i32 s3, s1, s0
	s_add_i32 s8, s1, 1
	s_sub_i32 s3, s9, s3
	s_sub_i32 s9, s3, s0
	s_cmp_ge_u32 s3, s0
	s_cselect_b32 s1, s8, s1
	s_cselect_b32 s3, s9, s3
	s_add_i32 s8, s1, 1
	s_cmp_ge_u32 s3, s0
	s_cselect_b32 s0, s8, s1
	s_clause 0x1
	s_load_dwordx16 s[8:23], s[4:5], 0x0
	s_load_dwordx2 s[36:37], s[4:5], 0xb8
	s_xor_b32 s0, s0, s2
	s_sub_i32 s33, s0, s2
	s_abs_i32 s31, s33
	v_cvt_f32_u32_e32 v2, s31
	v_rcp_iflag_f32_e32 v2, v2
	s_waitcnt lgkmcnt(0)
	s_cmp_eq_u64 s[14:15], 0
	v_mul_f32_e32 v2, 0x4f7ffffe, v2
	v_cvt_u32_f32_e32 v2, v2
	v_readfirstlane_b32 s38, v2
	s_cbranch_scc1 .LBB49_2
; %bb.1:
	s_abs_i32 s2, s36
	s_abs_i32 s3, s7
	v_cvt_f32_u32_e32 v2, s2
	s_sub_i32 s1, 0, s2
	v_rcp_iflag_f32_e32 v2, v2
	v_mul_f32_e32 v2, 0x4f7ffffe, v2
	v_cvt_u32_f32_e32 v2, v2
	v_readfirstlane_b32 s0, v2
	s_mul_i32 s1, s1, s0
	s_mul_hi_u32 s1, s0, s1
	s_add_i32 s0, s0, s1
	s_mul_hi_u32 s34, s3, s0
	s_load_dwordx2 s[0:1], s[4:5], 0xc8
	s_mul_i32 s34, s34, s2
	s_sub_i32 s3, s3, s34
	s_ashr_i32 s34, s7, 31
	s_sub_i32 s35, s3, s2
	s_cmp_ge_u32 s3, s2
	s_cselect_b32 s3, s35, s3
	s_sub_i32 s35, s3, s2
	s_cmp_ge_u32 s3, s2
	s_cselect_b32 s2, s35, s3
	s_xor_b32 s2, s2, s34
	s_sub_i32 s2, s2, s34
	s_ashr_i32 s3, s2, 31
	s_waitcnt lgkmcnt(0)
	s_mul_hi_u32 s34, s0, s2
	s_mul_i32 s3, s0, s3
	s_mul_i32 s1, s1, s2
	s_add_i32 s3, s34, s3
	s_mul_i32 s0, s0, s2
	s_add_i32 s3, s3, s1
	s_add_u32 s34, s14, s0
	s_addc_u32 s35, s15, s3
.LBB49_2:
	v_lshrrev_b32_e32 v2, 1, v1
	s_load_dwordx4 s[0:3], s[4:5], 0x70
	v_and_b32_e32 v28, 1, v1
	v_lshlrev_b32_e32 v8, 4, v0
	v_lshlrev_b32_e32 v29, 3, v0
	v_add_nc_u32_e32 v2, s6, v2
	v_lshl_add_u32 v30, v1, 8, 0x1200
	v_mul_hi_u32 v3, s24, v2
	v_add_nc_u32_e32 v3, v2, v3
	s_waitcnt lgkmcnt(0)
	s_mul_i32 s3, s7, s2
	s_mul_i32 s14, s29, s1
	v_lshrrev_b32_e32 v3, s25, v3
	s_ashr_i32 s15, s3, 31
	s_add_u32 s3, s8, s3
	s_addc_u32 s8, s9, s15
	s_ashr_i32 s9, s14, 31
	v_mul_lo_u32 v3, v3, s26
	s_add_u32 s14, s3, s14
	s_mov_b32 s2, s1
	s_addc_u32 s15, s8, s9
	s_ashr_i32 s3, s1, 31
	s_ashr_i32 s1, s0, 31
	s_lshr_b64 s[8:9], s[0:1], 2
	v_sub_nc_u32_e32 v3, v2, v3
	s_lshr_b32 s1, s1, 2
	s_lshr_b32 s0, s3, 2
	v_mul_lo_u32 v7, s0, v28
	v_mad_u64_u32 v[4:5], null, s8, v3, 0
	s_lshr_b64 s[8:9], s[2:3], 2
	s_load_dword s0, s[4:5], 0x40
	s_cmp_eq_u64 s[18:19], 0
	v_mad_u64_u32 v[5:6], null, s1, v3, v[5:6]
	v_mul_lo_u32 v6, s8, v28
	v_lshlrev_b64 v[4:5], 2, v[4:5]
	v_lshlrev_b64 v[6:7], 2, v[6:7]
	v_add_co_u32 v6, vcc_lo, s14, v6
	v_add_co_ci_u32_e64 v7, null, s15, v7, vcc_lo
	v_add_co_u32 v4, vcc_lo, v6, v4
	v_add_co_ci_u32_e64 v5, null, v7, v5, vcc_lo
	;; [unrolled: 2-line block ×3, first 2 shown]
	v_add_nc_u32_e32 v8, v30, v29
	global_load_dwordx4 v[4:7], v[4:5], off
	s_waitcnt vmcnt(0) lgkmcnt(0)
	v_fma_mixlo_f16 v5, s0, v5, 0
	v_fma_mixlo_f16 v4, s0, v4, 0
	;; [unrolled: 1-line block ×4, first 2 shown]
	v_lshlrev_b32_e32 v5, 16, v5
	v_and_b32_e32 v4, 0xffff, v4
	v_and_b32_e32 v6, 0xffff, v6
	v_lshlrev_b32_e32 v7, 16, v7
	v_or_b32_e32 v4, v5, v4
	v_or3_b32 v5, v7, v6, 0
	v_or3_b32 v4, 0, 0, v4
	ds_write_b64 v8, v[4:5]
	s_waitcnt lgkmcnt(0)
	s_barrier
	buffer_gl0_inv
	s_cbranch_scc1 .LBB49_4
; %bb.3:
	s_load_dword s0, s[4:5], 0xd0
	s_mov_b32 s1, 0
	s_waitcnt lgkmcnt(0)
	s_mul_i32 s0, s0, s7
	s_add_i32 s0, s0, s6
	s_lshl_b64 s[0:1], s[0:1], 2
	s_add_u32 s0, s18, s0
	s_addc_u32 s1, s19, s1
	s_load_dword s30, s[0:1], 0x0
.LBB49_4:
	v_mbcnt_lo_u32_b32 v31, -1, 0
	s_lshl_b32 s14, s28, 5
	s_waitcnt lgkmcnt(0)
	s_cmp_lt_i32 s14, s30
	s_cbranch_scc1 .LBB49_7
; %bb.5:
	v_mbcnt_lo_u32_b32 v4, -1, 0
	v_mov_b32_e32 v32, 32
	v_xor_b32_e32 v37, 16, v4
	v_xor_b32_e32 v36, 8, v4
	;; [unrolled: 1-line block ×5, first 2 shown]
	v_lshlrev_b32_e32 v27, 2, v0
	s_cbranch_execz .LBB49_8
; %bb.6:
	v_mov_b32_e32 v53, 0
	v_mov_b32_e32 v54, 0
	;; [unrolled: 1-line block ×4, first 2 shown]
	s_branch .LBB49_11
.LBB49_7:
                                        ; implicit-def: $vgpr4
                                        ; implicit-def: $vgpr32
                                        ; implicit-def: $vgpr37
                                        ; implicit-def: $vgpr36
                                        ; implicit-def: $vgpr35
                                        ; implicit-def: $vgpr34
                                        ; implicit-def: $vgpr33
	v_lshlrev_b32_e32 v27, 2, v0
.LBB49_8:
	s_clause 0x1
	s_load_dwordx4 s[0:3], s[4:5], 0x98
	s_load_dwordx2 s[8:9], s[4:5], 0x8c
	s_sub_i32 s6, 0, s31
	s_abs_i32 s19, s29
	s_mul_i32 s6, s6, s38
	s_ashr_i32 s36, s29, 31
	s_mul_hi_u32 s6, s38, s6
	s_ashr_i32 s33, s33, 31
	s_add_i32 s38, s38, s6
	s_ashr_i32 s6, s37, 1
	s_mul_hi_u32 s37, s19, s38
	s_ashr_i32 s38, s7, 31
	s_load_dwordx2 s[24:25], s[4:5], 0xa8
	s_mul_i32 s39, s37, s31
	v_lshrrev_b32_e32 v4, 3, v0
	v_and_b32_e32 v11, 28, v27
	v_lshrrev_b32_e32 v8, 4, v0
	v_and_b32_e32 v23, 60, v27
	v_mov_b32_e32 v52, 0
	v_lshl_add_u32 v4, v1, 2, v4
	s_waitcnt lgkmcnt(0)
	s_mul_i32 s40, s0, s38
	s_ashr_i32 s18, s8, 2
	s_mul_hi_u32 s8, s0, s7
	s_mul_i32 s1, s1, s7
	s_add_i32 s8, s8, s40
	s_mul_i32 s0, s0, s7
	s_ashr_i32 s15, s2, 2
	s_add_i32 s8, s8, s1
	s_add_u32 s0, s10, s0
	s_addc_u32 s1, s11, s8
	s_sub_i32 s10, s19, s39
	s_xor_b32 s8, s36, s33
	s_add_i32 s11, s37, 1
	s_sub_i32 s19, s10, s31
	s_cmp_ge_u32 s10, s31
	s_mul_i32 s25, s25, s7
	s_cselect_b32 s11, s11, s37
	s_cselect_b32 s10, s19, s10
	s_add_i32 s19, s11, 1
	s_cmp_ge_u32 s10, s31
	s_mul_i32 s31, s24, s38
	s_cselect_b32 s10, s19, s11
	s_mul_hi_u32 s19, s24, s7
	s_xor_b32 s10, s10, s8
	v_mul_lo_u32 v5, s18, v4
	s_sub_i32 s8, s10, s8
	v_lshlrev_b32_e32 v6, 2, v11
	s_mul_i32 s9, s8, s9
	s_mul_i32 s8, s8, s3
	s_ashr_i32 s11, s9, 31
	s_add_u32 s10, s0, s9
	s_addc_u32 s11, s1, s11
	s_add_i32 s0, s19, s31
	s_mul_i32 s1, s24, s7
	s_add_i32 s0, s0, s25
	s_add_u32 s1, s12, s1
	s_addc_u32 s0, s13, s0
	s_ashr_i32 s3, s8, 31
	s_add_u32 s12, s1, s8
	s_addc_u32 s13, s0, s3
	s_lshl_b32 s0, s18, 3
	v_mad_u32_u24 v38, 0x90, v4, v6
	v_lshl_add_u32 v4, v1, 1, v8
	v_add_nc_u32_e32 v7, s0, v5
	v_lshlrev_b32_e32 v13, 2, v23
	v_lshl_add_u32 v1, v1, 6, 0x1400
	v_ashrrev_i32_e32 v6, 31, v5
	v_mul_lo_u32 v12, s15, v4
	v_add_nc_u32_e32 v9, s0, v7
	v_ashrrev_i32_e32 v8, 31, v7
	v_lshl_or_b32 v43, v4, 8, v13
	v_mad_u64_u32 v[3:4], null, v3, s6, v[0:1]
	v_add_nc_u32_e32 v14, s0, v9
	s_and_b32 s0, s2, -4
	v_ashrrev_i32_e32 v10, 31, v9
	v_add_nc_u32_e32 v16, s0, v12
	v_ashrrev_i32_e32 v13, 31, v12
	v_ashrrev_i32_e32 v15, 31, v14
	v_lshlrev_b64 v[4:5], 2, v[5:6]
	v_lshlrev_b32_e32 v48, 2, v11
	v_add_nc_u32_e32 v18, s0, v16
	v_ashrrev_i32_e32 v17, 31, v16
	v_lshlrev_b64 v[6:7], 2, v[7:8]
	v_lshlrev_b64 v[8:9], 2, v[9:10]
	;; [unrolled: 1-line block ×3, first 2 shown]
	v_add_nc_u32_e32 v21, s0, v18
	v_ashrrev_i32_e32 v19, 31, v18
	v_lshlrev_b64 v[12:13], 2, v[12:13]
	v_lshlrev_b64 v[14:15], 2, v[16:17]
	v_add_nc_u32_e32 v39, 0x480, v38
	v_ashrrev_i32_e32 v22, 31, v21
	v_lshlrev_b64 v[16:17], 2, v[18:19]
	v_add_nc_u32_e32 v40, 0x900, v38
	v_add_nc_u32_e32 v41, 0xd80, v38
	v_mul_u32_u24_e32 v42, 0x90, v0
	v_lshlrev_b64 v[18:19], 2, v[21:22]
	v_lshl_add_u32 v44, v0, 1, v1
	v_add_nc_u32_e32 v45, 0x400, v43
	v_add_nc_u32_e32 v46, 0x800, v43
	;; [unrolled: 1-line block ×3, first 2 shown]
	v_mov_b32_e32 v20, 0xfeffffff
	v_mov_b32_e32 v32, 32
	v_xor_b32_e32 v37, 16, v31
	v_xor_b32_e32 v36, 8, v31
	;; [unrolled: 1-line block ×5, first 2 shown]
	v_lshlrev_b32_e32 v49, 2, v23
	v_mov_b32_e32 v50, 0x10001
	v_add_nc_u32_e32 v51, 0x800, v29
	v_mov_b32_e32 v53, 0
	v_mov_b32_e32 v54, 0
	s_add_u32 s8, s4, 0xd0
	s_addc_u32 s9, s5, 0
.LBB49_9:                               ; =>This Inner Loop Header: Depth=1
	v_cmp_gt_i32_e32 vcc_lo, 32, v37
	s_mul_hi_i32 s1, s14, s18
	s_mul_i32 s0, s14, s18
	s_mul_hi_i32 s3, s14, s15
	s_lshl_b64 s[0:1], s[0:1], 2
	v_cndmask_b32_e32 v22, v31, v37, vcc_lo
	v_cmp_gt_i32_e32 vcc_lo, 32, v36
	s_mul_i32 s2, s14, s15
	s_add_u32 s6, s10, s0
	s_addc_u32 s19, s11, s1
	s_lshl_b64 s[24:25], s[2:3], 2
	v_cndmask_b32_e32 v23, v31, v36, vcc_lo
	v_cmp_gt_i32_e32 vcc_lo, 32, v35
	v_add_co_u32 v63, s2, s6, v4
	v_lshlrev_b32_e32 v61, 2, v22
	v_lshlrev_b32_e32 v60, 2, v23
	v_cndmask_b32_e32 v24, v31, v35, vcc_lo
	v_cmp_gt_i32_e32 vcc_lo, 32, v34
	v_add_co_u32 v23, s0, s6, v8
	v_mov_b32_e32 v55, v20
	v_add_nc_u32_e32 v20, s14, v3
	v_cndmask_b32_e32 v25, v31, v34, vcc_lo
	v_cmp_gt_i32_e32 vcc_lo, 32, v33
	s_add_u32 s3, s12, s24
	v_add_co_ci_u32_e64 v64, null, s19, v5, s2
	v_add_co_ci_u32_e64 v66, null, s19, v9, s0
	v_cndmask_b32_e32 v26, v31, v33, vcc_lo
	v_add_co_u32 v22, vcc_lo, s6, v6
	v_add_co_ci_u32_e64 v65, null, s19, v7, vcc_lo
	v_lshlrev_b32_e32 v57, 2, v26
	v_add_co_u32 v26, s1, s6, v10
	v_add_co_ci_u32_e64 v72, null, s19, v11, s1
	s_addc_u32 s19, s13, s25
	s_or_b32 s6, s14, 16
	v_add_co_u32 v76, vcc_lo, s3, v12
	s_mul_hi_i32 s25, s6, s15
	s_mul_i32 s24, s6, s15
	v_add_co_u32 v73, s6, v63, v48
	v_add_co_ci_u32_e64 v80, null, s19, v13, vcc_lo
	v_add_co_u32 v67, vcc_lo, v22, v48
	v_ashrrev_i32_e32 v21, 31, v20
	v_add_co_ci_u32_e64 v74, null, 0, v64, s6
	v_add_co_u32 v75, s0, s3, v14
	v_add_co_ci_u32_e64 v68, null, 0, v65, vcc_lo
	v_add_co_ci_u32_e64 v83, null, s19, v15, s0
	v_add_co_u32 v69, s0, v23, v48
	v_lshlrev_b32_e32 v59, 2, v24
	v_lshlrev_b32_e32 v58, 2, v25
	v_lshlrev_b64 v[24:25], 1, v[20:21]
	v_add_co_ci_u32_e64 v70, null, 0, v66, s0
	s_clause 0x1
	global_load_dwordx4 v[20:23], v[73:74], off
	global_load_dwordx4 v[63:66], v[67:68], off
	v_add_co_u32 v77, s1, s3, v16
	v_add_co_u32 v78, s2, s3, v18
	;; [unrolled: 1-line block ×3, first 2 shown]
	v_add_co_ci_u32_e64 v72, null, 0, v72, s3
	v_mov_b32_e32 v56, 0
	v_add_co_u32 v77, s0, v77, v49
	v_add_co_u32 v75, vcc_lo, v75, v49
	v_max_f32_e32 v62, v55, v55
	s_waitcnt vmcnt(1)
	ds_write_b128 v38, v[20:23]
	global_load_dwordx4 v[20:23], v[69:70], off
	s_waitcnt vmcnt(1)
	ds_write_b128 v39, v[63:66]
	global_load_dwordx4 v[63:66], v[71:72], off
	s_waitcnt vmcnt(1)
	ds_write_b128 v40, v[20:23]
	s_waitcnt vmcnt(0)
	ds_write_b128 v41, v[63:66]
	s_waitcnt lgkmcnt(0)
	s_barrier
	buffer_gl0_inv
	ds_read_b128 v[20:23], v42
	ds_read_b128 v[63:66], v30
	s_waitcnt lgkmcnt(0)
	;;#ASMSTART
	v_dot2_f32_f16 v56, v20, v63, v56
	;;#ASMEND
	;;#ASMSTART
	v_dot2_f32_f16 v56, v21, v64, v56
	;;#ASMEND
	;;#ASMSTART
	v_dot2_f32_f16 v56, v22, v65, v56
	;;#ASMEND
	;;#ASMSTART
	v_dot2_f32_f16 v56, v23, v66, v56
	;;#ASMEND
	ds_read_b128 v[20:23], v42 offset:16
	ds_read_b128 v[63:66], v30 offset:16
	s_waitcnt lgkmcnt(0)
	;;#ASMSTART
	v_dot2_f32_f16 v56, v20, v63, v56
	;;#ASMEND
	;;#ASMSTART
	v_dot2_f32_f16 v56, v21, v64, v56
	;;#ASMEND
	;;#ASMSTART
	v_dot2_f32_f16 v56, v22, v65, v56
	;;#ASMEND
	;;#ASMSTART
	v_dot2_f32_f16 v56, v23, v66, v56
	;;#ASMEND
	ds_read_b128 v[20:23], v42 offset:32
	ds_read_b128 v[63:66], v30 offset:32
	;; [unrolled: 15-line block ×7, first 2 shown]
	s_waitcnt lgkmcnt(0)
	;;#ASMSTART
	v_dot2_f32_f16 v56, v20, v63, v56
	;;#ASMEND
	;;#ASMSTART
	v_dot2_f32_f16 v56, v21, v64, v56
	;;#ASMEND
	v_add_co_ci_u32_e64 v20, null, s19, v17, s1
	v_add_co_ci_u32_e64 v21, null, s19, v19, s2
	s_lshl_b64 s[2:3], s[24:25], 2
	v_add_co_u32 v79, s1, v78, v49
	s_add_u32 s6, s12, s2
	v_add_co_u32 v81, s2, v76, v49
	;;#ASMSTART
	v_dot2_f32_f16 v56, v22, v65, v56
	;;#ASMEND
	;;#ASMSTART
	v_dot2_f32_f16 v56, v23, v66, v56
	;;#ASMEND
	v_add_co_ci_u32_e64 v82, null, 0, v80, s2
	v_add_co_ci_u32_e64 v78, null, 0, v20, s0
	;; [unrolled: 1-line block ×3, first 2 shown]
	s_barrier
	buffer_gl0_inv
	s_clause 0x1
	global_load_dwordx4 v[20:23], v[73:74], off offset:128
	global_load_dwordx4 v[63:66], v[67:68], off offset:128
	s_addc_u32 s3, s13, s3
	v_add_co_ci_u32_e64 v76, null, 0, v83, vcc_lo
	v_add_co_u32 v83, s0, s6, v16
	v_add_co_u32 v67, s2, s34, v24
	v_add_co_ci_u32_e64 v68, null, s35, v25, s2
	v_add_co_u32 v24, s2, s6, v12
	v_add_co_ci_u32_e64 v74, null, s3, v13, s2
	v_add_co_u32 v73, s1, s6, v18
	v_add_co_u32 v26, vcc_lo, s6, v14
	v_add_co_ci_u32_e64 v85, null, s3, v15, vcc_lo
	v_add_co_u32 v25, vcc_lo, v26, v49
	v_add_co_ci_u32_e64 v26, null, 0, v85, vcc_lo
	s_waitcnt vmcnt(1)
	ds_write_b128 v38, v[20:23]
	s_waitcnt vmcnt(0)
	ds_write_b128 v39, v[63:66]
	s_clause 0x1
	global_load_dwordx4 v[20:23], v[69:70], off offset:128
	global_load_dwordx4 v[63:66], v[71:72], off offset:128
	s_waitcnt vmcnt(1)
	ds_write_b128 v40, v[20:23]
	s_waitcnt vmcnt(0)
	ds_write_b128 v41, v[63:66]
	s_waitcnt lgkmcnt(0)
	s_barrier
	buffer_gl0_inv
	ds_read_b128 v[20:23], v42
	ds_read_b128 v[63:66], v30 offset:128
	s_waitcnt lgkmcnt(0)
	;;#ASMSTART
	v_dot2_f32_f16 v56, v20, v63, v56
	;;#ASMEND
	;;#ASMSTART
	v_dot2_f32_f16 v56, v21, v64, v56
	;;#ASMEND
	;;#ASMSTART
	v_dot2_f32_f16 v56, v22, v65, v56
	;;#ASMEND
	;;#ASMSTART
	v_dot2_f32_f16 v56, v23, v66, v56
	;;#ASMEND
	ds_read_b128 v[20:23], v42 offset:16
	ds_read_b128 v[63:66], v30 offset:144
	s_waitcnt lgkmcnt(0)
	;;#ASMSTART
	v_dot2_f32_f16 v56, v20, v63, v56
	;;#ASMEND
	;;#ASMSTART
	v_dot2_f32_f16 v56, v21, v64, v56
	;;#ASMEND
	;;#ASMSTART
	v_dot2_f32_f16 v56, v22, v65, v56
	;;#ASMEND
	;;#ASMSTART
	v_dot2_f32_f16 v56, v23, v66, v56
	;;#ASMEND
	ds_read_b128 v[20:23], v42 offset:32
	;; [unrolled: 15-line block ×7, first 2 shown]
	ds_read_b128 v[63:66], v30 offset:240
	s_waitcnt lgkmcnt(0)
	;;#ASMSTART
	v_dot2_f32_f16 v56, v20, v63, v56
	;;#ASMEND
	v_add_co_ci_u32_e64 v20, null, s3, v17, s0
	;;#ASMSTART
	v_dot2_f32_f16 v56, v21, v64, v56
	;;#ASMEND
	;;#ASMSTART
	v_dot2_f32_f16 v56, v22, v65, v56
	;;#ASMEND
	;;#ASMSTART
	v_dot2_f32_f16 v56, v23, v66, v56
	;;#ASMEND
	v_add_co_u32 v23, s0, v83, v49
	v_add_co_u32 v83, s2, v24, v49
	v_add_co_ci_u32_e64 v24, null, 0, v20, s0
	global_load_ushort v20, v[67:68], off
	v_add_co_ci_u32_e64 v22, null, s3, v19, s1
	v_add_co_u32 v21, s1, v73, v49
	v_add_co_ci_u32_e64 v84, null, 0, v74, s2
	s_waitcnt vmcnt(0)
	s_barrier
	buffer_gl0_inv
	s_clause 0x2
	global_load_dwordx4 v[63:66], v[81:82], off
	global_load_dwordx4 v[67:70], v[75:76], off
	;; [unrolled: 1-line block ×3, first 2 shown]
	v_add_co_ci_u32_e64 v22, null, 0, v22, s1
	v_mov_b32_e32 v81, v54
	v_cvt_f32_f16_e32 v20, v20
	v_add_f32_e32 v56, v56, v20
	v_add_f32_e32 v20, 0x40051340, v56
	v_max_f32_e32 v20, v62, v20
	ds_bpermute_b32 v61, v61, v20
	s_waitcnt lgkmcnt(0)
	v_max_f32_e32 v61, v61, v61
	v_max_f32_e32 v20, v20, v61
	ds_bpermute_b32 v60, v60, v20
	s_waitcnt lgkmcnt(0)
	v_max_f32_e32 v60, v60, v60
	;; [unrolled: 4-line block ×5, first 2 shown]
	v_max_f32_e32 v20, v20, v57
	v_sub_f32_e32 v56, v56, v20
	v_sub_f32_e32 v55, v55, v20
	v_mul_f32_e32 v57, 0x3fb8aa3b, v56
	v_mul_f32_e32 v58, 0x3fb8aa3b, v55
	v_cmp_ngt_f32_e64 s0, 0xc2ce8ed0, v56
	v_cmp_ngt_f32_e32 vcc_lo, 0xc2ce8ed0, v55
	v_fma_f32 v59, 0x3fb8aa3b, v56, -v57
	v_rndne_f32_e32 v61, v57
	v_fma_f32 v60, 0x3fb8aa3b, v55, -v58
	v_rndne_f32_e32 v62, v58
	v_fmac_f32_e32 v59, 0x32a5705f, v56
	v_sub_f32_e32 v57, v57, v61
	v_fmac_f32_e32 v60, 0x32a5705f, v55
	v_sub_f32_e32 v58, v58, v62
	v_cvt_i32_f32_e32 v61, v61
	v_cvt_i32_f32_e32 v62, v62
	v_add_f32_e32 v75, v57, v59
	v_add_f32_e32 v76, v58, v60
	global_load_dwordx4 v[57:60], v[79:80], off
	v_exp_f32_e32 v75, v75
	v_exp_f32_e32 v76, v76
	v_ldexp_f32 v61, v75, v61
	v_ldexp_f32 v62, v76, v62
	v_cndmask_b32_e64 v61, 0, v61, s0
	v_cmp_nlt_f32_e64 s0, 0x42b17218, v56
	v_cndmask_b32_e32 v62, 0, v62, vcc_lo
	v_cmp_nlt_f32_e32 vcc_lo, 0x42b17218, v55
	v_cndmask_b32_e64 v55, 0x7f800000, v61, s0
	v_cndmask_b32_e32 v56, 0x7f800000, v62, vcc_lo
	v_cvt_f16_f32_e32 v61, v55
	ds_write_b16 v44, v61
	s_waitcnt vmcnt(3)
	ds_write_b128 v43, v[63:66]
	s_waitcnt vmcnt(2)
	ds_write_b128 v45, v[67:70]
	;; [unrolled: 2-line block ×4, first 2 shown]
	s_waitcnt lgkmcnt(0)
	s_barrier
	buffer_gl0_inv
	ds_read_b128 v[57:60], v1
	ds_read2_b64 v[61:64], v29 offset1:32
	v_cvt_f16_f32_e32 v75, v56
	ds_read2_b64 v[65:68], v29 offset0:64 offset1:96
	ds_read_b128 v[69:72], v1 offset:16
	v_mul_u32_u24_sdwa v73, v75, v50 dst_sel:DWORD dst_unused:UNUSED_PAD src0_sel:WORD_0 src1_sel:DWORD
	s_waitcnt lgkmcnt(3)
	v_mul_u32_u24_sdwa v74, v57, v50 dst_sel:DWORD dst_unused:UNUSED_PAD src0_sel:WORD_0 src1_sel:DWORD
	v_mul_u32_u24_sdwa v57, v57, v50 dst_sel:DWORD dst_unused:UNUSED_PAD src0_sel:WORD_1 src1_sel:DWORD
	v_mul_u32_u24_sdwa v75, v60, v50 dst_sel:DWORD dst_unused:UNUSED_PAD src0_sel:WORD_0 src1_sel:DWORD
	v_mul_u32_u24_sdwa v76, v60, v50 dst_sel:DWORD dst_unused:UNUSED_PAD src0_sel:WORD_1 src1_sel:DWORD
	s_waitcnt lgkmcnt(0)
	v_mul_u32_u24_sdwa v77, v71, v50 dst_sel:DWORD dst_unused:UNUSED_PAD src0_sel:WORD_0 src1_sel:DWORD
	v_pk_mul_f16 v61, v61, v74
	v_pk_mul_f16 v62, v62, v74
	v_mul_u32_u24_sdwa v74, v59, v50 dst_sel:DWORD dst_unused:UNUSED_PAD src0_sel:WORD_1 src1_sel:DWORD
	v_mul_u32_u24_sdwa v78, v71, v50 dst_sel:DWORD dst_unused:UNUSED_PAD src0_sel:WORD_1 src1_sel:DWORD
	v_mul_u32_u24_sdwa v79, v72, v50 dst_sel:DWORD dst_unused:UNUSED_PAD src0_sel:WORD_0 src1_sel:DWORD
	v_pk_fma_f16 v52, v52, v73, v61
	v_pk_fma_f16 v53, v53, v73, v62
	v_mul_u32_u24_sdwa v73, v59, v50 dst_sel:DWORD dst_unused:UNUSED_PAD src0_sel:WORD_0 src1_sel:DWORD
	v_mul_u32_u24_sdwa v80, v72, v50 dst_sel:DWORD dst_unused:UNUSED_PAD src0_sel:WORD_1 src1_sel:DWORD
	v_pk_fma_f16 v52, v63, v57, v52
	v_pk_fma_f16 v53, v64, v57, v53
	ds_read2_b64 v[61:64], v29 offset0:128 offset1:160
	v_mul_u32_u24_sdwa v57, v58, v50 dst_sel:DWORD dst_unused:UNUSED_PAD src0_sel:WORD_0 src1_sel:DWORD
	v_mul_u32_u24_sdwa v58, v58, v50 dst_sel:DWORD dst_unused:UNUSED_PAD src0_sel:WORD_1 src1_sel:DWORD
	v_pk_fma_f16 v52, v65, v57, v52
	v_pk_fma_f16 v53, v66, v57, v53
	;; [unrolled: 1-line block ×4, first 2 shown]
	ds_read2_b64 v[65:68], v29 offset0:192 offset1:224
	ds_read2_b64 v[57:60], v51 offset1:32
	s_waitcnt lgkmcnt(2)
	v_pk_fma_f16 v52, v61, v73, v52
	v_pk_fma_f16 v53, v62, v73, v53
	v_mul_u32_u24_sdwa v73, v69, v50 dst_sel:DWORD dst_unused:UNUSED_PAD src0_sel:WORD_0 src1_sel:DWORD
	v_mul_u32_u24_sdwa v69, v69, v50 dst_sel:DWORD dst_unused:UNUSED_PAD src0_sel:WORD_1 src1_sel:DWORD
	v_pk_fma_f16 v52, v63, v74, v52
	v_pk_fma_f16 v53, v64, v74, v53
	ds_read2_b64 v[61:64], v51 offset0:64 offset1:96
	s_waitcnt lgkmcnt(2)
	v_pk_fma_f16 v52, v65, v75, v52
	v_pk_fma_f16 v53, v66, v75, v53
	;; [unrolled: 1-line block ×4, first 2 shown]
	ds_read2_b64 v[65:68], v51 offset0:128 offset1:160
	s_waitcnt lgkmcnt(2)
	v_pk_fma_f16 v52, v57, v73, v52
	v_pk_fma_f16 v53, v58, v73, v53
	;; [unrolled: 1-line block ×4, first 2 shown]
	v_mul_u32_u24_sdwa v69, v70, v50 dst_sel:DWORD dst_unused:UNUSED_PAD src0_sel:WORD_0 src1_sel:DWORD
	v_mul_u32_u24_sdwa v70, v70, v50 dst_sel:DWORD dst_unused:UNUSED_PAD src0_sel:WORD_1 src1_sel:DWORD
	ds_read2_b64 v[57:60], v51 offset0:192 offset1:224
	s_waitcnt lgkmcnt(0)
	s_barrier
	v_pk_fma_f16 v52, v61, v69, v52
	v_pk_fma_f16 v53, v62, v69, v53
	buffer_gl0_inv
	global_load_dwordx4 v[73:76], v[83:84], off
	v_pk_fma_f16 v52, v63, v70, v52
	v_pk_fma_f16 v53, v64, v70, v53
	s_clause 0x2
	global_load_dwordx4 v[61:64], v[25:26], off
	global_load_dwordx4 v[23:26], v[23:24], off
	;; [unrolled: 1-line block ×3, first 2 shown]
	s_waitcnt vmcnt(3)
	ds_write_b128 v43, v[73:76]
	s_waitcnt vmcnt(2)
	ds_write_b128 v45, v[61:64]
	;; [unrolled: 2-line block ×4, first 2 shown]
	v_pk_fma_f16 v21, v65, v77, v52
	v_pk_fma_f16 v22, v66, v77, v53
	s_waitcnt lgkmcnt(0)
	s_barrier
	buffer_gl0_inv
	v_pk_fma_f16 v21, v67, v78, v21
	v_pk_fma_f16 v22, v68, v78, v22
	;; [unrolled: 1-line block ×6, first 2 shown]
	ds_read_b128 v[21:24], v1 offset:32
	ds_read2_b64 v[57:60], v29 offset1:32
	ds_read_b128 v[61:64], v1 offset:48
	ds_read2_b64 v[65:68], v29 offset0:64 offset1:96
	ds_read2_b64 v[69:72], v29 offset0:128 offset1:160
	;; [unrolled: 1-line block ×3, first 2 shown]
	s_waitcnt lgkmcnt(5)
	v_mul_u32_u24_sdwa v25, v21, v50 dst_sel:DWORD dst_unused:UNUSED_PAD src0_sel:WORD_0 src1_sel:DWORD
	v_mul_u32_u24_sdwa v21, v21, v50 dst_sel:DWORD dst_unused:UNUSED_PAD src0_sel:WORD_1 src1_sel:DWORD
	v_mul_u32_u24_sdwa v54, v24, v50 dst_sel:DWORD dst_unused:UNUSED_PAD src0_sel:WORD_0 src1_sel:DWORD
	v_mul_u32_u24_sdwa v77, v24, v50 dst_sel:DWORD dst_unused:UNUSED_PAD src0_sel:WORD_1 src1_sel:DWORD
	s_waitcnt lgkmcnt(4)
	v_pk_fma_f16 v26, v57, v25, v52
	v_pk_fma_f16 v25, v58, v25, v53
	v_mul_u32_u24_sdwa v52, v23, v50 dst_sel:DWORD dst_unused:UNUSED_PAD src0_sel:WORD_0 src1_sel:DWORD
	v_mul_u32_u24_sdwa v53, v23, v50 dst_sel:DWORD dst_unused:UNUSED_PAD src0_sel:WORD_1 src1_sel:DWORD
	v_pk_fma_f16 v26, v59, v21, v26
	v_pk_fma_f16 v21, v60, v21, v25
	v_mul_u32_u24_sdwa v25, v22, v50 dst_sel:DWORD dst_unused:UNUSED_PAD src0_sel:WORD_0 src1_sel:DWORD
	v_mul_u32_u24_sdwa v22, v22, v50 dst_sel:DWORD dst_unused:UNUSED_PAD src0_sel:WORD_1 src1_sel:DWORD
	ds_read2_b64 v[57:60], v51 offset1:32
	s_waitcnt lgkmcnt(3)
	v_pk_fma_f16 v26, v65, v25, v26
	v_pk_fma_f16 v21, v66, v25, v21
	;; [unrolled: 1-line block ×4, first 2 shown]
	ds_read2_b64 v[65:68], v51 offset0:64 offset1:96
	ds_read2_b64 v[21:24], v51 offset0:128 offset1:160
	s_waitcnt lgkmcnt(4)
	v_pk_fma_f16 v25, v69, v52, v25
	v_pk_fma_f16 v26, v70, v52, v26
	v_mul_u32_u24_sdwa v52, v61, v50 dst_sel:DWORD dst_unused:UNUSED_PAD src0_sel:WORD_0 src1_sel:DWORD
	v_pk_fma_f16 v25, v71, v53, v25
	v_pk_fma_f16 v26, v72, v53, v26
	v_mul_u32_u24_sdwa v53, v61, v50 dst_sel:DWORD dst_unused:UNUSED_PAD src0_sel:WORD_1 src1_sel:DWORD
	ds_read2_b64 v[69:72], v51 offset0:192 offset1:224
	v_mul_u32_u24_sdwa v61, v62, v50 dst_sel:DWORD dst_unused:UNUSED_PAD src0_sel:WORD_1 src1_sel:DWORD
	s_waitcnt lgkmcnt(4)
	v_pk_fma_f16 v25, v73, v54, v25
	v_pk_fma_f16 v26, v74, v54, v26
	v_mul_u32_u24_sdwa v54, v62, v50 dst_sel:DWORD dst_unused:UNUSED_PAD src0_sel:WORD_0 src1_sel:DWORD
	s_waitcnt lgkmcnt(0)
	s_barrier
	v_pk_fma_f16 v25, v75, v77, v25
	v_pk_fma_f16 v26, v76, v77, v26
	buffer_gl0_inv
	s_load_dword s0, s[8:9], 0x4
	v_mul_u32_u24_sdwa v62, v63, v50 dst_sel:DWORD dst_unused:UNUSED_PAD src0_sel:WORD_0 src1_sel:DWORD
	v_pk_fma_f16 v25, v57, v52, v25
	v_pk_fma_f16 v26, v58, v52, v26
	v_mul_u32_u24_sdwa v63, v63, v50 dst_sel:DWORD dst_unused:UNUSED_PAD src0_sel:WORD_1 src1_sel:DWORD
	v_mul_u32_u24_sdwa v73, v64, v50 dst_sel:DWORD dst_unused:UNUSED_PAD src0_sel:WORD_0 src1_sel:DWORD
	v_pk_fma_f16 v25, v59, v53, v25
	v_pk_fma_f16 v26, v60, v53, v26
	;; [unrolled: 1-line block ×4, first 2 shown]
	v_mov_b32_e32 v54, v55
	v_pk_fma_f16 v25, v67, v61, v25
	v_pk_fma_f16 v26, v68, v61, v26
	v_fmac_f32_e32 v54, v81, v56
	s_waitcnt lgkmcnt(0)
	s_lshl_b32 s0, s0, 5
	v_pk_fma_f16 v21, v21, v62, v25
	v_pk_fma_f16 v22, v22, v62, v26
	s_add_i32 s14, s0, s14
	s_cmp_ge_i32 s14, s30
	v_pk_fma_f16 v21, v23, v63, v21
	v_pk_fma_f16 v22, v24, v63, v22
	v_mul_u32_u24_sdwa v23, v64, v50 dst_sel:DWORD dst_unused:UNUSED_PAD src0_sel:WORD_1 src1_sel:DWORD
	v_pk_fma_f16 v21, v69, v73, v21
	v_pk_fma_f16 v22, v70, v73, v22
	;; [unrolled: 1-line block ×4, first 2 shown]
	s_cbranch_scc0 .LBB49_9
; %bb.10:
	v_mov_b32_e32 v4, v31
.LBB49_11:
	v_cmp_lt_i32_e32 vcc_lo, v37, v32
	s_cmp_lg_u64 s[16:17], 0
	s_cselect_b32 s0, -1, 0
	s_cmp_eq_u32 s28, 0
	v_cndmask_b32_e32 v1, v4, v37, vcc_lo
	v_cmp_lt_i32_e32 vcc_lo, v36, v32
	s_cselect_b32 s1, -1, 0
	s_and_b32 s0, s1, s0
	v_lshlrev_b32_e32 v1, 2, v1
	v_cndmask_b32_e32 v3, v4, v36, vcc_lo
	v_cmp_lt_i32_e32 vcc_lo, v35, v32
	ds_bpermute_b32 v1, v1, v54
	v_lshlrev_b32_e32 v3, 2, v3
	v_cndmask_b32_e32 v5, v4, v35, vcc_lo
	v_cmp_lt_i32_e32 vcc_lo, v34, v32
	v_lshlrev_b32_e32 v5, 2, v5
	s_waitcnt lgkmcnt(0)
	v_add_f32_e32 v1, v54, v1
	ds_bpermute_b32 v3, v3, v1
	s_waitcnt lgkmcnt(0)
	v_add_f32_e32 v1, v1, v3
	ds_bpermute_b32 v3, v5, v1
	v_cndmask_b32_e32 v5, v4, v34, vcc_lo
	v_cmp_lt_i32_e32 vcc_lo, v33, v32
	v_lshlrev_b32_e32 v5, 2, v5
	v_cndmask_b32_e32 v4, v4, v33, vcc_lo
	s_and_b32 vcc_lo, exec_lo, s0
	v_lshlrev_b32_e32 v4, 2, v4
	s_waitcnt lgkmcnt(0)
	v_add_f32_e32 v1, v1, v3
	ds_bpermute_b32 v3, v5, v1
	s_waitcnt lgkmcnt(0)
	v_add_f32_e32 v1, v1, v3
	v_add_nc_u32_e32 v3, s29, v28
	ds_bpermute_b32 v4, v4, v1
	s_waitcnt lgkmcnt(0)
	v_add_f32_e32 v21, v1, v4
	s_cbranch_vccz .LBB49_13
; %bb.12:
	v_ashrrev_i32_e32 v4, 31, v3
	v_lshlrev_b64 v[4:5], 2, v[3:4]
	v_add_co_u32 v4, vcc_lo, s16, v4
	v_add_co_ci_u32_e64 v5, null, s17, v5, vcc_lo
	global_load_dword v1, v[4:5], off
	v_max_f32_e32 v4, v20, v20
	s_waitcnt vmcnt(0)
	v_max_f32_e32 v5, v1, v1
	v_max_f32_e32 v4, v4, v5
	v_sub_f32_e32 v5, v20, v4
	v_sub_f32_e32 v1, v1, v4
	v_mov_b32_e32 v20, v4
	v_mul_f32_e32 v6, 0x3fb8aa3b, v5
	v_mul_f32_e32 v7, 0x3fb8aa3b, v1
	v_cmp_ngt_f32_e32 vcc_lo, 0xc2ce8ed0, v5
	v_fma_f32 v8, 0x3fb8aa3b, v5, -v6
	v_rndne_f32_e32 v9, v6
	v_fma_f32 v10, 0x3fb8aa3b, v1, -v7
	v_rndne_f32_e32 v11, v7
	v_fmac_f32_e32 v8, 0x32a5705f, v5
	v_sub_f32_e32 v6, v6, v9
	v_fmac_f32_e32 v10, 0x32a5705f, v1
	v_sub_f32_e32 v7, v7, v11
	v_add_f32_e32 v6, v6, v8
	v_cvt_i32_f32_e32 v8, v9
	v_add_f32_e32 v7, v7, v10
	v_cvt_i32_f32_e32 v9, v11
	v_exp_f32_e32 v6, v6
	v_exp_f32_e32 v7, v7
	v_ldexp_f32 v6, v6, v8
	v_ldexp_f32 v7, v7, v9
	v_cndmask_b32_e32 v6, 0, v6, vcc_lo
	v_cmp_ngt_f32_e32 vcc_lo, 0xc2ce8ed0, v1
	v_cndmask_b32_e32 v7, 0, v7, vcc_lo
	v_cmp_nlt_f32_e32 vcc_lo, 0x42b17218, v5
	v_cndmask_b32_e32 v5, 0x7f800000, v6, vcc_lo
	v_cmp_nlt_f32_e32 vcc_lo, 0x42b17218, v1
	v_mov_b32_e32 v6, 0x10001
	v_cndmask_b32_e32 v1, 0x7f800000, v7, vcc_lo
	v_cvt_f16_f32_e32 v7, v5
	v_fmac_f32_e32 v1, v21, v5
	v_mul_u32_u24_sdwa v5, v7, v6 dst_sel:DWORD dst_unused:UNUSED_PAD src0_sel:WORD_0 src1_sel:DWORD
	v_mov_b32_e32 v21, v1
	v_pk_mul_f16 v52, v52, v5
	v_pk_mul_f16 v53, v53, v5
.LBB49_13:
	v_div_scale_f32 v4, null, v21, v21, 1.0
	v_div_scale_f32 v6, vcc_lo, 1.0, v21, 1.0
	s_load_dword s0, s[4:5], 0xd4
	v_rcp_f32_e32 v5, v4
	v_cvt_f32_f16_sdwa v9, v53 dst_sel:DWORD dst_unused:UNUSED_PAD src0_sel:WORD_1
	v_fma_f32 v1, -v4, v5, 1.0
	v_fmac_f32_e32 v5, v1, v5
	v_mad_u64_u32 v[1:2], null, s7, s26, v[2:3]
	s_waitcnt lgkmcnt(0)
	s_cmp_lg_u32 s0, 1
	v_mul_f32_e32 v7, v6, v5
	s_cselect_b32 s1, -1, 0
	v_mad_u64_u32 v[1:2], null, v1, s27, v[3:4]
	v_fma_f32 v8, -v4, v7, v6
	v_fmac_f32_e32 v7, v8, v5
	v_mad_u64_u32 v[1:2], null, s0, v1, s[28:29]
	v_cvt_f32_f16_e32 v8, v53
	v_fma_f32 v3, -v4, v7, v6
	v_cvt_f32_f16_e32 v4, v52
	v_div_fmas_f32 v2, v3, v5, v7
	v_mov_b32_e32 v3, 0
	v_cmp_eq_u32_e32 vcc_lo, 0, v0
	v_cvt_f32_f16_sdwa v5, v52 dst_sel:DWORD dst_unused:UNUSED_PAD src0_sel:WORD_1
	v_div_fixup_f32 v0, v2, v21, 1.0
	v_lshl_add_u32 v2, v1, 7, v27
	v_cndmask_b32_e64 v0, v0, 1.0, s1
	v_lshlrev_b64 v[6:7], 2, v[2:3]
	v_mul_f32_e32 v2, v0, v4
	v_mul_f32_e32 v3, v0, v5
	v_add_co_u32 v6, s0, s20, v6
	v_mul_f32_e32 v4, v0, v8
	v_mul_f32_e32 v5, v0, v9
	v_add_co_ci_u32_e64 v7, null, s21, v7, s0
	s_and_b32 s0, vcc_lo, s1
	global_store_dwordx4 v[6:7], v[2:5], off
	s_and_saveexec_b32 s1, s0
	s_cbranch_execz .LBB49_15
; %bb.14:
	v_ashrrev_i32_e32 v2, 31, v1
	v_lshlrev_b64 v[0:1], 3, v[1:2]
	v_add_co_u32 v0, vcc_lo, s22, v0
	v_add_co_ci_u32_e64 v1, null, s23, v1, vcc_lo
	global_store_dwordx2 v[0:1], v[20:21], off
.LBB49_15:
	s_endpgm
	.section	.rodata,"a",@progbits
	.p2align	6, 0x0
	.amdhsa_kernel _ZL15flash_attn_tileILi128ELi128ELi1ELi2ELb0EEvPKcS1_S1_S1_S1_PKiPfP15HIP_vector_typeIfLj2EEffffjfiS5_IjLj3EEiiiiiiiiiiiliiliiiiil
		.amdhsa_group_segment_fixed_size 5248
		.amdhsa_private_segment_fixed_size 0
		.amdhsa_kernarg_size 464
		.amdhsa_user_sgpr_count 6
		.amdhsa_user_sgpr_private_segment_buffer 1
		.amdhsa_user_sgpr_dispatch_ptr 0
		.amdhsa_user_sgpr_queue_ptr 0
		.amdhsa_user_sgpr_kernarg_segment_ptr 1
		.amdhsa_user_sgpr_dispatch_id 0
		.amdhsa_user_sgpr_flat_scratch_init 0
		.amdhsa_user_sgpr_private_segment_size 0
		.amdhsa_wavefront_size32 1
		.amdhsa_uses_dynamic_stack 0
		.amdhsa_system_sgpr_private_segment_wavefront_offset 0
		.amdhsa_system_sgpr_workgroup_id_x 1
		.amdhsa_system_sgpr_workgroup_id_y 1
		.amdhsa_system_sgpr_workgroup_id_z 1
		.amdhsa_system_sgpr_workgroup_info 0
		.amdhsa_system_vgpr_workitem_id 1
		.amdhsa_next_free_vgpr 86
		.amdhsa_next_free_sgpr 41
		.amdhsa_reserve_vcc 1
		.amdhsa_reserve_flat_scratch 0
		.amdhsa_float_round_mode_32 0
		.amdhsa_float_round_mode_16_64 0
		.amdhsa_float_denorm_mode_32 3
		.amdhsa_float_denorm_mode_16_64 3
		.amdhsa_dx10_clamp 1
		.amdhsa_ieee_mode 1
		.amdhsa_fp16_overflow 0
		.amdhsa_workgroup_processor_mode 1
		.amdhsa_memory_ordered 1
		.amdhsa_forward_progress 1
		.amdhsa_shared_vgpr_count 0
		.amdhsa_exception_fp_ieee_invalid_op 0
		.amdhsa_exception_fp_denorm_src 0
		.amdhsa_exception_fp_ieee_div_zero 0
		.amdhsa_exception_fp_ieee_overflow 0
		.amdhsa_exception_fp_ieee_underflow 0
		.amdhsa_exception_fp_ieee_inexact 0
		.amdhsa_exception_int_div_zero 0
	.end_amdhsa_kernel
	.section	.text._ZL15flash_attn_tileILi128ELi128ELi1ELi2ELb0EEvPKcS1_S1_S1_S1_PKiPfP15HIP_vector_typeIfLj2EEffffjfiS5_IjLj3EEiiiiiiiiiiiliiliiiiil,"axG",@progbits,_ZL15flash_attn_tileILi128ELi128ELi1ELi2ELb0EEvPKcS1_S1_S1_S1_PKiPfP15HIP_vector_typeIfLj2EEffffjfiS5_IjLj3EEiiiiiiiiiiiliiliiiiil,comdat
.Lfunc_end49:
	.size	_ZL15flash_attn_tileILi128ELi128ELi1ELi2ELb0EEvPKcS1_S1_S1_S1_PKiPfP15HIP_vector_typeIfLj2EEffffjfiS5_IjLj3EEiiiiiiiiiiiliiliiiiil, .Lfunc_end49-_ZL15flash_attn_tileILi128ELi128ELi1ELi2ELb0EEvPKcS1_S1_S1_S1_PKiPfP15HIP_vector_typeIfLj2EEffffjfiS5_IjLj3EEiiiiiiiiiiiliiliiiiil
                                        ; -- End function
	.set _ZL15flash_attn_tileILi128ELi128ELi1ELi2ELb0EEvPKcS1_S1_S1_S1_PKiPfP15HIP_vector_typeIfLj2EEffffjfiS5_IjLj3EEiiiiiiiiiiiliiliiiiil.num_vgpr, 86
	.set _ZL15flash_attn_tileILi128ELi128ELi1ELi2ELb0EEvPKcS1_S1_S1_S1_PKiPfP15HIP_vector_typeIfLj2EEffffjfiS5_IjLj3EEiiiiiiiiiiiliiliiiiil.num_agpr, 0
	.set _ZL15flash_attn_tileILi128ELi128ELi1ELi2ELb0EEvPKcS1_S1_S1_S1_PKiPfP15HIP_vector_typeIfLj2EEffffjfiS5_IjLj3EEiiiiiiiiiiiliiliiiiil.numbered_sgpr, 41
	.set _ZL15flash_attn_tileILi128ELi128ELi1ELi2ELb0EEvPKcS1_S1_S1_S1_PKiPfP15HIP_vector_typeIfLj2EEffffjfiS5_IjLj3EEiiiiiiiiiiiliiliiiiil.num_named_barrier, 0
	.set _ZL15flash_attn_tileILi128ELi128ELi1ELi2ELb0EEvPKcS1_S1_S1_S1_PKiPfP15HIP_vector_typeIfLj2EEffffjfiS5_IjLj3EEiiiiiiiiiiiliiliiiiil.private_seg_size, 0
	.set _ZL15flash_attn_tileILi128ELi128ELi1ELi2ELb0EEvPKcS1_S1_S1_S1_PKiPfP15HIP_vector_typeIfLj2EEffffjfiS5_IjLj3EEiiiiiiiiiiiliiliiiiil.uses_vcc, 1
	.set _ZL15flash_attn_tileILi128ELi128ELi1ELi2ELb0EEvPKcS1_S1_S1_S1_PKiPfP15HIP_vector_typeIfLj2EEffffjfiS5_IjLj3EEiiiiiiiiiiiliiliiiiil.uses_flat_scratch, 0
	.set _ZL15flash_attn_tileILi128ELi128ELi1ELi2ELb0EEvPKcS1_S1_S1_S1_PKiPfP15HIP_vector_typeIfLj2EEffffjfiS5_IjLj3EEiiiiiiiiiiiliiliiiiil.has_dyn_sized_stack, 0
	.set _ZL15flash_attn_tileILi128ELi128ELi1ELi2ELb0EEvPKcS1_S1_S1_S1_PKiPfP15HIP_vector_typeIfLj2EEffffjfiS5_IjLj3EEiiiiiiiiiiiliiliiiiil.has_recursion, 0
	.set _ZL15flash_attn_tileILi128ELi128ELi1ELi2ELb0EEvPKcS1_S1_S1_S1_PKiPfP15HIP_vector_typeIfLj2EEffffjfiS5_IjLj3EEiiiiiiiiiiiliiliiiiil.has_indirect_call, 0
	.section	.AMDGPU.csdata,"",@progbits
; Kernel info:
; codeLenInByte = 6244
; TotalNumSgprs: 43
; NumVgprs: 86
; ScratchSize: 0
; MemoryBound: 0
; FloatMode: 240
; IeeeMode: 1
; LDSByteSize: 5248 bytes/workgroup (compile time only)
; SGPRBlocks: 0
; VGPRBlocks: 10
; NumSGPRsForWavesPerEU: 43
; NumVGPRsForWavesPerEU: 86
; Occupancy: 10
; WaveLimiterHint : 1
; COMPUTE_PGM_RSRC2:SCRATCH_EN: 0
; COMPUTE_PGM_RSRC2:USER_SGPR: 6
; COMPUTE_PGM_RSRC2:TRAP_HANDLER: 0
; COMPUTE_PGM_RSRC2:TGID_X_EN: 1
; COMPUTE_PGM_RSRC2:TGID_Y_EN: 1
; COMPUTE_PGM_RSRC2:TGID_Z_EN: 1
; COMPUTE_PGM_RSRC2:TIDIG_COMP_CNT: 1
	.section	.text._ZL33flash_attn_stream_k_fixup_uniformILi128ELi1ELi2EEvPfPK15HIP_vector_typeIfLj2EEiiiiiiS1_IjLj3EES5_S5_,"axG",@progbits,_ZL33flash_attn_stream_k_fixup_uniformILi128ELi1ELi2EEvPfPK15HIP_vector_typeIfLj2EEiiiiiiS1_IjLj3EES5_S5_,comdat
	.globl	_ZL33flash_attn_stream_k_fixup_uniformILi128ELi1ELi2EEvPfPK15HIP_vector_typeIfLj2EEiiiiiiS1_IjLj3EES5_S5_ ; -- Begin function _ZL33flash_attn_stream_k_fixup_uniformILi128ELi1ELi2EEvPfPK15HIP_vector_typeIfLj2EEiiiiiiS1_IjLj3EES5_S5_
	.p2align	8
	.type	_ZL33flash_attn_stream_k_fixup_uniformILi128ELi1ELi2EEvPfPK15HIP_vector_typeIfLj2EEiiiiiiS1_IjLj3EES5_S5_,@function
_ZL33flash_attn_stream_k_fixup_uniformILi128ELi1ELi2EEvPfPK15HIP_vector_typeIfLj2EEiiiiiiS1_IjLj3EES5_S5_: ; @_ZL33flash_attn_stream_k_fixup_uniformILi128ELi1ELi2EEvPfPK15HIP_vector_typeIfLj2EEiiiiiiS1_IjLj3EES5_S5_
; %bb.0:
	s_clause 0x1
	s_load_dwordx8 s[12:19], s[4:5], 0x1c
	s_load_dwordx4 s[0:3], s[4:5], 0x3c
	s_waitcnt lgkmcnt(0)
	s_mul_hi_u32 s9, s15, s6
	s_add_i32 s9, s6, s9
	s_lshr_b32 s9, s9, s16
	s_mul_i32 s10, s9, s17
	s_sub_i32 s16, s6, s10
	s_load_dwordx2 s[10:11], s[4:5], 0x10
	s_mul_hi_u32 s15, s16, s18
	s_add_i32 s15, s16, s15
	s_lshr_b32 s15, s15, s19
	s_mul_i32 s0, s15, s0
	s_sub_i32 s0, s16, s0
	s_mul_hi_u32 s1, s0, s1
	s_add_i32 s1, s0, s1
	s_lshr_b32 s1, s1, s2
	s_mul_i32 s2, s1, s3
	s_lshl_b32 s17, s1, 1
	s_sub_i32 s16, s0, s2
	s_add_i32 s16, s16, s7
	s_waitcnt lgkmcnt(0)
	s_cmp_lt_i32 s16, s10
	s_cselect_b32 s0, -1, 0
	s_add_i32 s17, s17, s8
	s_cmp_lt_i32 s17, s13
	s_cselect_b32 s1, -1, 0
	s_and_b32 s0, s0, s1
	s_andn2_b32 vcc_lo, exec_lo, s0
	s_cbranch_vccnz .LBB50_6
; %bb.1:
	s_mul_i32 s9, s9, s10
	s_load_dwordx4 s[0:3], s[4:5], 0x0
	s_mul_i32 s15, s15, s13
	s_add_i32 s4, s16, s9
	s_add_i32 s5, s17, s15
	s_mul_i32 s4, s4, s11
	s_add_i32 s5, s5, s4
	s_mul_i32 s4, s14, s6
	v_lshl_or_b32 v1, s5, 7, v0
	s_add_i32 s10, s4, s14
	v_ashrrev_i32_e32 v2, 31, v1
	v_lshlrev_b64 v[1:2], 2, v[1:2]
	s_waitcnt lgkmcnt(0)
	v_add_co_u32 v1, vcc_lo, s0, v1
	v_add_co_ci_u32_e64 v2, null, s1, v2, vcc_lo
	s_add_i32 s0, s7, s10
	s_lshl_b32 s0, s0, 1
	global_load_dword v5, v[1:2], off
	s_add_i32 s0, s0, s8
	s_add_i32 s0, s0, -2
	s_ashr_i32 s1, s0, 31
	s_lshl_b64 s[0:1], s[0:1], 3
	s_add_u32 s0, s2, s0
	s_addc_u32 s1, s3, s1
	s_add_i32 s5, s10, -2
	s_load_dword s11, s[0:1], 0x4
	s_cmp_lt_i32 s5, s4
	s_cbranch_scc1 .LBB50_4
; %bb.2:
	s_lshl_b32 s16, s12, 3
	s_load_dword s13, s[0:1], 0x0
	s_ashr_i32 s17, s16, 31
	s_waitcnt lgkmcnt(0)
	v_mov_b32_e32 v6, s11
	s_lshl_b64 s[0:1], s[16:17], 2
	s_add_u32 s5, s2, s0
	s_addc_u32 s9, s3, s1
	s_add_i32 s6, s6, 1
	s_lshl_b32 s0, s8, 7
	s_lshl_b32 s1, s7, 8
	s_mul_i32 s6, s14, s6
	s_add_i32 s0, s0, s1
	s_lshl_b32 s1, s6, 8
	s_add_i32 s6, s10, -1
	s_add_i32 s0, s0, s1
	s_add_i32 s1, s7, s12
	v_or_b32_e32 v0, s0, v0
	s_add_i32 s1, s1, s10
	s_lshl_b32 s0, s1, 1
	v_add_nc_u32_e32 v3, 0xfffffe00, v0
	v_mov_b32_e32 v0, s13
	s_add_i32 s0, s8, s0
	s_add_i32 s0, s0, -4
.LBB50_3:                               ; =>This Inner Loop Header: Depth=1
	v_ashrrev_i32_e32 v4, 31, v3
	s_ashr_i32 s1, s0, 31
	s_lshl_b64 s[10:11], s[0:1], 3
	s_add_u32 s10, s2, s10
	v_lshlrev_b64 v[7:8], 2, v[3:4]
	s_addc_u32 s11, s3, s11
	v_add_nc_u32_e32 v3, 0xffffff00, v3
	s_add_i32 s6, s6, -1
	s_add_i32 s0, s0, -2
	s_cmp_le_i32 s6, s4
	v_add_co_u32 v7, vcc_lo, s5, v7
	v_add_co_ci_u32_e64 v8, null, s9, v8, vcc_lo
	s_load_dwordx2 s[10:11], s[10:11], 0x0
	global_load_dword v4, v[7:8], off
	v_max_f32_e32 v7, v0, v0
	s_waitcnt lgkmcnt(0)
	v_max_f32_e64 v8, s10, s10
	v_max_f32_e32 v7, v7, v8
	v_sub_f32_e32 v8, s10, v7
	v_sub_f32_e32 v0, v0, v7
	v_mul_f32_e32 v9, 0x3fb8aa3b, v8
	v_mul_f32_e32 v12, 0x3fb8aa3b, v0
	v_cmp_ngt_f32_e32 vcc_lo, 0xc2ce8ed0, v8
	v_fma_f32 v10, 0x3fb8aa3b, v8, -v9
	v_rndne_f32_e32 v11, v9
	v_fma_f32 v13, 0x3fb8aa3b, v0, -v12
	v_rndne_f32_e32 v14, v12
	v_fmac_f32_e32 v10, 0x32a5705f, v8
	v_sub_f32_e32 v9, v9, v11
	v_fmac_f32_e32 v13, 0x32a5705f, v0
	v_cvt_i32_f32_e32 v11, v11
	v_add_f32_e32 v9, v9, v10
	v_sub_f32_e32 v10, v12, v14
	v_exp_f32_e32 v9, v9
	v_add_f32_e32 v10, v10, v13
	v_exp_f32_e32 v10, v10
	v_ldexp_f32 v9, v9, v11
	v_cvt_i32_f32_e32 v11, v14
	v_cndmask_b32_e32 v9, 0, v9, vcc_lo
	v_cmp_nlt_f32_e32 vcc_lo, 0x42b17218, v8
	v_ldexp_f32 v10, v10, v11
	v_mov_b32_e32 v11, v6
	v_cndmask_b32_e32 v9, 0x7f800000, v9, vcc_lo
	v_cmp_ngt_f32_e32 vcc_lo, 0xc2ce8ed0, v0
	v_cndmask_b32_e32 v10, 0, v10, vcc_lo
	v_cmp_le_f32_e32 vcc_lo, 0xc1a00000, v8
	v_cndmask_b32_e32 v8, 0, v9, vcc_lo
	v_cmp_nlt_f32_e32 vcc_lo, 0x42b17218, v0
	s_waitcnt vmcnt(1)
	v_mov_b32_e32 v9, v5
	v_cndmask_b32_e32 v5, 0x7f800000, v10, vcc_lo
	v_mul_f32_e32 v10, s11, v8
	v_cmp_le_f32_e32 vcc_lo, 0xc1a00000, v0
	v_mov_b32_e32 v0, v7
	v_mov_b32_e32 v6, v10
	v_cndmask_b32_e32 v12, 0, v5, vcc_lo
	v_fmac_f32_e32 v6, v11, v12
	s_waitcnt vmcnt(0)
	v_mul_f32_e32 v5, v4, v8
	v_fmac_f32_e32 v5, v9, v12
	s_cbranch_scc0 .LBB50_3
	s_branch .LBB50_5
.LBB50_4:
	s_waitcnt lgkmcnt(0)
	v_mov_b32_e32 v6, s11
.LBB50_5:
	s_waitcnt vmcnt(0)
	v_div_scale_f32 v0, null, v6, v6, v5
	v_rcp_f32_e32 v3, v0
	v_fma_f32 v4, -v0, v3, 1.0
	v_fmac_f32_e32 v3, v4, v3
	v_div_scale_f32 v4, vcc_lo, v5, v6, v5
	v_mul_f32_e32 v7, v4, v3
	v_fma_f32 v8, -v0, v7, v4
	v_fmac_f32_e32 v7, v8, v3
	v_fma_f32 v0, -v0, v7, v4
	v_div_fmas_f32 v0, v0, v3, v7
	v_div_fixup_f32 v0, v0, v6, v5
	global_store_dword v[1:2], v0, off
.LBB50_6:
	s_endpgm
	.section	.rodata,"a",@progbits
	.p2align	6, 0x0
	.amdhsa_kernel _ZL33flash_attn_stream_k_fixup_uniformILi128ELi1ELi2EEvPfPK15HIP_vector_typeIfLj2EEiiiiiiS1_IjLj3EES5_S5_
		.amdhsa_group_segment_fixed_size 0
		.amdhsa_private_segment_fixed_size 0
		.amdhsa_kernarg_size 76
		.amdhsa_user_sgpr_count 6
		.amdhsa_user_sgpr_private_segment_buffer 1
		.amdhsa_user_sgpr_dispatch_ptr 0
		.amdhsa_user_sgpr_queue_ptr 0
		.amdhsa_user_sgpr_kernarg_segment_ptr 1
		.amdhsa_user_sgpr_dispatch_id 0
		.amdhsa_user_sgpr_flat_scratch_init 0
		.amdhsa_user_sgpr_private_segment_size 0
		.amdhsa_wavefront_size32 1
		.amdhsa_uses_dynamic_stack 0
		.amdhsa_system_sgpr_private_segment_wavefront_offset 0
		.amdhsa_system_sgpr_workgroup_id_x 1
		.amdhsa_system_sgpr_workgroup_id_y 1
		.amdhsa_system_sgpr_workgroup_id_z 1
		.amdhsa_system_sgpr_workgroup_info 0
		.amdhsa_system_vgpr_workitem_id 0
		.amdhsa_next_free_vgpr 15
		.amdhsa_next_free_sgpr 20
		.amdhsa_reserve_vcc 1
		.amdhsa_reserve_flat_scratch 0
		.amdhsa_float_round_mode_32 0
		.amdhsa_float_round_mode_16_64 0
		.amdhsa_float_denorm_mode_32 3
		.amdhsa_float_denorm_mode_16_64 3
		.amdhsa_dx10_clamp 1
		.amdhsa_ieee_mode 1
		.amdhsa_fp16_overflow 0
		.amdhsa_workgroup_processor_mode 1
		.amdhsa_memory_ordered 1
		.amdhsa_forward_progress 1
		.amdhsa_shared_vgpr_count 0
		.amdhsa_exception_fp_ieee_invalid_op 0
		.amdhsa_exception_fp_denorm_src 0
		.amdhsa_exception_fp_ieee_div_zero 0
		.amdhsa_exception_fp_ieee_overflow 0
		.amdhsa_exception_fp_ieee_underflow 0
		.amdhsa_exception_fp_ieee_inexact 0
		.amdhsa_exception_int_div_zero 0
	.end_amdhsa_kernel
	.section	.text._ZL33flash_attn_stream_k_fixup_uniformILi128ELi1ELi2EEvPfPK15HIP_vector_typeIfLj2EEiiiiiiS1_IjLj3EES5_S5_,"axG",@progbits,_ZL33flash_attn_stream_k_fixup_uniformILi128ELi1ELi2EEvPfPK15HIP_vector_typeIfLj2EEiiiiiiS1_IjLj3EES5_S5_,comdat
.Lfunc_end50:
	.size	_ZL33flash_attn_stream_k_fixup_uniformILi128ELi1ELi2EEvPfPK15HIP_vector_typeIfLj2EEiiiiiiS1_IjLj3EES5_S5_, .Lfunc_end50-_ZL33flash_attn_stream_k_fixup_uniformILi128ELi1ELi2EEvPfPK15HIP_vector_typeIfLj2EEiiiiiiS1_IjLj3EES5_S5_
                                        ; -- End function
	.set _ZL33flash_attn_stream_k_fixup_uniformILi128ELi1ELi2EEvPfPK15HIP_vector_typeIfLj2EEiiiiiiS1_IjLj3EES5_S5_.num_vgpr, 15
	.set _ZL33flash_attn_stream_k_fixup_uniformILi128ELi1ELi2EEvPfPK15HIP_vector_typeIfLj2EEiiiiiiS1_IjLj3EES5_S5_.num_agpr, 0
	.set _ZL33flash_attn_stream_k_fixup_uniformILi128ELi1ELi2EEvPfPK15HIP_vector_typeIfLj2EEiiiiiiS1_IjLj3EES5_S5_.numbered_sgpr, 20
	.set _ZL33flash_attn_stream_k_fixup_uniformILi128ELi1ELi2EEvPfPK15HIP_vector_typeIfLj2EEiiiiiiS1_IjLj3EES5_S5_.num_named_barrier, 0
	.set _ZL33flash_attn_stream_k_fixup_uniformILi128ELi1ELi2EEvPfPK15HIP_vector_typeIfLj2EEiiiiiiS1_IjLj3EES5_S5_.private_seg_size, 0
	.set _ZL33flash_attn_stream_k_fixup_uniformILi128ELi1ELi2EEvPfPK15HIP_vector_typeIfLj2EEiiiiiiS1_IjLj3EES5_S5_.uses_vcc, 1
	.set _ZL33flash_attn_stream_k_fixup_uniformILi128ELi1ELi2EEvPfPK15HIP_vector_typeIfLj2EEiiiiiiS1_IjLj3EES5_S5_.uses_flat_scratch, 0
	.set _ZL33flash_attn_stream_k_fixup_uniformILi128ELi1ELi2EEvPfPK15HIP_vector_typeIfLj2EEiiiiiiS1_IjLj3EES5_S5_.has_dyn_sized_stack, 0
	.set _ZL33flash_attn_stream_k_fixup_uniformILi128ELi1ELi2EEvPfPK15HIP_vector_typeIfLj2EEiiiiiiS1_IjLj3EES5_S5_.has_recursion, 0
	.set _ZL33flash_attn_stream_k_fixup_uniformILi128ELi1ELi2EEvPfPK15HIP_vector_typeIfLj2EEiiiiiiS1_IjLj3EES5_S5_.has_indirect_call, 0
	.section	.AMDGPU.csdata,"",@progbits
; Kernel info:
; codeLenInByte = 824
; TotalNumSgprs: 22
; NumVgprs: 15
; ScratchSize: 0
; MemoryBound: 0
; FloatMode: 240
; IeeeMode: 1
; LDSByteSize: 0 bytes/workgroup (compile time only)
; SGPRBlocks: 0
; VGPRBlocks: 1
; NumSGPRsForWavesPerEU: 22
; NumVGPRsForWavesPerEU: 15
; Occupancy: 16
; WaveLimiterHint : 0
; COMPUTE_PGM_RSRC2:SCRATCH_EN: 0
; COMPUTE_PGM_RSRC2:USER_SGPR: 6
; COMPUTE_PGM_RSRC2:TRAP_HANDLER: 0
; COMPUTE_PGM_RSRC2:TGID_X_EN: 1
; COMPUTE_PGM_RSRC2:TGID_Y_EN: 1
; COMPUTE_PGM_RSRC2:TGID_Z_EN: 1
; COMPUTE_PGM_RSRC2:TIDIG_COMP_CNT: 0
	.section	.text._ZL33flash_attn_stream_k_fixup_generalILi128ELi1ELi2EEvPfPK15HIP_vector_typeIfLj2EEiiiiS1_IjLj3EES5_S5_S5_,"axG",@progbits,_ZL33flash_attn_stream_k_fixup_generalILi128ELi1ELi2EEvPfPK15HIP_vector_typeIfLj2EEiiiiS1_IjLj3EES5_S5_S5_,comdat
	.globl	_ZL33flash_attn_stream_k_fixup_generalILi128ELi1ELi2EEvPfPK15HIP_vector_typeIfLj2EEiiiiS1_IjLj3EES5_S5_S5_ ; -- Begin function _ZL33flash_attn_stream_k_fixup_generalILi128ELi1ELi2EEvPfPK15HIP_vector_typeIfLj2EEiiiiS1_IjLj3EES5_S5_S5_
	.p2align	8
	.type	_ZL33flash_attn_stream_k_fixup_generalILi128ELi1ELi2EEvPfPK15HIP_vector_typeIfLj2EEiiiiS1_IjLj3EES5_S5_S5_,@function
_ZL33flash_attn_stream_k_fixup_generalILi128ELi1ELi2EEvPfPK15HIP_vector_typeIfLj2EEiiiiS1_IjLj3EES5_S5_S5_: ; @_ZL33flash_attn_stream_k_fixup_generalILi128ELi1ELi2EEvPfPK15HIP_vector_typeIfLj2EEiiiiS1_IjLj3EES5_S5_S5_
; %bb.0:
	s_clause 0x1
	s_load_dwordx4 s[0:3], s[4:5], 0x10
	s_load_dword s9, s[4:5], 0x50
	s_mov_b32 s16, 0
	s_waitcnt lgkmcnt(0)
	s_mul_hi_i32 s17, s3, s6
	s_mul_i32 s18, s3, s6
	s_cmp_lg_u64 s[16:17], 0
	s_cbranch_scc0 .LBB51_21
; %bb.1:
	s_add_u32 s10, s9, 0
	s_addc_u32 s11, 0, 0
	s_xor_b64 s[10:11], s[10:11], 0
	v_cvt_f32_u32_e32 v1, s10
	v_cvt_f32_u32_e32 v2, s11
	s_sub_u32 s14, 0, s10
	s_subb_u32 s15, 0, s11
	v_fmamk_f32 v1, v2, 0x4f800000, v1
	v_rcp_f32_e32 v1, v1
	v_mul_f32_e32 v1, 0x5f7ffffc, v1
	v_mul_f32_e32 v2, 0x2f800000, v1
	v_trunc_f32_e32 v2, v2
	v_fmamk_f32 v1, v2, 0xcf800000, v1
	v_cvt_u32_f32_e32 v2, v2
	v_cvt_u32_f32_e32 v1, v1
	v_readfirstlane_b32 s12, v2
	v_readfirstlane_b32 s13, v1
	s_mul_i32 s19, s14, s12
	s_mul_hi_u32 s21, s14, s13
	s_mul_i32 s20, s15, s13
	s_add_i32 s19, s21, s19
	s_mul_i32 s22, s14, s13
	s_add_i32 s19, s19, s20
	s_mul_hi_u32 s21, s13, s22
	s_mul_i32 s24, s13, s19
	s_mul_hi_u32 s23, s12, s22
	s_mul_i32 s20, s12, s22
	s_mul_hi_u32 s22, s13, s19
	s_add_u32 s21, s21, s24
	s_addc_u32 s22, 0, s22
	s_mul_hi_u32 s25, s12, s19
	s_add_u32 s20, s21, s20
	s_mul_i32 s19, s12, s19
	s_addc_u32 s20, s22, s23
	s_addc_u32 s21, s25, 0
	s_add_u32 s19, s20, s19
	s_addc_u32 s20, 0, s21
	s_add_u32 s13, s13, s19
	s_cselect_b32 s19, -1, 0
	s_mul_hi_u32 s21, s14, s13
	s_cmp_lg_u32 s19, 0
	s_mul_i32 s19, s14, s13
	s_addc_u32 s12, s12, s20
	s_mul_i32 s15, s15, s13
	s_mul_i32 s14, s14, s12
	s_mul_hi_u32 s20, s13, s19
	s_add_i32 s14, s21, s14
	s_mul_hi_u32 s21, s12, s19
	s_add_i32 s14, s14, s15
	s_mul_i32 s15, s12, s19
	s_mul_i32 s23, s13, s14
	s_mul_hi_u32 s22, s13, s14
	s_add_u32 s20, s20, s23
	s_addc_u32 s22, 0, s22
	s_mul_hi_u32 s19, s12, s14
	s_add_u32 s15, s20, s15
	s_mul_i32 s14, s12, s14
	s_addc_u32 s15, s22, s21
	s_addc_u32 s19, s19, 0
	s_add_u32 s14, s15, s14
	s_addc_u32 s15, 0, s19
	s_add_u32 s19, s13, s14
	s_cselect_b32 s13, -1, 0
	s_cmp_lg_u32 s13, 0
	s_addc_u32 s20, s12, s15
	s_ashr_i32 s12, s17, 31
	s_add_u32 s14, s18, s12
	s_mov_b32 s13, s12
	s_addc_u32 s15, s17, s12
	s_xor_b64 s[14:15], s[14:15], s[12:13]
	s_mul_i32 s21, s14, s20
	s_mul_hi_u32 s22, s14, s19
	s_mul_hi_u32 s17, s14, s20
	s_mul_hi_u32 s24, s15, s19
	s_mul_i32 s19, s15, s19
	s_add_u32 s21, s22, s21
	s_addc_u32 s17, 0, s17
	s_mul_hi_u32 s23, s15, s20
	s_add_u32 s19, s21, s19
	s_mul_i32 s20, s15, s20
	s_addc_u32 s17, s17, s24
	s_addc_u32 s19, s23, 0
	s_add_u32 s17, s17, s20
	s_addc_u32 s19, 0, s19
	s_mul_hi_u32 s20, s10, s17
	s_mul_i32 s21, s10, s19
	s_mul_i32 s22, s11, s17
	s_add_i32 s20, s20, s21
	s_mul_i32 s21, s10, s17
	s_add_i32 s20, s20, s22
	s_sub_i32 s22, s15, s20
	s_sub_u32 s14, s14, s21
	s_cselect_b32 s21, -1, 0
	s_cmp_lg_u32 s21, 0
	s_subb_u32 s22, s22, s11
	s_sub_u32 s23, s14, s10
	s_cselect_b32 s24, -1, 0
	s_cmp_lg_u32 s24, 0
	s_subb_u32 s22, s22, 0
	s_cmp_ge_u32 s22, s11
	s_cselect_b32 s24, -1, 0
	s_cmp_ge_u32 s23, s10
	s_cselect_b32 s23, -1, 0
	s_cmp_eq_u32 s22, s11
	s_cselect_b32 s22, s23, s24
	s_add_u32 s23, s17, 1
	s_addc_u32 s24, s19, 0
	s_add_u32 s25, s17, 2
	s_addc_u32 s26, s19, 0
	s_cmp_lg_u32 s22, 0
	s_cselect_b32 s22, s25, s23
	s_cselect_b32 s23, s26, s24
	s_cmp_lg_u32 s21, 0
	s_subb_u32 s15, s15, s20
	s_cmp_ge_u32 s15, s11
	s_cselect_b32 s20, -1, 0
	s_cmp_ge_u32 s14, s10
	s_cselect_b32 s10, -1, 0
	s_cmp_eq_u32 s15, s11
	s_cselect_b32 s10, s10, s20
	s_cmp_lg_u32 s10, 0
	s_cselect_b32 s11, s23, s19
	s_cselect_b32 s10, s22, s17
	s_xor_b64 s[12:13], s[12:13], 0
	s_xor_b64 s[10:11], s[10:11], s[12:13]
	s_sub_u32 s10, s10, s12
	s_load_dwordx4 s[12:15], s[4:5], 0x44
	s_andn2_b32 vcc_lo, exec_lo, s16
	s_cbranch_vccnz .LBB51_3
.LBB51_2:
	v_cvt_f32_u32_e32 v1, s9
	s_sub_i32 s11, 0, s9
	v_rcp_iflag_f32_e32 v1, v1
	v_mul_f32_e32 v1, 0x4f7ffffe, v1
	v_cvt_u32_f32_e32 v1, v1
	v_readfirstlane_b32 s10, v1
	s_mul_i32 s11, s11, s10
	s_mul_hi_u32 s11, s10, s11
	s_add_i32 s10, s10, s11
	s_mul_hi_u32 s10, s18, s10
	s_mul_i32 s11, s10, s9
	s_waitcnt lgkmcnt(0)
	s_add_i32 s15, s10, 1
	s_sub_i32 s11, s18, s11
	s_sub_i32 s16, s11, s9
	s_cmp_ge_u32 s11, s9
	s_cselect_b32 s10, s15, s10
	s_cselect_b32 s11, s16, s11
	s_add_i32 s15, s10, 1
	s_cmp_ge_u32 s11, s9
	s_cselect_b32 s10, s15, s10
.LBB51_3:
	s_add_i32 s11, s6, 1
	s_mov_b32 s16, 0
	s_mul_hi_i32 s17, s3, s11
	s_mul_i32 s11, s3, s11
	s_cmp_lg_u64 s[16:17], 0
	s_cbranch_scc0 .LBB51_22
; %bb.4:
	s_add_u32 s18, s9, 0
	s_addc_u32 s19, 0, 0
	s_xor_b64 s[18:19], s[18:19], 0
	v_cvt_f32_u32_e32 v1, s18
	v_cvt_f32_u32_e32 v2, s19
	s_sub_u32 s21, 0, s18
	s_subb_u32 s22, 0, s19
	v_fmamk_f32 v1, v2, 0x4f800000, v1
	v_rcp_f32_e32 v1, v1
	v_mul_f32_e32 v1, 0x5f7ffffc, v1
	v_mul_f32_e32 v2, 0x2f800000, v1
	v_trunc_f32_e32 v2, v2
	v_fmamk_f32 v1, v2, 0xcf800000, v1
	v_cvt_u32_f32_e32 v2, v2
	v_cvt_u32_f32_e32 v1, v1
	s_waitcnt lgkmcnt(0)
	v_readfirstlane_b32 s15, v2
	v_readfirstlane_b32 s20, v1
	s_mul_i32 s23, s21, s15
	s_mul_hi_u32 s25, s21, s20
	s_mul_i32 s24, s22, s20
	s_add_i32 s23, s25, s23
	s_mul_i32 s26, s21, s20
	s_add_i32 s23, s23, s24
	s_mul_hi_u32 s25, s20, s26
	s_mul_i32 s28, s20, s23
	s_mul_hi_u32 s27, s15, s26
	s_mul_i32 s24, s15, s26
	s_mul_hi_u32 s26, s20, s23
	s_add_u32 s25, s25, s28
	s_addc_u32 s26, 0, s26
	s_mul_hi_u32 s29, s15, s23
	s_add_u32 s24, s25, s24
	s_mul_i32 s23, s15, s23
	s_addc_u32 s24, s26, s27
	s_addc_u32 s25, s29, 0
	s_add_u32 s23, s24, s23
	s_addc_u32 s24, 0, s25
	s_add_u32 s20, s20, s23
	s_cselect_b32 s23, -1, 0
	s_mul_hi_u32 s25, s21, s20
	s_cmp_lg_u32 s23, 0
	s_mul_i32 s23, s21, s20
	s_addc_u32 s15, s15, s24
	s_mul_i32 s22, s22, s20
	s_mul_i32 s21, s21, s15
	s_mul_hi_u32 s24, s20, s23
	s_add_i32 s21, s25, s21
	s_mul_hi_u32 s25, s15, s23
	s_add_i32 s21, s21, s22
	s_mul_i32 s22, s15, s23
	s_mul_i32 s27, s20, s21
	s_mul_hi_u32 s26, s20, s21
	s_add_u32 s24, s24, s27
	s_addc_u32 s26, 0, s26
	s_mul_hi_u32 s23, s15, s21
	s_add_u32 s22, s24, s22
	s_mul_i32 s21, s15, s21
	s_addc_u32 s22, s26, s25
	s_addc_u32 s23, s23, 0
	s_add_u32 s21, s22, s21
	s_addc_u32 s22, 0, s23
	s_add_u32 s24, s20, s21
	s_cselect_b32 s20, -1, 0
	s_cmp_lg_u32 s20, 0
	s_addc_u32 s15, s15, s22
	s_ashr_i32 s20, s17, 31
	s_add_u32 s22, s11, s20
	s_mov_b32 s21, s20
	s_addc_u32 s23, s17, s20
	s_xor_b64 s[22:23], s[22:23], s[20:21]
	s_mul_i32 s25, s22, s15
	s_mul_hi_u32 s26, s22, s24
	s_mul_hi_u32 s17, s22, s15
	;; [unrolled: 1-line block ×3, first 2 shown]
	s_mul_i32 s24, s23, s24
	s_add_u32 s25, s26, s25
	s_addc_u32 s17, 0, s17
	s_mul_hi_u32 s27, s23, s15
	s_add_u32 s24, s25, s24
	s_mul_i32 s15, s23, s15
	s_addc_u32 s17, s17, s28
	s_addc_u32 s24, s27, 0
	s_add_u32 s15, s17, s15
	s_addc_u32 s17, 0, s24
	s_mul_hi_u32 s24, s18, s15
	s_mul_i32 s25, s18, s17
	s_mul_i32 s26, s19, s15
	s_add_i32 s24, s24, s25
	s_mul_i32 s25, s18, s15
	s_add_i32 s24, s24, s26
	s_sub_i32 s26, s23, s24
	s_sub_u32 s22, s22, s25
	s_cselect_b32 s25, -1, 0
	s_cmp_lg_u32 s25, 0
	s_subb_u32 s26, s26, s19
	s_sub_u32 s27, s22, s18
	s_cselect_b32 s28, -1, 0
	s_cmp_lg_u32 s28, 0
	s_subb_u32 s26, s26, 0
	s_cmp_ge_u32 s26, s19
	s_cselect_b32 s28, -1, 0
	s_cmp_ge_u32 s27, s18
	s_cselect_b32 s27, -1, 0
	s_cmp_eq_u32 s26, s19
	s_cselect_b32 s26, s27, s28
	s_add_u32 s27, s15, 1
	s_addc_u32 s28, s17, 0
	s_add_u32 s29, s15, 2
	s_addc_u32 s30, s17, 0
	s_cmp_lg_u32 s26, 0
	s_cselect_b32 s26, s29, s27
	s_cselect_b32 s27, s30, s28
	s_cmp_lg_u32 s25, 0
	s_subb_u32 s23, s23, s24
	s_cmp_ge_u32 s23, s19
	s_cselect_b32 s24, -1, 0
	s_cmp_ge_u32 s22, s18
	s_cselect_b32 s18, -1, 0
	s_cmp_eq_u32 s23, s19
	s_cselect_b32 s18, s18, s24
	s_cmp_lg_u32 s18, 0
	s_cselect_b32 s19, s27, s17
	s_cselect_b32 s18, s26, s15
	s_xor_b64 s[20:21], s[20:21], 0
	s_xor_b64 s[18:19], s[18:19], s[20:21]
	s_sub_u32 s18, s18, s20
	s_andn2_b32 vcc_lo, exec_lo, s16
	s_cbranch_vccnz .LBB51_6
.LBB51_5:
	v_cvt_f32_u32_e32 v1, s9
	s_sub_i32 s16, 0, s9
	v_rcp_iflag_f32_e32 v1, v1
	v_mul_f32_e32 v1, 0x4f7ffffe, v1
	v_cvt_u32_f32_e32 v1, v1
	s_waitcnt lgkmcnt(0)
	v_readfirstlane_b32 s15, v1
	s_mul_i32 s16, s16, s15
	s_mul_hi_u32 s16, s15, s16
	s_add_i32 s15, s15, s16
	s_mul_hi_u32 s15, s11, s15
	s_mul_i32 s16, s15, s9
	s_sub_i32 s11, s11, s16
	s_add_i32 s16, s15, 1
	s_sub_i32 s17, s11, s9
	s_cmp_ge_u32 s11, s9
	s_cselect_b32 s15, s16, s15
	s_cselect_b32 s11, s17, s11
	s_add_i32 s16, s15, 1
	s_cmp_ge_u32 s11, s9
	s_cselect_b32 s18, s16, s15
.LBB51_6:
	s_cmp_eq_u32 s10, s18
	s_waitcnt lgkmcnt(0)
	s_mul_hi_u32 s11, s10, s12
	s_cselect_b32 s15, -1, 0
	s_add_i32 s11, s11, s10
	s_lshr_b32 s11, s11, s13
	s_mul_i32 s16, s11, s14
	s_cmp_eq_u32 s16, s10
	s_mul_hi_u32 s16, s18, s12
	s_cselect_b32 s17, -1, 0
	s_add_i32 s16, s16, s18
	s_lshr_b32 s16, s16, s13
	s_cmp_eq_u32 s11, s16
	s_mul_i32 s16, s16, s14
	s_cselect_b32 s19, -1, 0
	s_cmp_lg_u32 s16, s18
	s_cselect_b32 s16, -1, 0
	s_or_b32 s15, s15, s17
	s_and_b32 s16, s19, s16
	s_or_b32 s15, s15, s16
	s_and_b32 vcc_lo, exec_lo, s15
	s_cbranch_vccnz .LBB51_24
; %bb.7:
	s_load_dwordx8 s[16:23], s[4:5], 0x20
	s_waitcnt lgkmcnt(0)
	s_mul_hi_u32 s15, s10, s16
	s_load_dword s16, s[4:5], 0x40
	s_add_i32 s15, s15, s10
	s_lshr_b32 s15, s15, s17
	s_mul_i32 s17, s15, s18
	s_sub_i32 s17, s10, s17
	s_mul_hi_u32 s18, s17, s19
	s_add_i32 s18, s17, s18
	s_lshr_b32 s20, s18, s20
	s_mul_i32 s18, s20, s21
	s_sub_i32 s17, s17, s18
	s_mul_hi_u32 s18, s17, s22
	s_add_i32 s18, s17, s18
	s_lshr_b32 s18, s18, s23
	s_waitcnt lgkmcnt(0)
	s_mul_i32 s16, s18, s16
	s_lshl_b32 s22, s18, 1
	s_sub_i32 s16, s17, s16
	s_mul_hi_u32 s17, s16, s12
	s_add_i32 s16, s16, s17
	s_lshr_b32 s21, s16, s13
	s_add_i32 s21, s21, s7
	s_cmp_lt_i32 s21, s0
	s_cselect_b32 s16, -1, 0
	s_add_i32 s22, s22, s8
	s_cmp_lt_i32 s22, s2
	s_cselect_b32 s17, -1, 0
	s_and_b32 s16, s16, s17
	s_andn2_b32 vcc_lo, exec_lo, s16
	s_cbranch_vccnz .LBB51_24
; %bb.8:
	s_load_dwordx4 s[16:19], s[4:5], 0x0
	s_mov_b32 s4, 0
	s_lshl_b32 s24, s9, 3
	s_mov_b32 s25, s4
	s_mul_i32 s0, s15, s0
	s_lshl_b64 s[24:25], s[24:25], 2
	s_mul_i32 s20, s20, s2
	v_cvt_f32_u32_e32 v4, s9
	v_rcp_iflag_f32_e32 v4, v4
	s_waitcnt lgkmcnt(0)
	s_add_u32 s2, s18, s24
	s_addc_u32 s15, s19, s25
	s_add_i32 s0, s21, s0
	s_add_i32 s5, s22, s20
	s_mul_i32 s0, s0, s1
	v_mul_f32_e32 v4, 0x4f7ffffe, v4
	s_add_i32 s5, s5, s0
	s_add_i32 s0, s7, s6
	v_lshl_or_b32 v1, s5, 7, v0
	s_lshl_b32 s0, s0, 1
	v_lshl_or_b32 v0, s8, 7, v0
	s_add_i32 s0, s0, s8
	v_cvt_u32_f32_e32 v4, v4
	v_ashrrev_i32_e32 v2, 31, v1
	s_ashr_i32 s1, s0, 31
	s_lshl_b64 s[0:1], s[0:1], 3
	v_lshlrev_b64 v[1:2], 2, v[1:2]
	s_add_u32 s0, s18, s0
	s_addc_u32 s1, s19, s1
	s_add_i32 s20, s6, -1
	s_load_dwordx2 s[0:1], s[0:1], 0x0
	s_sub_i32 s6, 0, s9
	v_add_co_u32 v1, vcc_lo, s16, v1
	v_add_co_ci_u32_e64 v2, null, s17, v2, vcc_lo
	global_load_dword v3, v[1:2], off
	s_waitcnt lgkmcnt(0)
	v_mov_b32_e32 v5, s1
	v_mov_b32_e32 v6, s0
.LBB51_9:                               ; =>This Inner Loop Header: Depth=1
	s_mul_hi_i32 s5, s20, s3
	s_mul_i32 s16, s20, s3
	s_cmp_lg_u64 s[4:5], 0
	s_mov_b32 s17, -1
                                        ; implicit-def: $sgpr0_sgpr1
	s_cbranch_scc0 .LBB51_11
; %bb.10:                               ;   in Loop: Header=BB51_9 Depth=1
	s_add_u32 s0, s9, 0
	s_addc_u32 s1, 0, 0
	s_xor_b64 s[0:1], s[0:1], 0
	v_cvt_f32_u32_e32 v7, s0
	v_cvt_f32_u32_e32 v8, s1
	s_sub_u32 s22, 0, s0
	s_subb_u32 s23, 0, s1
	v_fmac_f32_e32 v7, 0x4f800000, v8
	v_rcp_f32_e32 v7, v7
	v_mul_f32_e32 v7, 0x5f7ffffc, v7
	v_mul_f32_e32 v8, 0x2f800000, v7
	v_trunc_f32_e32 v8, v8
	v_fmac_f32_e32 v7, 0xcf800000, v8
	v_cvt_u32_f32_e32 v8, v8
	v_cvt_u32_f32_e32 v7, v7
	v_readfirstlane_b32 s17, v8
	v_readfirstlane_b32 s21, v7
	s_mul_i32 s24, s22, s17
	s_mul_hi_u32 s26, s22, s21
	s_mul_i32 s25, s23, s21
	s_add_i32 s24, s26, s24
	s_mul_i32 s27, s22, s21
	s_add_i32 s24, s24, s25
	s_mul_hi_u32 s26, s21, s27
	s_mul_i32 s29, s21, s24
	s_mul_hi_u32 s28, s17, s27
	s_mul_i32 s25, s17, s27
	s_mul_hi_u32 s27, s21, s24
	s_add_u32 s26, s26, s29
	s_addc_u32 s27, 0, s27
	s_mul_hi_u32 s30, s17, s24
	s_add_u32 s25, s26, s25
	s_mul_i32 s24, s17, s24
	s_addc_u32 s25, s27, s28
	s_addc_u32 s26, s30, 0
	s_add_u32 s24, s25, s24
	s_addc_u32 s25, 0, s26
	s_add_u32 s21, s21, s24
	s_cselect_b32 s24, -1, 0
	s_mul_hi_u32 s26, s22, s21
	s_cmp_lg_u32 s24, 0
	s_mul_i32 s24, s22, s21
	s_addc_u32 s17, s17, s25
	s_mul_i32 s23, s23, s21
	s_mul_i32 s22, s22, s17
	s_mul_hi_u32 s25, s21, s24
	s_add_i32 s22, s26, s22
	s_mul_hi_u32 s26, s17, s24
	s_add_i32 s22, s22, s23
	s_mul_i32 s23, s17, s24
	s_mul_i32 s28, s21, s22
	s_mul_hi_u32 s27, s21, s22
	s_add_u32 s25, s25, s28
	s_addc_u32 s27, 0, s27
	s_mul_hi_u32 s24, s17, s22
	s_add_u32 s23, s25, s23
	s_mul_i32 s22, s17, s22
	s_addc_u32 s23, s27, s26
	s_addc_u32 s24, s24, 0
	s_add_u32 s22, s23, s22
	s_addc_u32 s23, 0, s24
	s_add_u32 s21, s21, s22
	s_cselect_b32 s22, -1, 0
	s_cmp_lg_u32 s22, 0
	s_addc_u32 s17, s17, s23
	s_ashr_i32 s22, s5, 31
	s_add_u32 s24, s16, s22
	s_mov_b32 s23, s22
	s_addc_u32 s25, s5, s22
	s_xor_b64 s[24:25], s[24:25], s[22:23]
	s_mul_i32 s26, s24, s17
	s_mul_hi_u32 s27, s24, s21
	s_mul_hi_u32 s5, s24, s17
	;; [unrolled: 1-line block ×3, first 2 shown]
	s_mul_i32 s21, s25, s21
	s_add_u32 s26, s27, s26
	s_addc_u32 s5, 0, s5
	s_mul_hi_u32 s28, s25, s17
	s_add_u32 s21, s26, s21
	s_mul_i32 s17, s25, s17
	s_addc_u32 s5, s5, s29
	s_addc_u32 s21, s28, 0
	s_add_u32 s5, s5, s17
	s_addc_u32 s17, 0, s21
	s_mul_hi_u32 s21, s0, s5
	s_mul_i32 s26, s0, s17
	s_mul_i32 s27, s1, s5
	s_add_i32 s21, s21, s26
	s_mul_i32 s26, s0, s5
	s_add_i32 s21, s21, s27
	s_sub_i32 s27, s25, s21
	s_sub_u32 s24, s24, s26
	s_cselect_b32 s26, -1, 0
	s_cmp_lg_u32 s26, 0
	s_subb_u32 s27, s27, s1
	s_sub_u32 s28, s24, s0
	s_cselect_b32 s29, -1, 0
	s_cmp_lg_u32 s29, 0
	s_subb_u32 s27, s27, 0
	s_cmp_ge_u32 s27, s1
	s_cselect_b32 s29, -1, 0
	s_cmp_ge_u32 s28, s0
	s_cselect_b32 s28, -1, 0
	s_cmp_eq_u32 s27, s1
	s_cselect_b32 s27, s28, s29
	s_add_u32 s28, s5, 1
	s_addc_u32 s29, s17, 0
	s_add_u32 s30, s5, 2
	s_addc_u32 s31, s17, 0
	s_cmp_lg_u32 s27, 0
	s_cselect_b32 s27, s30, s28
	s_cselect_b32 s28, s31, s29
	s_cmp_lg_u32 s26, 0
	s_subb_u32 s21, s25, s21
	s_cmp_ge_u32 s21, s1
	s_cselect_b32 s25, -1, 0
	s_cmp_ge_u32 s24, s0
	s_cselect_b32 s0, -1, 0
	s_cmp_eq_u32 s21, s1
	s_cselect_b32 s0, s0, s25
	s_cmp_lg_u32 s0, 0
	s_cselect_b32 s1, s28, s17
	s_cselect_b32 s0, s27, s5
	s_xor_b64 s[22:23], s[22:23], 0
	s_mov_b32 s17, 0
	s_xor_b64 s[0:1], s[0:1], s[22:23]
	s_sub_u32 s0, s0, s22
.LBB51_11:                              ;   in Loop: Header=BB51_9 Depth=1
	s_andn2_b32 vcc_lo, exec_lo, s17
	s_cbranch_vccnz .LBB51_13
; %bb.12:                               ;   in Loop: Header=BB51_9 Depth=1
	v_readfirstlane_b32 s0, v4
	s_mul_i32 s1, s6, s0
	s_mul_hi_u32 s1, s0, s1
	s_add_i32 s0, s0, s1
	s_mul_hi_u32 s0, s16, s0
	s_mul_i32 s1, s0, s9
	s_add_i32 s5, s0, 1
	s_sub_i32 s1, s16, s1
	s_sub_i32 s16, s1, s9
	s_cmp_ge_u32 s1, s9
	s_cselect_b32 s0, s5, s0
	s_cselect_b32 s1, s16, s1
	s_add_i32 s5, s0, 1
	s_cmp_ge_u32 s1, s9
	s_cselect_b32 s0, s5, s0
.LBB51_13:                              ;   in Loop: Header=BB51_9 Depth=1
	s_cmp_lg_u32 s10, s0
	s_mov_b32 s16, -1
                                        ; implicit-def: $sgpr5
                                        ; implicit-def: $vgpr8
                                        ; implicit-def: $vgpr7
                                        ; implicit-def: $vgpr9
                                        ; implicit-def: $sgpr1
                                        ; implicit-def: $sgpr21
	s_cbranch_scc0 .LBB51_18
; %bb.14:                               ;   in Loop: Header=BB51_9 Depth=1
	s_add_i32 s22, s20, s7
	s_mov_b32 s17, s4
	s_add_i32 s1, s22, s9
	s_mov_b32 s21, s10
	s_lshl_b32 s1, s1, 1
	s_add_i32 s16, s1, s8
	s_mul_hi_u32 s1, s0, s12
	s_lshl_b64 s[16:17], s[16:17], 3
	s_add_u32 s16, s18, s16
	s_addc_u32 s17, s19, s17
	s_add_i32 s1, s1, s0
	s_lshr_b32 s1, s1, s13
	s_mul_i32 s5, s1, s14
	s_cmp_eq_u32 s5, s0
	s_cselect_b32 s5, -1, 0
	s_cmp_lt_u32 s1, s11
	s_cselect_b32 s1, -1, 0
	s_or_b32 s1, s1, s5
	s_mov_b32 s5, -1
	s_and_b32 vcc_lo, exec_lo, s1
	s_mov_b32 s1, s20
	s_cbranch_vccnz .LBB51_16
; %bb.15:                               ;   in Loop: Header=BB51_9 Depth=1
	s_add_i32 s1, s20, -1
	s_mov_b32 s5, 0
	s_mov_b32 s21, s0
.LBB51_16:                              ;   in Loop: Header=BB51_9 Depth=1
	v_lshl_add_u32 v7, s22, 8, v0
	s_load_dwordx2 s[16:17], s[16:17], 0x0
	v_ashrrev_i32_e32 v8, 31, v7
	v_lshlrev_b64 v[7:8], 2, v[7:8]
	v_add_co_u32 v7, vcc_lo, s2, v7
	v_add_co_ci_u32_e64 v8, null, s15, v8, vcc_lo
	s_waitcnt lgkmcnt(0)
	v_max_f32_e64 v9, s16, s16
	global_load_dword v8, v[7:8], off
	v_max_f32_e32 v7, v6, v6
	v_max_f32_e32 v7, v7, v9
	v_sub_f32_e32 v9, s16, v7
	v_sub_f32_e32 v10, v6, v7
	v_mul_f32_e32 v11, 0x3fb8aa3b, v9
	v_mul_f32_e32 v12, 0x3fb8aa3b, v10
	v_cmp_ngt_f32_e32 vcc_lo, 0xc2ce8ed0, v9
	v_fma_f32 v13, 0x3fb8aa3b, v9, -v11
	v_rndne_f32_e32 v14, v11
	v_fma_f32 v15, 0x3fb8aa3b, v10, -v12
	v_rndne_f32_e32 v16, v12
	v_fmac_f32_e32 v13, 0x32a5705f, v9
	v_sub_f32_e32 v11, v11, v14
	v_fmac_f32_e32 v15, 0x32a5705f, v10
	v_sub_f32_e32 v12, v12, v16
	v_add_f32_e32 v11, v11, v13
	v_cvt_i32_f32_e32 v13, v14
	v_add_f32_e32 v12, v12, v15
	v_cvt_i32_f32_e32 v14, v16
	v_exp_f32_e32 v11, v11
	v_exp_f32_e32 v12, v12
	v_ldexp_f32 v11, v11, v13
	v_ldexp_f32 v12, v12, v14
	v_cndmask_b32_e32 v11, 0, v11, vcc_lo
	v_cmp_ngt_f32_e32 vcc_lo, 0xc2ce8ed0, v10
	v_cndmask_b32_e32 v12, 0, v12, vcc_lo
	v_cmp_nlt_f32_e32 vcc_lo, 0x42b17218, v9
	v_cndmask_b32_e32 v11, 0x7f800000, v11, vcc_lo
	v_cmp_nlt_f32_e32 vcc_lo, 0x42b17218, v10
	v_cndmask_b32_e32 v12, 0x7f800000, v12, vcc_lo
	v_cmp_le_f32_e32 vcc_lo, 0xc1a00000, v9
	v_cndmask_b32_e32 v9, 0, v11, vcc_lo
	v_cmp_le_f32_e32 vcc_lo, 0xc1a00000, v10
	v_cndmask_b32_e32 v10, 0, v12, vcc_lo
	s_waitcnt vmcnt(0)
	v_mul_f32_e32 v8, v8, v9
	v_mul_f32_e32 v9, s17, v9
	v_fmac_f32_e32 v8, v3, v10
	v_fmac_f32_e32 v9, v5, v10
	s_cbranch_execz .LBB51_19
.LBB51_17:                              ;   in Loop: Header=BB51_9 Depth=1
	s_andn2_b32 vcc_lo, exec_lo, s5
	s_cbranch_vccnz .LBB51_20
	s_branch .LBB51_23
.LBB51_18:                              ;   in Loop: Header=BB51_9 Depth=1
	s_andn2_b32 vcc_lo, exec_lo, s16
	s_cbranch_vccnz .LBB51_17
.LBB51_19:                              ;   in Loop: Header=BB51_9 Depth=1
	v_mov_b32_e32 v9, v5
	v_mov_b32_e32 v7, v6
	s_waitcnt vmcnt(0)
	v_mov_b32_e32 v8, v3
	s_add_i32 s1, s20, -1
	s_mov_b32 s21, s10
	s_cbranch_execz .LBB51_23
.LBB51_20:                              ;   in Loop: Header=BB51_9 Depth=1
	v_mov_b32_e32 v5, v9
	v_mov_b32_e32 v6, v7
	s_waitcnt vmcnt(0)
	v_mov_b32_e32 v3, v8
	s_mov_b32 s10, s21
	s_mov_b32 s20, s1
	s_branch .LBB51_9
.LBB51_21:
                                        ; implicit-def: $sgpr10_sgpr11
	s_load_dwordx4 s[12:15], s[4:5], 0x44
	s_branch .LBB51_2
.LBB51_22:
                                        ; implicit-def: $sgpr18_sgpr19
	s_branch .LBB51_5
.LBB51_23:
	v_div_scale_f32 v0, null, v9, v9, v8
	s_waitcnt vmcnt(0)
	v_rcp_f32_e32 v3, v0
	v_fma_f32 v4, -v0, v3, 1.0
	v_fmac_f32_e32 v3, v4, v3
	v_div_scale_f32 v4, vcc_lo, v8, v9, v8
	v_mul_f32_e32 v5, v4, v3
	v_fma_f32 v6, -v0, v5, v4
	v_fmac_f32_e32 v5, v6, v3
	v_fma_f32 v0, -v0, v5, v4
	v_div_fmas_f32 v0, v0, v3, v5
	v_div_fixup_f32 v0, v0, v9, v8
	global_store_dword v[1:2], v0, off
.LBB51_24:
	s_endpgm
	.section	.rodata,"a",@progbits
	.p2align	6, 0x0
	.amdhsa_kernel _ZL33flash_attn_stream_k_fixup_generalILi128ELi1ELi2EEvPfPK15HIP_vector_typeIfLj2EEiiiiS1_IjLj3EES5_S5_S5_
		.amdhsa_group_segment_fixed_size 0
		.amdhsa_private_segment_fixed_size 0
		.amdhsa_kernarg_size 336
		.amdhsa_user_sgpr_count 6
		.amdhsa_user_sgpr_private_segment_buffer 1
		.amdhsa_user_sgpr_dispatch_ptr 0
		.amdhsa_user_sgpr_queue_ptr 0
		.amdhsa_user_sgpr_kernarg_segment_ptr 1
		.amdhsa_user_sgpr_dispatch_id 0
		.amdhsa_user_sgpr_flat_scratch_init 0
		.amdhsa_user_sgpr_private_segment_size 0
		.amdhsa_wavefront_size32 1
		.amdhsa_uses_dynamic_stack 0
		.amdhsa_system_sgpr_private_segment_wavefront_offset 0
		.amdhsa_system_sgpr_workgroup_id_x 1
		.amdhsa_system_sgpr_workgroup_id_y 1
		.amdhsa_system_sgpr_workgroup_id_z 1
		.amdhsa_system_sgpr_workgroup_info 0
		.amdhsa_system_vgpr_workitem_id 0
		.amdhsa_next_free_vgpr 17
		.amdhsa_next_free_sgpr 32
		.amdhsa_reserve_vcc 1
		.amdhsa_reserve_flat_scratch 0
		.amdhsa_float_round_mode_32 0
		.amdhsa_float_round_mode_16_64 0
		.amdhsa_float_denorm_mode_32 3
		.amdhsa_float_denorm_mode_16_64 3
		.amdhsa_dx10_clamp 1
		.amdhsa_ieee_mode 1
		.amdhsa_fp16_overflow 0
		.amdhsa_workgroup_processor_mode 1
		.amdhsa_memory_ordered 1
		.amdhsa_forward_progress 1
		.amdhsa_shared_vgpr_count 0
		.amdhsa_exception_fp_ieee_invalid_op 0
		.amdhsa_exception_fp_denorm_src 0
		.amdhsa_exception_fp_ieee_div_zero 0
		.amdhsa_exception_fp_ieee_overflow 0
		.amdhsa_exception_fp_ieee_underflow 0
		.amdhsa_exception_fp_ieee_inexact 0
		.amdhsa_exception_int_div_zero 0
	.end_amdhsa_kernel
	.section	.text._ZL33flash_attn_stream_k_fixup_generalILi128ELi1ELi2EEvPfPK15HIP_vector_typeIfLj2EEiiiiS1_IjLj3EES5_S5_S5_,"axG",@progbits,_ZL33flash_attn_stream_k_fixup_generalILi128ELi1ELi2EEvPfPK15HIP_vector_typeIfLj2EEiiiiS1_IjLj3EES5_S5_S5_,comdat
.Lfunc_end51:
	.size	_ZL33flash_attn_stream_k_fixup_generalILi128ELi1ELi2EEvPfPK15HIP_vector_typeIfLj2EEiiiiS1_IjLj3EES5_S5_S5_, .Lfunc_end51-_ZL33flash_attn_stream_k_fixup_generalILi128ELi1ELi2EEvPfPK15HIP_vector_typeIfLj2EEiiiiS1_IjLj3EES5_S5_S5_
                                        ; -- End function
	.set _ZL33flash_attn_stream_k_fixup_generalILi128ELi1ELi2EEvPfPK15HIP_vector_typeIfLj2EEiiiiS1_IjLj3EES5_S5_S5_.num_vgpr, 17
	.set _ZL33flash_attn_stream_k_fixup_generalILi128ELi1ELi2EEvPfPK15HIP_vector_typeIfLj2EEiiiiS1_IjLj3EES5_S5_S5_.num_agpr, 0
	.set _ZL33flash_attn_stream_k_fixup_generalILi128ELi1ELi2EEvPfPK15HIP_vector_typeIfLj2EEiiiiS1_IjLj3EES5_S5_S5_.numbered_sgpr, 32
	.set _ZL33flash_attn_stream_k_fixup_generalILi128ELi1ELi2EEvPfPK15HIP_vector_typeIfLj2EEiiiiS1_IjLj3EES5_S5_S5_.num_named_barrier, 0
	.set _ZL33flash_attn_stream_k_fixup_generalILi128ELi1ELi2EEvPfPK15HIP_vector_typeIfLj2EEiiiiS1_IjLj3EES5_S5_S5_.private_seg_size, 0
	.set _ZL33flash_attn_stream_k_fixup_generalILi128ELi1ELi2EEvPfPK15HIP_vector_typeIfLj2EEiiiiS1_IjLj3EES5_S5_S5_.uses_vcc, 1
	.set _ZL33flash_attn_stream_k_fixup_generalILi128ELi1ELi2EEvPfPK15HIP_vector_typeIfLj2EEiiiiS1_IjLj3EES5_S5_S5_.uses_flat_scratch, 0
	.set _ZL33flash_attn_stream_k_fixup_generalILi128ELi1ELi2EEvPfPK15HIP_vector_typeIfLj2EEiiiiS1_IjLj3EES5_S5_S5_.has_dyn_sized_stack, 0
	.set _ZL33flash_attn_stream_k_fixup_generalILi128ELi1ELi2EEvPfPK15HIP_vector_typeIfLj2EEiiiiS1_IjLj3EES5_S5_S5_.has_recursion, 0
	.set _ZL33flash_attn_stream_k_fixup_generalILi128ELi1ELi2EEvPfPK15HIP_vector_typeIfLj2EEiiiiS1_IjLj3EES5_S5_S5_.has_indirect_call, 0
	.section	.AMDGPU.csdata,"",@progbits
; Kernel info:
; codeLenInByte = 2924
; TotalNumSgprs: 34
; NumVgprs: 17
; ScratchSize: 0
; MemoryBound: 0
; FloatMode: 240
; IeeeMode: 1
; LDSByteSize: 0 bytes/workgroup (compile time only)
; SGPRBlocks: 0
; VGPRBlocks: 2
; NumSGPRsForWavesPerEU: 34
; NumVGPRsForWavesPerEU: 17
; Occupancy: 16
; WaveLimiterHint : 0
; COMPUTE_PGM_RSRC2:SCRATCH_EN: 0
; COMPUTE_PGM_RSRC2:USER_SGPR: 6
; COMPUTE_PGM_RSRC2:TRAP_HANDLER: 0
; COMPUTE_PGM_RSRC2:TGID_X_EN: 1
; COMPUTE_PGM_RSRC2:TGID_Y_EN: 1
; COMPUTE_PGM_RSRC2:TGID_Z_EN: 1
; COMPUTE_PGM_RSRC2:TIDIG_COMP_CNT: 0
	.section	.text._ZL15flash_attn_tileILi128ELi128ELi64ELi1ELb0EEvPKcS1_S1_S1_S1_PKiPfP15HIP_vector_typeIfLj2EEffffjfiS5_IjLj3EEiiiiiiiiiiiliiliiiiil,"axG",@progbits,_ZL15flash_attn_tileILi128ELi128ELi64ELi1ELb0EEvPKcS1_S1_S1_S1_PKiPfP15HIP_vector_typeIfLj2EEffffjfiS5_IjLj3EEiiiiiiiiiiiliiliiiiil,comdat
	.globl	_ZL15flash_attn_tileILi128ELi128ELi64ELi1ELb0EEvPKcS1_S1_S1_S1_PKiPfP15HIP_vector_typeIfLj2EEffffjfiS5_IjLj3EEiiiiiiiiiiiliiliiiiil ; -- Begin function _ZL15flash_attn_tileILi128ELi128ELi64ELi1ELb0EEvPKcS1_S1_S1_S1_PKiPfP15HIP_vector_typeIfLj2EEffffjfiS5_IjLj3EEiiiiiiiiiiiliiliiiiil
	.p2align	8
	.type	_ZL15flash_attn_tileILi128ELi128ELi64ELi1ELb0EEvPKcS1_S1_S1_S1_PKiPfP15HIP_vector_typeIfLj2EEffffjfiS5_IjLj3EEiiiiiiiiiiiliiliiiiil,@function
_ZL15flash_attn_tileILi128ELi128ELi64ELi1ELb0EEvPKcS1_S1_S1_S1_PKiPfP15HIP_vector_typeIfLj2EEffffjfiS5_IjLj3EEiiiiiiiiiiiliiliiiiil: ; @_ZL15flash_attn_tileILi128ELi128ELi64ELi1ELb0EEvPKcS1_S1_S1_S1_PKiPfP15HIP_vector_typeIfLj2EEffffjfiS5_IjLj3EEiiiiiiiiiiiliiliiiiil
; %bb.0:
	s_add_u32 s6, s6, s11
	s_addc_u32 s7, s7, 0
	s_setreg_b32 hwreg(HW_REG_FLAT_SCR_LO), s6
	s_setreg_b32 hwreg(HW_REG_FLAT_SCR_HI), s7
	s_clause 0x1
	s_load_dwordx4 s[28:31], s[4:5], 0x5c
	s_load_dwordx2 s[48:49], s[4:5], 0x80
	s_add_u32 s0, s0, s11
	s_addc_u32 s1, s1, 0
	s_mov_b32 s34, s9
	s_load_dwordx2 s[50:51], s[4:5], 0xb8
	s_mov_b64 s[46:47], 0
	s_waitcnt lgkmcnt(0)
	v_cvt_f32_u32_e32 v2, s31
	s_sub_i32 s7, 0, s31
	v_rcp_iflag_f32_e32 v2, v2
	v_mul_f32_e32 v2, 0x4f7ffffe, v2
	v_cvt_u32_f32_e32 v2, v2
	v_readfirstlane_b32 s6, v2
	s_mul_i32 s7, s7, s6
	s_mul_hi_u32 s7, s6, s7
	s_add_i32 s6, s6, s7
	s_mul_hi_u32 s6, s10, s6
	s_mul_i32 s7, s6, s31
	s_add_i32 s9, s6, 1
	s_sub_i32 s7, s10, s7
	s_sub_i32 s11, s7, s31
	s_cmp_ge_u32 s7, s31
	s_cselect_b32 s6, s9, s6
	s_cselect_b32 s7, s11, s7
	s_add_i32 s9, s6, 1
	s_cmp_ge_u32 s7, s31
	s_cselect_b32 s33, s9, s6
	s_abs_i32 s6, s49
	s_abs_i32 s12, s31
	v_cvt_f32_u32_e32 v2, s6
	s_sub_i32 s9, 0, s6
	s_mul_i32 s11, s33, s31
	s_sub_i32 s44, s10, s11
	v_rcp_iflag_f32_e32 v2, v2
	v_mul_f32_e32 v2, 0x4f7ffffe, v2
	v_cvt_u32_f32_e32 v2, v2
	v_readfirstlane_b32 s7, v2
	s_mul_i32 s9, s9, s7
	s_mul_hi_u32 s9, s7, s9
	s_add_i32 s7, s7, s9
	s_xor_b32 s9, s31, s49
	s_mul_hi_u32 s7, s12, s7
	s_ashr_i32 s9, s9, 31
	s_mul_i32 s10, s7, s6
	s_add_i32 s11, s7, 1
	s_sub_i32 s10, s12, s10
	s_sub_i32 s12, s10, s6
	s_cmp_ge_u32 s10, s6
	s_cselect_b32 s7, s11, s7
	s_cselect_b32 s10, s12, s10
	s_add_i32 s11, s7, 1
	s_cmp_ge_u32 s10, s6
	s_load_dwordx16 s[12:27], s[4:5], 0x0
	s_cselect_b32 s6, s11, s7
	s_abs_i32 s49, s44
	s_xor_b32 s6, s6, s9
	s_sub_i32 s10, s6, s9
	s_abs_i32 s35, s10
	v_cvt_f32_u32_e32 v2, s35
	s_sub_i32 s7, 0, s35
	v_rcp_iflag_f32_e32 v2, v2
	v_mul_f32_e32 v2, 0x4f7ffffe, v2
	v_cvt_u32_f32_e32 v2, v2
	v_readfirstlane_b32 s6, v2
	s_mul_i32 s7, s7, s6
	s_mul_hi_u32 s7, s6, s7
	s_add_i32 s6, s6, s7
	s_waitcnt lgkmcnt(0)
	s_cmp_eq_u64 s[18:19], 0
	s_cbranch_scc1 .LBB52_2
; %bb.1:
	s_abs_i32 s7, s50
	s_abs_i32 s38, s33
	v_cvt_f32_u32_e32 v2, s7
	s_sub_i32 s11, 0, s7
	s_load_dwordx2 s[36:37], s[4:5], 0xc8
	v_rcp_iflag_f32_e32 v2, v2
	v_mul_f32_e32 v2, 0x4f7ffffe, v2
	v_cvt_u32_f32_e32 v2, v2
	v_readfirstlane_b32 s9, v2
	s_mul_i32 s11, s11, s9
	s_mul_hi_u32 s11, s9, s11
	s_add_i32 s9, s9, s11
	s_ashr_i32 s11, s33, 31
	s_mul_hi_u32 s9, s38, s9
	s_mul_i32 s9, s9, s7
	s_sub_i32 s9, s38, s9
	s_sub_i32 s38, s9, s7
	s_cmp_ge_u32 s9, s7
	s_cselect_b32 s9, s38, s9
	s_sub_i32 s38, s9, s7
	s_cmp_ge_u32 s9, s7
	s_cselect_b32 s7, s38, s9
	s_xor_b32 s7, s7, s11
	s_sub_i32 s7, s7, s11
	s_ashr_i32 s9, s7, 31
	s_waitcnt lgkmcnt(0)
	s_mul_hi_u32 s11, s36, s7
	s_mul_i32 s9, s36, s9
	s_add_i32 s9, s11, s9
	s_mul_i32 s11, s37, s7
	s_mul_i32 s7, s36, s7
	s_add_i32 s9, s9, s11
	s_add_u32 s46, s18, s7
	s_addc_u32 s47, s19, s9
.LBB52_2:
	s_clause 0x1
	s_load_dwordx4 s[36:39], s[4:5], 0x40
	s_load_dword s7, s[4:5], 0x50
	v_mov_b32_e32 v24, 1.0
	s_waitcnt lgkmcnt(0)
	v_cmp_le_f32_e64 s9, s37, 0
	s_mul_hi_u32 s37, s49, s6
	s_and_b32 vcc_lo, exec_lo, s9
	s_cbranch_vccnz .LBB52_4
; %bb.3:
	v_sub_co_u32 v3, vcc_lo, s44, s7
	v_mov_b32_e32 v2, s38
	s_add_i32 s6, s44, 1
	v_lshlrev_b32_e32 v3, 1, v3
	v_cndmask_b32_e32 v2, s39, v2, vcc_lo
	v_or_b32_e32 v3, 1, v3
	v_cndmask_b32_e64 v3, v3, s6, vcc_lo
	v_cmp_neq_f32_e32 vcc_lo, 1.0, v2
	s_mov_b32 s6, 0x3e76c4e1
	v_cvt_f32_i32_e32 v3, v3
	v_cndmask_b32_e32 v4, 1.0, v3, vcc_lo
	v_cmp_neq_f32_e32 vcc_lo, 0, v4
	v_cndmask_b32_e32 v5, 1.0, v2, vcc_lo
	v_frexp_mant_f32_e64 v2, |v5|
	v_cmp_eq_f32_e64 s9, 0, v5
	v_cmp_gt_f32_e32 vcc_lo, 0x3f2aaaab, v2
	v_cndmask_b32_e64 v3, 1.0, 2.0, vcc_lo
	v_mul_f32_e32 v2, v2, v3
	v_add_f32_e32 v3, 1.0, v2
	v_add_f32_e32 v7, -1.0, v2
	v_rcp_f32_e32 v6, v3
	v_add_f32_e32 v9, -1.0, v3
	v_sub_f32_e32 v2, v2, v9
	v_mul_f32_e32 v8, v7, v6
	v_mul_f32_e32 v10, v3, v8
	v_fma_f32 v3, v8, v3, -v10
	v_fmac_f32_e32 v3, v8, v2
	v_add_f32_e32 v2, v10, v3
	v_sub_f32_e32 v9, v7, v2
	v_sub_f32_e32 v10, v2, v10
	;; [unrolled: 1-line block ×5, first 2 shown]
	v_add_f32_e32 v2, v3, v2
	v_add_f32_e32 v2, v9, v2
	v_mul_f32_e32 v2, v6, v2
	v_add_f32_e32 v6, v8, v2
	v_sub_f32_e32 v3, v6, v8
	v_mul_f32_e32 v7, v6, v6
	v_sub_f32_e32 v8, v2, v3
	v_fma_f32 v2, v6, v6, -v7
	v_add_f32_e32 v3, v8, v8
	v_fmac_f32_e32 v2, v6, v3
	v_add_f32_e32 v9, v7, v2
	v_fmaak_f32 v3, s6, v9, 0x3e91f4c4
	v_sub_f32_e32 v7, v9, v7
	v_mul_f32_e32 v14, v6, v9
	v_fmaak_f32 v3, v9, v3, 0x3ecccdef
	v_sub_f32_e32 v7, v2, v7
	v_fma_f32 v15, v9, v6, -v14
	v_mul_f32_e32 v10, v9, v3
	v_fmac_f32_e32 v15, v9, v8
	v_ldexp_f32 v8, v8, 1
	v_fma_f32 v11, v9, v3, -v10
	v_fmac_f32_e32 v15, v7, v6
	v_fmac_f32_e32 v11, v7, v3
	v_cvt_f64_f32_e64 v[2:3], |v5|
	v_add_f32_e32 v12, v10, v11
	v_sub_f32_e32 v10, v12, v10
	v_add_f32_e32 v13, 0x3f2aaaaa, v12
	v_sub_f32_e32 v10, v11, v10
	v_add_f32_e32 v11, 0xbf2aaaaa, v13
	v_add_f32_e32 v10, 0x31739010, v10
	v_sub_f32_e32 v11, v12, v11
	v_frexp_exp_i32_f64_e32 v2, v[2:3]
	v_add_f32_e32 v9, v10, v11
	v_add_f32_e32 v10, v14, v15
	;; [unrolled: 1-line block ×3, first 2 shown]
	v_sub_f32_e32 v12, v10, v14
	v_sub_f32_e32 v3, v13, v7
	v_mul_f32_e32 v11, v10, v7
	v_sub_f32_e32 v12, v15, v12
	v_add_f32_e32 v3, v9, v3
	v_fma_f32 v9, v10, v7, -v11
	v_subrev_co_ci_u32_e64 v2, null, 0, v2, vcc_lo
	v_fmac_f32_e32 v9, v10, v3
	v_ldexp_f32 v3, v6, 1
	v_cvt_f32_i32_e32 v2, v2
	v_fmac_f32_e32 v9, v12, v7
	v_add_f32_e32 v6, v11, v9
	v_add_f32_e32 v7, v3, v6
	v_sub_f32_e32 v10, v6, v11
	v_mul_f32_e32 v11, 0x3f317218, v2
	v_sub_f32_e32 v3, v7, v3
	v_sub_f32_e32 v9, v9, v10
	v_fma_f32 v10, 0x3f317218, v2, -v11
	v_sub_f32_e32 v3, v6, v3
	v_add_f32_e32 v6, v8, v9
	v_fmamk_f32 v2, v2, 0xb102e308, v10
	v_add_f32_e32 v3, v6, v3
	v_add_f32_e32 v6, v11, v2
	;; [unrolled: 1-line block ×3, first 2 shown]
	v_sub_f32_e32 v11, v6, v11
	v_add_f32_e32 v9, v6, v8
	v_sub_f32_e32 v7, v8, v7
	v_sub_f32_e32 v2, v2, v11
	;; [unrolled: 1-line block ×6, first 2 shown]
	v_add_f32_e32 v8, v2, v3
	v_sub_f32_e32 v6, v6, v12
	v_add_f32_e32 v6, v7, v6
	v_sub_f32_e32 v7, v8, v2
	;; [unrolled: 2-line block ×3, first 2 shown]
	v_sub_f32_e32 v3, v3, v7
	v_add_f32_e32 v10, v9, v6
	v_sub_f32_e32 v2, v2, v8
	v_sub_f32_e32 v7, v10, v9
	v_add_f32_e32 v2, v3, v2
	v_sub_f32_e32 v3, v6, v7
	v_add_f32_e32 v2, v2, v3
	v_add_f32_e32 v3, v10, v2
	v_sub_f32_e32 v6, v3, v10
	v_mul_f32_e32 v7, v4, v3
	v_sub_f32_e32 v2, v2, v6
	v_fma_f32 v3, v4, v3, -v7
	v_cmp_class_f32_e64 vcc_lo, v7, 0x204
	v_fmac_f32_e32 v3, v4, v2
	v_add_f32_e32 v2, v7, v3
	v_cndmask_b32_e32 v6, v2, v7, vcc_lo
	v_sub_f32_e32 v2, v2, v7
	v_cmp_eq_f32_e32 vcc_lo, 0x42b17218, v6
	v_sub_f32_e32 v2, v3, v2
	v_cndmask_b32_e64 v8, 0, 0x37000000, vcc_lo
	v_cmp_neq_f32_e64 vcc_lo, 0x7f800000, |v6|
	v_sub_f32_e32 v9, v6, v8
	v_cndmask_b32_e32 v2, 0, v2, vcc_lo
	v_trunc_f32_e32 v6, v4
	v_mul_f32_e32 v10, 0x3fb8aa3b, v9
	v_cmp_ngt_f32_e32 vcc_lo, 0xc2ce8ed0, v9
	v_add_f32_e32 v2, v8, v2
	v_fma_f32 v11, 0x3fb8aa3b, v9, -v10
	v_rndne_f32_e32 v12, v10
	v_fmamk_f32 v11, v9, 0x32a5705f, v11
	v_sub_f32_e32 v10, v10, v12
	v_cvt_i32_f32_e32 v7, v12
	v_add_f32_e32 v10, v10, v11
	v_exp_f32_e32 v10, v10
	v_ldexp_f32 v3, v10, v7
	v_mul_f32_e32 v7, 0.5, v4
	v_cndmask_b32_e32 v3, 0, v3, vcc_lo
	v_cmp_nlt_f32_e32 vcc_lo, 0x42b17218, v9
	v_trunc_f32_e32 v10, v7
	v_cndmask_b32_e32 v3, 0x7f800000, v3, vcc_lo
	v_cmp_eq_f32_e32 vcc_lo, v6, v4
	v_cmp_neq_f32_e64 s6, v10, v7
	v_fma_f32 v2, v3, v2, v3
	v_cmp_class_f32_e64 s7, v3, 0x204
	s_and_b32 s6, vcc_lo, s6
	v_cndmask_b32_e64 v6, 1.0, v5, s6
	v_cndmask_b32_e64 v2, v2, v3, s7
	v_cmp_gt_f32_e64 s7, 0, v4
	v_bfi_b32 v2, 0x7fffffff, v2, v6
	s_xor_b32 s7, s7, s9
	v_cndmask_b32_e64 v6, 0, v5, s6
	v_cndmask_b32_e64 v3, 0x7f800000, 0, s7
	v_cmp_class_f32_e64 s6, v5, 0x204
	v_cndmask_b32_e32 v4, 0x7fc00000, v2, vcc_lo
	v_cmp_gt_f32_e32 vcc_lo, 0, v5
	v_bfi_b32 v3, 0x7fffffff, v3, v6
	v_cndmask_b32_e32 v2, v2, v4, vcc_lo
	s_or_b32 vcc_lo, s9, s6
	v_cndmask_b32_e32 v2, v2, v3, vcc_lo
	v_cmp_o_f32_e32 vcc_lo, v5, v5
	v_cndmask_b32_e32 v24, 0x7fc00000, v2, vcc_lo
.LBB52_4:
	v_lshlrev_b32_e32 v26, 3, v1
	s_lshl_b32 s18, s8, 6
	s_load_dwordx4 s[40:43], s[4:5], 0x70
	s_ashr_i32 s45, s44, 31
	s_ashr_i32 s38, s10, 31
	v_or_b32_e32 v40, 1, v26
	v_add_nc_u32_e32 v27, s18, v26
	v_or_b32_e32 v37, 2, v26
	v_or_b32_e32 v36, 3, v26
	;; [unrolled: 1-line block ×3, first 2 shown]
	v_add_nc_u32_e32 v42, s18, v40
	v_mul_hi_u32 v2, v27, s28
	v_add_nc_u32_e32 v41, s18, v37
	v_add_nc_u32_e32 v39, s18, v36
	;; [unrolled: 1-line block ×3, first 2 shown]
	v_mul_hi_u32 v3, v42, s28
	v_or_b32_e32 v31, 5, v26
	v_mul_hi_u32 v4, v41, s28
	v_mul_hi_u32 v5, v39, s28
	v_add_nc_u32_e32 v2, v27, v2
	v_mul_hi_u32 v12, v35, s28
	v_add_nc_u32_e32 v34, s18, v31
	s_waitcnt lgkmcnt(0)
	s_mul_i32 s6, s33, s42
	v_add_nc_u32_e32 v3, v42, v3
	v_lshrrev_b32_e32 v2, s29, v2
	v_add_nc_u32_e32 v4, v41, v4
	s_mul_i32 s7, s44, s41
	s_ashr_i32 s9, s6, 31
	v_lshrrev_b32_e32 v3, s29, v3
	v_mul_lo_u32 v2, v2, s30
	v_lshrrev_b32_e32 v4, s29, v4
	s_add_u32 s6, s12, s6
	s_addc_u32 s9, s13, s9
	v_mul_lo_u32 v6, v3, s30
	s_ashr_i32 s10, s7, 31
	s_add_u32 s11, s6, s7
	s_addc_u32 s9, s9, s10
	v_sub_nc_u32_e32 v18, v27, v2
	s_ashr_i32 s41, s40, 31
	v_mul_lo_u32 v7, v4, s30
	s_lshr_b64 s[6:7], s[40:41], 2
	v_sub_nc_u32_e32 v11, v42, v6
	v_mad_u64_u32 v[3:4], null, s6, v18, 0
	v_add_nc_u32_e32 v13, v39, v5
	s_lshr_b32 s7, s41, 2
	v_mad_u64_u32 v[5:6], null, s6, v11, 0
	v_sub_nc_u32_e32 v14, v41, v7
	v_lshrrev_b32_e32 v13, s29, v13
	v_lshlrev_b32_e32 v2, 4, v0
	v_add_nc_u32_e32 v12, v35, v12
	v_or_b32_e32 v30, 6, v26
	v_mad_u64_u32 v[7:8], null, s6, v14, 0
	v_mad_u64_u32 v[9:10], null, s7, v18, v[4:5]
	v_mov_b32_e32 v4, v6
	v_add_co_u32 v25, s10, s11, v2
	v_add_co_ci_u32_e64 v38, null, s9, 0, s10
	v_mad_u64_u32 v[10:11], null, s7, v11, v[4:5]
	v_mul_lo_u32 v11, v13, s30
	v_mov_b32_e32 v6, v8
	v_mov_b32_e32 v4, v9
	v_mul_hi_u32 v13, v34, s28
	v_or_b32_e32 v28, 7, v26
	v_add_nc_u32_e32 v33, s18, v30
	v_mad_u64_u32 v[8:9], null, s7, v14, v[6:7]
	v_mov_b32_e32 v6, v10
	v_sub_nc_u32_e32 v11, v39, v11
	v_lshlrev_b64 v[3:4], 2, v[3:4]
	v_lshrrev_b32_e32 v9, s29, v12
	v_add_nc_u32_e32 v29, s18, v28
	v_lshlrev_b64 v[5:6], 2, v[5:6]
	v_mad_u64_u32 v[15:16], null, s6, v11, 0
	v_add_co_u32 v3, vcc_lo, v25, v3
	v_mul_lo_u32 v12, v9, s30
	v_add_co_ci_u32_e64 v4, null, v38, v4, vcc_lo
	v_add_co_u32 v9, vcc_lo, v25, v5
	v_add_co_ci_u32_e64 v10, null, v38, v6, vcc_lo
	v_lshlrev_b64 v[5:6], 2, v[7:8]
	v_add_nc_u32_e32 v8, v34, v13
	v_mov_b32_e32 v7, v16
	v_sub_nc_u32_e32 v13, v35, v12
	v_mul_hi_u32 v12, v33, s28
	v_lshlrev_b32_e32 v49, 11, v1
	v_lshrrev_b32_e32 v14, s29, v8
	v_mad_u64_u32 v[7:8], null, s7, v11, v[7:8]
	v_mul_hi_u32 v8, v29, s28
	v_add_co_u32 v11, vcc_lo, v25, v5
	v_add_nc_u32_e32 v17, v33, v12
	v_add_co_ci_u32_e64 v12, null, v38, v6, vcc_lo
	v_mad_u64_u32 v[19:20], null, s6, v13, 0
	v_add_nc_u32_e32 v6, v29, v8
	v_mul_lo_u32 v14, v14, s30
	v_mov_b32_e32 v16, v7
	v_lshrrev_b32_e32 v7, s29, v17
	v_mov_b32_e32 v66, 0
	v_lshrrev_b32_e32 v6, s29, v6
	v_mov_b32_e32 v5, v20
	v_lshlrev_b64 v[15:16], 2, v[15:16]
	v_mul_lo_u32 v17, v7, s30
	v_sub_nc_u32_e32 v23, v34, v14
	v_mul_lo_u32 v43, v6, s30
	v_mad_u64_u32 v[20:21], null, s7, v13, v[5:6]
	v_add_co_u32 v15, vcc_lo, v25, v15
	v_mad_u64_u32 v[21:22], null, s6, v23, 0
	v_sub_nc_u32_e32 v45, v33, v17
	v_sub_nc_u32_e32 v46, v29, v43
	v_lshlrev_b64 v[19:20], 2, v[19:20]
	v_add_co_ci_u32_e64 v16, null, v38, v16, vcc_lo
	v_mad_u64_u32 v[43:44], null, s6, v45, 0
	v_mad_u64_u32 v[47:48], null, s6, v46, 0
	v_mov_b32_e32 v17, v22
	v_add_co_u32 v19, vcc_lo, v25, v19
	v_add_co_ci_u32_e64 v20, null, v38, v20, vcc_lo
	v_mad_u64_u32 v[22:23], null, s7, v23, v[17:18]
	v_mov_b32_e32 v17, v44
	v_mov_b32_e32 v23, v48
	s_clause 0x2
	global_load_dwordx4 v[3:6], v[3:4], off
	global_load_dwordx4 v[7:10], v[9:10], off
	;; [unrolled: 1-line block ×3, first 2 shown]
	s_cmp_eq_u64 s[22:23], 0
	v_mad_u64_u32 v[44:45], null, s7, v45, v[17:18]
	v_mad_u64_u32 v[45:46], null, s7, v46, v[23:24]
	v_lshlrev_b64 v[21:22], 2, v[21:22]
	s_mov_b32 s7, 0
	v_lshlrev_b64 v[58:59], 2, v[43:44]
	v_add_co_u32 v21, vcc_lo, v25, v21
	v_mov_b32_e32 v48, v45
	v_add_co_ci_u32_e64 v22, null, v38, v22, vcc_lo
	s_clause 0x2
	global_load_dwordx4 v[43:46], v[15:16], off
	global_load_dwordx4 v[50:53], v[19:20], off
	;; [unrolled: 1-line block ×3, first 2 shown]
	v_lshlrev_b64 v[15:16], 2, v[47:48]
	v_add_co_u32 v19, vcc_lo, v25, v58
	v_add_co_ci_u32_e64 v20, null, v38, v59, vcc_lo
	v_lshlrev_b32_e32 v21, 3, v0
	v_add_co_u32 v15, vcc_lo, v25, v15
	v_add_co_ci_u32_e64 v16, null, v38, v16, vcc_lo
	s_clause 0x1
	global_load_dwordx4 v[58:61], v[19:20], off
	global_load_dwordx4 v[62:65], v[15:16], off
	v_or_b32_e32 v16, v21, v49
	v_lshl_add_u32 v19, v40, 8, v21
	v_lshl_add_u32 v20, v37, 8, v21
	;; [unrolled: 1-line block ×7, first 2 shown]
	s_waitcnt vmcnt(7)
	v_fma_mixlo_f16 v4, s36, v4, 0
	v_fma_mixlo_f16 v3, s36, v3, 0
	;; [unrolled: 1-line block ×4, first 2 shown]
	s_waitcnt vmcnt(6)
	v_fma_mixlo_f16 v7, s36, v7, 0
	v_lshlrev_b32_e32 v4, 16, v4
	v_and_b32_e32 v3, 0xffff, v3
	v_lshlrev_b32_e32 v6, 16, v6
	v_and_b32_e32 v5, 0xffff, v5
	v_fma_mixlo_f16 v8, s36, v8, 0
	v_fma_mixlo_f16 v9, s36, v9, 0
	;; [unrolled: 1-line block ×3, first 2 shown]
	s_waitcnt vmcnt(5)
	v_fma_mixlo_f16 v11, s36, v11, 0
	v_fma_mixlo_f16 v12, s36, v12, 0
	;; [unrolled: 1-line block ×4, first 2 shown]
	v_or_b32_e32 v3, v4, v3
	v_or3_b32 v4, v6, v5, 0
	v_lshlrev_b32_e32 v5, 16, v8
	s_waitcnt vmcnt(4)
	v_fma_mixlo_f16 v15, s36, v43, 0
	v_fma_mixlo_f16 v17, s36, v44, 0
	v_fma_mixlo_f16 v43, s36, v45, 0
	v_fma_mixlo_f16 v44, s36, v46, 0
	s_waitcnt vmcnt(3)
	v_fma_mixlo_f16 v45, s36, v50, 0
	v_fma_mixlo_f16 v46, s36, v51, 0
	v_fma_mixlo_f16 v48, s36, v52, 0
	v_fma_mixlo_f16 v50, s36, v53, 0
	s_waitcnt vmcnt(2)
	v_fma_mixlo_f16 v51, s36, v54, 0
	v_fma_mixlo_f16 v52, s36, v55, 0
	v_fma_mixlo_f16 v53, s36, v56, 0
	v_fma_mixlo_f16 v54, s36, v57, 0
	v_and_b32_e32 v6, 0xffff, v7
	v_lshlrev_b32_e32 v7, 16, v10
	s_waitcnt vmcnt(1)
	v_fma_mixlo_f16 v55, s36, v58, 0
	v_fma_mixlo_f16 v56, s36, v59, 0
	;; [unrolled: 1-line block ×4, first 2 shown]
	s_waitcnt vmcnt(0)
	v_fma_mixlo_f16 v59, s36, v62, 0
	v_fma_mixlo_f16 v60, s36, v63, 0
	v_and_b32_e32 v8, 0xffff, v9
	v_lshlrev_b32_e32 v9, 16, v12
	v_and_b32_e32 v10, 0xffff, v11
	v_lshlrev_b32_e32 v11, 16, v14
	;; [unrolled: 2-line block ×7, first 2 shown]
	v_and_b32_e32 v50, 0xffff, v51
	v_fma_mixlo_f16 v61, s36, v64, 0
	v_fma_mixlo_f16 v62, s36, v65, 0
	v_lshlrev_b32_e32 v51, 16, v54
	v_and_b32_e32 v52, 0xffff, v53
	v_lshlrev_b32_e32 v53, 16, v56
	v_and_b32_e32 v54, 0xffff, v55
	;; [unrolled: 2-line block ×4, first 2 shown]
	v_or3_b32 v3, 0, 0, v3
	v_or_b32_e32 v6, v5, v6
	v_or3_b32 v5, v7, v8, 0
	v_or_b32_e32 v8, v9, v10
	v_or_b32_e32 v10, v13, v14
	v_or3_b32 v7, v11, v12, 0
	v_or_b32_e32 v12, v43, v44
	v_or_b32_e32 v14, v48, v50
	v_lshlrev_b32_e32 v59, 16, v62
	v_and_b32_e32 v60, 0xffff, v61
	v_or_b32_e32 v43, v53, v54
	v_or_b32_e32 v44, v57, v58
	ds_write_b64 v16, v[3:4]
	v_or3_b32 v4, 0, 0, v6
	v_or3_b32 v6, 0, 0, v8
	;; [unrolled: 1-line block ×12, first 2 shown]
	ds_write_b64 v19, v[4:5]
	ds_write_b64 v20, v[6:7]
	;; [unrolled: 1-line block ×7, first 2 shown]
	s_waitcnt lgkmcnt(0)
	s_barrier
	buffer_gl0_inv
	s_cbranch_scc1 .LBB52_6
; %bb.5:
	s_load_dword s6, s[4:5], 0xd0
	s_waitcnt lgkmcnt(0)
	s_mul_i32 s6, s6, s33
	s_add_i32 s6, s6, s8
	s_lshl_b64 s[6:7], s[6:7], 2
	s_add_u32 s6, s22, s6
	s_addc_u32 s7, s23, s7
	s_load_dword s48, s[6:7], 0x0
.LBB52_6:
	s_clause 0x1
	s_load_dwordx2 s[6:7], s[4:5], 0x8c
	s_load_dwordx4 s[8:11], s[4:5], 0x98
	s_ashr_i32 s13, s33, 31
	s_load_dwordx2 s[40:41], s[4:5], 0xa8
	s_ashr_i32 s19, s51, 1
	s_mul_i32 s23, s37, s35
	v_lshlrev_b32_e32 v38, 2, v0
	v_lshrrev_b32_e32 v19, 3, v0
	v_or_b32_e32 v48, 1, v27
	v_or_b32_e32 v47, 2, v27
	;; [unrolled: 1-line block ×4, first 2 shown]
	v_and_b32_e32 v74, 28, v38
	v_or_b32_e32 v44, 5, v27
	v_or_b32_e32 v43, 6, v27
	;; [unrolled: 1-line block ×3, first 2 shown]
	v_lshrrev_b32_e32 v22, 4, v0
	v_and_b32_e32 v23, 60, v38
	v_mbcnt_lo_u32_b32 v20, -1, 0
	s_waitcnt lgkmcnt(0)
	s_ashr_i32 s22, s6, 2
	s_ashr_i32 s12, s10, 2
	s_mul_hi_u32 s6, s8, s33
	s_mul_i32 s10, s8, s13
	s_mul_i32 s9, s9, s33
	s_add_i32 s6, s6, s10
	s_mul_i32 s8, s8, s33
	s_add_i32 s6, s6, s9
	s_add_u32 s8, s14, s8
	s_addc_u32 s6, s15, s6
	s_sub_i32 s10, s49, s23
	s_xor_b32 s9, s45, s38
	s_add_i32 s14, s37, 1
	s_sub_i32 s15, s10, s35
	s_cmp_ge_u32 s10, s35
	s_mul_hi_u32 s23, s40, s33
	s_cselect_b32 s14, s14, s37
	s_cselect_b32 s10, s15, s10
	s_add_i32 s15, s14, 1
	s_cmp_ge_u32 s10, s35
	s_mul_i32 s13, s40, s13
	s_cselect_b32 s10, s15, s14
	s_mul_i32 s35, s40, s33
	s_xor_b32 s10, s10, s9
	s_sub_i32 s9, s10, s9
	s_mul_i32 s10, s41, s33
	s_mul_i32 s7, s9, s7
	s_mul_i32 s9, s9, s11
	s_ashr_i32 s15, s7, 31
	s_add_u32 s14, s8, s7
	s_addc_u32 s15, s6, s15
	s_add_i32 s6, s23, s13
	s_add_i32 s6, s6, s10
	s_add_u32 s7, s16, s35
	s_addc_u32 s6, s17, s6
	s_ashr_i32 s8, s9, 31
	s_add_u32 s9, s7, s9
	s_addc_u32 s13, s6, s8
	s_lshl_b32 s8, s34, 6
	s_sub_i32 s10, s48, 64
	s_cmp_ge_i32 s8, s10
	s_cbranch_scc1 .LBB52_43
; %bb.7:
	v_mul_hi_u32 v3, s28, v48
	v_mul_hi_u32 v6, s28, v47
	;; [unrolled: 1-line block ×7, first 2 shown]
	v_lshl_add_u32 v4, v1, 2, v19
	v_add_nc_u32_e32 v3, v48, v3
	v_add_nc_u32_e32 v6, v47, v6
	;; [unrolled: 1-line block ×4, first 2 shown]
	v_lshlrev_b32_e32 v5, 2, v74
	v_lshrrev_b32_e32 v11, s29, v3
	v_lshrrev_b32_e32 v13, s29, v6
	;; [unrolled: 1-line block ×3, first 2 shown]
	v_add_nc_u32_e32 v9, v44, v9
	v_add_nc_u32_e32 v10, v43, v10
	v_mul_lo_u32 v11, v11, s30
	v_mul_lo_u32 v13, v13, s30
	;; [unrolled: 1-line block ×3, first 2 shown]
	v_lshrrev_b32_e32 v8, s29, v8
	v_lshrrev_b32_e32 v9, s29, v9
	;; [unrolled: 1-line block ×3, first 2 shown]
	v_mul_lo_u32 v3, s22, v4
	v_mad_u32_u24 v4, 0x90, v4, v5
	v_sub_nc_u32_e32 v11, v48, v11
	v_mul_lo_u32 v8, v8, s30
	v_sub_nc_u32_e32 v7, v46, v7
	v_mul_lo_u32 v9, v9, s30
	v_mul_lo_u32 v10, v10, s30
	;; [unrolled: 1-line block ×3, first 2 shown]
	v_add_nc_u32_e32 v11, v25, v12
	v_sub_nc_u32_e32 v12, v47, v13
	v_mul_lo_u32 v81, v7, s19
	v_lshl_add_u32 v5, s22, 5, v3
	v_sub_nc_u32_e32 v8, v45, v8
	v_lshrrev_b32_e32 v11, s29, v11
	v_mul_lo_u32 v80, v12, s19
	v_lshl_add_u32 v12, v1, 1, v22
	v_sub_nc_u32_e32 v9, v44, v9
	v_lshlrev_b32_e32 v13, 2, v23
	v_mul_lo_u32 v11, v11, s30
	v_sub_nc_u32_e32 v10, v43, v10
	v_mul_lo_u32 v7, s12, v12
	v_add_nc_u32_e32 v77, 0x4000, v4
	v_add_nc_u32_e32 v78, 0x5200, v4
	v_ashrrev_i32_e32 v4, 31, v3
	v_ashrrev_i32_e32 v6, 31, v5
	v_mul_lo_u32 v82, v8, s19
	v_sub_nc_u32_e32 v11, v25, v11
	v_mul_lo_u32 v83, v9, s19
	v_lshl_add_u32 v16, s12, 4, v7
	v_ashrrev_i32_e32 v8, 31, v7
	v_lshl_or_b32 v9, v12, 8, v13
	v_lshl_add_u32 v86, v1, 10, 0x6400
	v_mul_lo_u32 v75, v18, s19
	v_ashrrev_i32_e32 v17, 31, v16
	v_mul_lo_u32 v84, v10, s19
	v_mul_lo_u32 v85, v11, s19
	s_movk_i32 s6, 0x4000
	v_lshlrev_b64 v[10:11], 2, v[3:4]
	v_lshlrev_b64 v[12:13], 2, v[5:6]
	;; [unrolled: 1-line block ×4, first 2 shown]
	v_mov_b32_e32 v50, 0
	s_cmp_lg_u64 s[46:47], 0
	v_mad_u32_u24 v76, 0x90, v0, s6
	v_add_nc_u32_e32 v87, 0x4000, v9
	v_add_nc_u32_e32 v88, 0x5000, v9
	v_or_b32_e32 v89, 0x4000, v21
	v_mov_b32_e32 v109, 0xfeffffff
	v_lshlrev_b32_e32 v90, 2, v74
	v_add_nc_u32_e32 v91, v86, v2
	v_lshlrev_b32_e32 v92, 2, v23
	v_mbcnt_lo_u32_b32 v93, -1, 0
	v_mov_b32_e32 v94, 0x10001
	v_mov_b32_e32 v51, 0
	;; [unrolled: 1-line block ×31, first 2 shown]
	s_cselect_b32 s11, -1, 0
	s_add_u32 s6, s4, 0xd0
	s_addc_u32 s7, s5, 0
.LBB52_8:                               ; =>This Inner Loop Header: Depth=1
	s_mul_hi_i32 s17, s8, s22
	s_mul_i32 s16, s8, s22
	v_mov_b32_e32 v112, 0
	s_lshl_b64 s[16:17], s[16:17], 2
	v_mov_b32_e32 v72, 0
	s_add_u32 s16, s14, s16
	s_addc_u32 s17, s15, s17
	v_add_co_u32 v2, vcc_lo, s16, v10
	v_add_co_ci_u32_e64 v3, null, s17, v11, vcc_lo
	v_add_co_u32 v4, vcc_lo, s16, v12
	v_add_co_ci_u32_e64 v5, null, s17, v13, vcc_lo
	;; [unrolled: 2-line block ×4, first 2 shown]
	s_clause 0x1
	global_load_dwordx4 v[6:9], v[2:3], off
	global_load_dwordx4 v[113:116], v[4:5], off
	v_mov_b32_e32 v70, 0
	v_mov_b32_e32 v68, 0
	;; [unrolled: 1-line block ×8, first 2 shown]
	s_andn2_b32 vcc_lo, exec_lo, s11
	s_waitcnt vmcnt(1)
	ds_write_b128 v77, v[6:9]
	s_waitcnt vmcnt(0)
	ds_write_b128 v78, v[113:116]
	s_waitcnt lgkmcnt(0)
	s_barrier
	buffer_gl0_inv
	ds_read_b128 v[115:118], v76
	ds_read_b128 v[119:122], v49
	ds_read_b128 v[123:126], v49 offset:256
	ds_read_b128 v[127:130], v49 offset:512
	;; [unrolled: 1-line block ×8, first 2 shown]
	v_mov_b32_e32 v8, 0
	v_mov_b32_e32 v7, 0
	;; [unrolled: 1-line block ×5, first 2 shown]
	s_waitcnt lgkmcnt(8)
	;;#ASMSTART
	v_dot2_f32_f16 v112, v115, v119, v112
	;;#ASMEND
	;;#ASMSTART
	v_dot2_f32_f16 v112, v116, v120, v112
	;;#ASMEND
	;;#ASMSTART
	v_dot2_f32_f16 v112, v117, v121, v112
	;;#ASMEND
	;;#ASMSTART
	v_dot2_f32_f16 v112, v118, v122, v112
	;;#ASMEND
	s_waitcnt lgkmcnt(7)
	;;#ASMSTART
	v_dot2_f32_f16 v72, v115, v123, v72
	;;#ASMEND
	;;#ASMSTART
	v_dot2_f32_f16 v72, v116, v124, v72
	;;#ASMEND
	;;#ASMSTART
	v_dot2_f32_f16 v72, v117, v125, v72
	;;#ASMEND
	;;#ASMSTART
	v_dot2_f32_f16 v72, v118, v126, v72
	;;#ASMEND
	;; [unrolled: 13-line block ×8, first 2 shown]
	;;#ASMSTART
	v_dot2_f32_f16 v114, v135, v119, v114
	;;#ASMEND
	;;#ASMSTART
	v_dot2_f32_f16 v114, v136, v120, v114
	;;#ASMEND
	;; [unrolled: 3-line block ×26, first 2 shown]
	v_mov_b32_e32 v9, 0
	;;#ASMSTART
	v_dot2_f32_f16 v67, v137, v149, v67
	;;#ASMEND
	;;#ASMSTART
	v_dot2_f32_f16 v67, v138, v150, v67
	;;#ASMEND
	;; [unrolled: 3-line block ×6, first 2 shown]
	ds_read_b128 v[115:118], v76 offset:16
	ds_read_b128 v[119:122], v49 offset:16
	ds_read_b128 v[123:126], v49 offset:272
	ds_read_b128 v[127:130], v49 offset:528
	ds_read_b128 v[131:134], v49 offset:784
	ds_read_b128 v[135:138], v76 offset:4624
	ds_read_b128 v[139:142], v49 offset:1040
	ds_read_b128 v[143:146], v49 offset:1296
	ds_read_b128 v[147:150], v49 offset:1552
	ds_read_b128 v[151:154], v49 offset:1808
	s_waitcnt lgkmcnt(8)
	;;#ASMSTART
	v_dot2_f32_f16 v112, v115, v119, v112
	;;#ASMEND
	;;#ASMSTART
	v_dot2_f32_f16 v112, v116, v120, v112
	;;#ASMEND
	;;#ASMSTART
	v_dot2_f32_f16 v112, v117, v121, v112
	;;#ASMEND
	;;#ASMSTART
	v_dot2_f32_f16 v112, v118, v122, v112
	;;#ASMEND
	s_waitcnt lgkmcnt(7)
	;;#ASMSTART
	v_dot2_f32_f16 v72, v115, v123, v72
	;;#ASMEND
	;;#ASMSTART
	v_dot2_f32_f16 v72, v116, v124, v72
	;;#ASMEND
	;;#ASMSTART
	v_dot2_f32_f16 v72, v117, v125, v72
	;;#ASMEND
	;;#ASMSTART
	v_dot2_f32_f16 v72, v118, v126, v72
	;;#ASMEND
	;; [unrolled: 13-line block ×8, first 2 shown]
	;;#ASMSTART
	v_dot2_f32_f16 v114, v135, v119, v114
	;;#ASMEND
	;;#ASMSTART
	v_dot2_f32_f16 v114, v136, v120, v114
	;;#ASMEND
	;;#ASMSTART
	v_dot2_f32_f16 v114, v137, v121, v114
	;;#ASMEND
	;;#ASMSTART
	v_dot2_f32_f16 v114, v138, v122, v114
	;;#ASMEND
	;;#ASMSTART
	v_dot2_f32_f16 v113, v135, v123, v113
	;;#ASMEND
	;;#ASMSTART
	v_dot2_f32_f16 v113, v136, v124, v113
	;;#ASMEND
	;;#ASMSTART
	v_dot2_f32_f16 v113, v137, v125, v113
	;;#ASMEND
	;;#ASMSTART
	v_dot2_f32_f16 v113, v138, v126, v113
	;;#ASMEND
	;;#ASMSTART
	v_dot2_f32_f16 v111, v135, v127, v111
	;;#ASMEND
	;;#ASMSTART
	v_dot2_f32_f16 v111, v136, v128, v111
	;;#ASMEND
	;;#ASMSTART
	v_dot2_f32_f16 v111, v137, v129, v111
	;;#ASMEND
	;;#ASMSTART
	v_dot2_f32_f16 v111, v138, v130, v111
	;;#ASMEND
	;;#ASMSTART
	v_dot2_f32_f16 v73, v135, v131, v73
	;;#ASMEND
	;;#ASMSTART
	v_dot2_f32_f16 v73, v136, v132, v73
	;;#ASMEND
	;;#ASMSTART
	v_dot2_f32_f16 v73, v137, v133, v73
	;;#ASMEND
	;;#ASMSTART
	v_dot2_f32_f16 v73, v138, v134, v73
	;;#ASMEND
	;;#ASMSTART
	v_dot2_f32_f16 v71, v135, v139, v71
	;;#ASMEND
	;;#ASMSTART
	v_dot2_f32_f16 v71, v136, v140, v71
	;;#ASMEND
	;;#ASMSTART
	v_dot2_f32_f16 v71, v137, v141, v71
	;;#ASMEND
	;;#ASMSTART
	v_dot2_f32_f16 v71, v138, v142, v71
	;;#ASMEND
	;;#ASMSTART
	v_dot2_f32_f16 v69, v135, v143, v69
	;;#ASMEND
	;;#ASMSTART
	v_dot2_f32_f16 v69, v136, v144, v69
	;;#ASMEND
	;;#ASMSTART
	v_dot2_f32_f16 v69, v137, v145, v69
	;;#ASMEND
	;;#ASMSTART
	v_dot2_f32_f16 v69, v138, v146, v69
	;;#ASMEND
	;;#ASMSTART
	v_dot2_f32_f16 v67, v135, v147, v67
	;;#ASMEND
	;;#ASMSTART
	v_dot2_f32_f16 v67, v136, v148, v67
	;;#ASMEND
	;;#ASMSTART
	v_dot2_f32_f16 v67, v137, v149, v67
	;;#ASMEND
	;;#ASMSTART
	v_dot2_f32_f16 v67, v138, v150, v67
	;;#ASMEND
	;;#ASMSTART
	v_dot2_f32_f16 v9, v135, v151, v9
	;;#ASMEND
	;;#ASMSTART
	v_dot2_f32_f16 v9, v136, v152, v9
	;;#ASMEND
	;;#ASMSTART
	v_dot2_f32_f16 v9, v137, v153, v9
	;;#ASMEND
	;;#ASMSTART
	v_dot2_f32_f16 v9, v138, v154, v9
	;;#ASMEND
	ds_read_b128 v[115:118], v76 offset:32
	ds_read_b128 v[119:122], v49 offset:32
	;; [unrolled: 1-line block ×10, first 2 shown]
	s_waitcnt lgkmcnt(8)
	;;#ASMSTART
	v_dot2_f32_f16 v112, v115, v119, v112
	;;#ASMEND
	;;#ASMSTART
	v_dot2_f32_f16 v112, v116, v120, v112
	;;#ASMEND
	;;#ASMSTART
	v_dot2_f32_f16 v112, v117, v121, v112
	;;#ASMEND
	;;#ASMSTART
	v_dot2_f32_f16 v112, v118, v122, v112
	;;#ASMEND
	s_waitcnt lgkmcnt(7)
	;;#ASMSTART
	v_dot2_f32_f16 v72, v115, v123, v72
	;;#ASMEND
	;;#ASMSTART
	v_dot2_f32_f16 v72, v116, v124, v72
	;;#ASMEND
	;;#ASMSTART
	v_dot2_f32_f16 v72, v117, v125, v72
	;;#ASMEND
	;;#ASMSTART
	v_dot2_f32_f16 v72, v118, v126, v72
	;;#ASMEND
	;; [unrolled: 13-line block ×8, first 2 shown]
	;;#ASMSTART
	v_dot2_f32_f16 v114, v135, v119, v114
	;;#ASMEND
	;;#ASMSTART
	v_dot2_f32_f16 v114, v136, v120, v114
	;;#ASMEND
	;; [unrolled: 3-line block ×32, first 2 shown]
	ds_read_b128 v[115:118], v76 offset:48
	ds_read_b128 v[119:122], v49 offset:48
	;; [unrolled: 1-line block ×10, first 2 shown]
	s_waitcnt lgkmcnt(8)
	;;#ASMSTART
	v_dot2_f32_f16 v112, v115, v119, v112
	;;#ASMEND
	;;#ASMSTART
	v_dot2_f32_f16 v112, v116, v120, v112
	;;#ASMEND
	;;#ASMSTART
	v_dot2_f32_f16 v112, v117, v121, v112
	;;#ASMEND
	;;#ASMSTART
	v_dot2_f32_f16 v112, v118, v122, v112
	;;#ASMEND
	s_waitcnt lgkmcnt(7)
	;;#ASMSTART
	v_dot2_f32_f16 v72, v115, v123, v72
	;;#ASMEND
	;;#ASMSTART
	v_dot2_f32_f16 v72, v116, v124, v72
	;;#ASMEND
	;;#ASMSTART
	v_dot2_f32_f16 v72, v117, v125, v72
	;;#ASMEND
	;;#ASMSTART
	v_dot2_f32_f16 v72, v118, v126, v72
	;;#ASMEND
	;; [unrolled: 13-line block ×8, first 2 shown]
	;;#ASMSTART
	v_dot2_f32_f16 v114, v135, v119, v114
	;;#ASMEND
	;;#ASMSTART
	v_dot2_f32_f16 v114, v136, v120, v114
	;;#ASMEND
	;; [unrolled: 3-line block ×32, first 2 shown]
	ds_read_b128 v[115:118], v76 offset:64
	ds_read_b128 v[119:122], v49 offset:64
	;; [unrolled: 1-line block ×10, first 2 shown]
	s_waitcnt lgkmcnt(8)
	;;#ASMSTART
	v_dot2_f32_f16 v112, v115, v119, v112
	;;#ASMEND
	;;#ASMSTART
	v_dot2_f32_f16 v112, v116, v120, v112
	;;#ASMEND
	;;#ASMSTART
	v_dot2_f32_f16 v112, v117, v121, v112
	;;#ASMEND
	;;#ASMSTART
	v_dot2_f32_f16 v112, v118, v122, v112
	;;#ASMEND
	s_waitcnt lgkmcnt(7)
	;;#ASMSTART
	v_dot2_f32_f16 v72, v115, v123, v72
	;;#ASMEND
	;;#ASMSTART
	v_dot2_f32_f16 v72, v116, v124, v72
	;;#ASMEND
	;;#ASMSTART
	v_dot2_f32_f16 v72, v117, v125, v72
	;;#ASMEND
	;;#ASMSTART
	v_dot2_f32_f16 v72, v118, v126, v72
	;;#ASMEND
	;; [unrolled: 13-line block ×8, first 2 shown]
	;;#ASMSTART
	v_dot2_f32_f16 v114, v135, v119, v114
	;;#ASMEND
	;;#ASMSTART
	v_dot2_f32_f16 v114, v136, v120, v114
	;;#ASMEND
	;; [unrolled: 3-line block ×32, first 2 shown]
	ds_read_b128 v[115:118], v76 offset:80
	ds_read_b128 v[119:122], v49 offset:80
	;; [unrolled: 1-line block ×10, first 2 shown]
	s_waitcnt lgkmcnt(8)
	;;#ASMSTART
	v_dot2_f32_f16 v112, v115, v119, v112
	;;#ASMEND
	;;#ASMSTART
	v_dot2_f32_f16 v112, v116, v120, v112
	;;#ASMEND
	;;#ASMSTART
	v_dot2_f32_f16 v112, v117, v121, v112
	;;#ASMEND
	;;#ASMSTART
	v_dot2_f32_f16 v112, v118, v122, v112
	;;#ASMEND
	s_waitcnt lgkmcnt(7)
	;;#ASMSTART
	v_dot2_f32_f16 v72, v115, v123, v72
	;;#ASMEND
	;;#ASMSTART
	v_dot2_f32_f16 v72, v116, v124, v72
	;;#ASMEND
	;;#ASMSTART
	v_dot2_f32_f16 v72, v117, v125, v72
	;;#ASMEND
	;;#ASMSTART
	v_dot2_f32_f16 v72, v118, v126, v72
	;;#ASMEND
	;; [unrolled: 13-line block ×8, first 2 shown]
	;;#ASMSTART
	v_dot2_f32_f16 v114, v135, v119, v114
	;;#ASMEND
	;;#ASMSTART
	v_dot2_f32_f16 v114, v136, v120, v114
	;;#ASMEND
	;; [unrolled: 3-line block ×32, first 2 shown]
	ds_read_b128 v[115:118], v76 offset:96
	ds_read_b128 v[119:122], v49 offset:96
	;; [unrolled: 1-line block ×10, first 2 shown]
	s_waitcnt lgkmcnt(8)
	;;#ASMSTART
	v_dot2_f32_f16 v112, v115, v119, v112
	;;#ASMEND
	;;#ASMSTART
	v_dot2_f32_f16 v112, v116, v120, v112
	;;#ASMEND
	;;#ASMSTART
	v_dot2_f32_f16 v112, v117, v121, v112
	;;#ASMEND
	;;#ASMSTART
	v_dot2_f32_f16 v112, v118, v122, v112
	;;#ASMEND
	s_waitcnt lgkmcnt(7)
	;;#ASMSTART
	v_dot2_f32_f16 v72, v115, v123, v72
	;;#ASMEND
	;;#ASMSTART
	v_dot2_f32_f16 v72, v116, v124, v72
	;;#ASMEND
	;;#ASMSTART
	v_dot2_f32_f16 v72, v117, v125, v72
	;;#ASMEND
	;;#ASMSTART
	v_dot2_f32_f16 v72, v118, v126, v72
	;;#ASMEND
	;; [unrolled: 13-line block ×8, first 2 shown]
	;;#ASMSTART
	v_dot2_f32_f16 v114, v135, v119, v114
	;;#ASMEND
	;;#ASMSTART
	v_dot2_f32_f16 v114, v136, v120, v114
	;;#ASMEND
	;; [unrolled: 3-line block ×32, first 2 shown]
	ds_read_b128 v[115:118], v76 offset:112
	ds_read_b128 v[119:122], v49 offset:112
	;; [unrolled: 1-line block ×10, first 2 shown]
	s_waitcnt lgkmcnt(8)
	;;#ASMSTART
	v_dot2_f32_f16 v112, v115, v119, v112
	;;#ASMEND
	;;#ASMSTART
	v_dot2_f32_f16 v112, v116, v120, v112
	;;#ASMEND
	;;#ASMSTART
	v_dot2_f32_f16 v112, v117, v121, v112
	;;#ASMEND
	;;#ASMSTART
	v_dot2_f32_f16 v112, v118, v122, v112
	;;#ASMEND
	s_waitcnt lgkmcnt(7)
	;;#ASMSTART
	v_dot2_f32_f16 v72, v115, v123, v72
	;;#ASMEND
	;;#ASMSTART
	v_dot2_f32_f16 v72, v116, v124, v72
	;;#ASMEND
	;;#ASMSTART
	v_dot2_f32_f16 v72, v117, v125, v72
	;;#ASMEND
	;;#ASMSTART
	v_dot2_f32_f16 v72, v118, v126, v72
	;;#ASMEND
	;; [unrolled: 13-line block ×8, first 2 shown]
	;;#ASMSTART
	v_dot2_f32_f16 v114, v135, v119, v114
	;;#ASMEND
	;;#ASMSTART
	v_dot2_f32_f16 v114, v136, v120, v114
	;;#ASMEND
	;; [unrolled: 3-line block ×32, first 2 shown]
	s_barrier
	buffer_gl0_inv
	s_clause 0x1
	global_load_dwordx4 v[115:118], v[2:3], off offset:128
	global_load_dwordx4 v[2:5], v[4:5], off offset:128
	s_waitcnt vmcnt(1)
	ds_write_b128 v77, v[115:118]
	s_waitcnt vmcnt(0)
	ds_write_b128 v78, v[2:5]
	s_waitcnt lgkmcnt(0)
	s_barrier
	buffer_gl0_inv
	ds_read_b128 v[2:5], v76
	ds_read_b128 v[115:118], v49 offset:128
	ds_read_b128 v[119:122], v49 offset:384
	;; [unrolled: 1-line block ×9, first 2 shown]
	s_waitcnt lgkmcnt(8)
	;;#ASMSTART
	v_dot2_f32_f16 v112, v2, v115, v112
	;;#ASMEND
	;;#ASMSTART
	v_dot2_f32_f16 v112, v3, v116, v112
	;;#ASMEND
	;;#ASMSTART
	v_dot2_f32_f16 v112, v4, v117, v112
	;;#ASMEND
	;;#ASMSTART
	v_dot2_f32_f16 v112, v5, v118, v112
	;;#ASMEND
	s_waitcnt lgkmcnt(7)
	;;#ASMSTART
	v_dot2_f32_f16 v72, v2, v119, v72
	;;#ASMEND
	;;#ASMSTART
	v_dot2_f32_f16 v72, v3, v120, v72
	;;#ASMEND
	;;#ASMSTART
	v_dot2_f32_f16 v72, v4, v121, v72
	;;#ASMEND
	;;#ASMSTART
	v_dot2_f32_f16 v72, v5, v122, v72
	;;#ASMEND
	;; [unrolled: 13-line block ×8, first 2 shown]
	;;#ASMSTART
	v_dot2_f32_f16 v114, v131, v115, v114
	;;#ASMEND
	;;#ASMSTART
	v_dot2_f32_f16 v114, v132, v116, v114
	;;#ASMEND
	;; [unrolled: 3-line block ×32, first 2 shown]
	ds_read_b128 v[2:5], v76 offset:16
	ds_read_b128 v[115:118], v49 offset:144
	;; [unrolled: 1-line block ×10, first 2 shown]
	s_waitcnt lgkmcnt(8)
	;;#ASMSTART
	v_dot2_f32_f16 v112, v2, v115, v112
	;;#ASMEND
	;;#ASMSTART
	v_dot2_f32_f16 v112, v3, v116, v112
	;;#ASMEND
	;;#ASMSTART
	v_dot2_f32_f16 v112, v4, v117, v112
	;;#ASMEND
	;;#ASMSTART
	v_dot2_f32_f16 v112, v5, v118, v112
	;;#ASMEND
	s_waitcnt lgkmcnt(7)
	;;#ASMSTART
	v_dot2_f32_f16 v72, v2, v119, v72
	;;#ASMEND
	;;#ASMSTART
	v_dot2_f32_f16 v72, v3, v120, v72
	;;#ASMEND
	;;#ASMSTART
	v_dot2_f32_f16 v72, v4, v121, v72
	;;#ASMEND
	;;#ASMSTART
	v_dot2_f32_f16 v72, v5, v122, v72
	;;#ASMEND
	;; [unrolled: 13-line block ×8, first 2 shown]
	;;#ASMSTART
	v_dot2_f32_f16 v114, v131, v115, v114
	;;#ASMEND
	;;#ASMSTART
	v_dot2_f32_f16 v114, v132, v116, v114
	;;#ASMEND
	;; [unrolled: 3-line block ×32, first 2 shown]
	ds_read_b128 v[2:5], v76 offset:32
	ds_read_b128 v[115:118], v49 offset:160
	;; [unrolled: 1-line block ×10, first 2 shown]
	s_waitcnt lgkmcnt(8)
	;;#ASMSTART
	v_dot2_f32_f16 v112, v2, v115, v112
	;;#ASMEND
	;;#ASMSTART
	v_dot2_f32_f16 v112, v3, v116, v112
	;;#ASMEND
	;;#ASMSTART
	v_dot2_f32_f16 v112, v4, v117, v112
	;;#ASMEND
	;;#ASMSTART
	v_dot2_f32_f16 v112, v5, v118, v112
	;;#ASMEND
	s_waitcnt lgkmcnt(7)
	;;#ASMSTART
	v_dot2_f32_f16 v72, v2, v119, v72
	;;#ASMEND
	;;#ASMSTART
	v_dot2_f32_f16 v72, v3, v120, v72
	;;#ASMEND
	;;#ASMSTART
	v_dot2_f32_f16 v72, v4, v121, v72
	;;#ASMEND
	;;#ASMSTART
	v_dot2_f32_f16 v72, v5, v122, v72
	;;#ASMEND
	;; [unrolled: 13-line block ×8, first 2 shown]
	;;#ASMSTART
	v_dot2_f32_f16 v114, v131, v115, v114
	;;#ASMEND
	;;#ASMSTART
	v_dot2_f32_f16 v114, v132, v116, v114
	;;#ASMEND
	;; [unrolled: 3-line block ×32, first 2 shown]
	ds_read_b128 v[2:5], v76 offset:48
	ds_read_b128 v[115:118], v49 offset:176
	;; [unrolled: 1-line block ×10, first 2 shown]
	s_waitcnt lgkmcnt(8)
	;;#ASMSTART
	v_dot2_f32_f16 v112, v2, v115, v112
	;;#ASMEND
	;;#ASMSTART
	v_dot2_f32_f16 v112, v3, v116, v112
	;;#ASMEND
	;;#ASMSTART
	v_dot2_f32_f16 v112, v4, v117, v112
	;;#ASMEND
	;;#ASMSTART
	v_dot2_f32_f16 v112, v5, v118, v112
	;;#ASMEND
	s_waitcnt lgkmcnt(7)
	;;#ASMSTART
	v_dot2_f32_f16 v72, v2, v119, v72
	;;#ASMEND
	;;#ASMSTART
	v_dot2_f32_f16 v72, v3, v120, v72
	;;#ASMEND
	;;#ASMSTART
	v_dot2_f32_f16 v72, v4, v121, v72
	;;#ASMEND
	;;#ASMSTART
	v_dot2_f32_f16 v72, v5, v122, v72
	;;#ASMEND
	;; [unrolled: 13-line block ×8, first 2 shown]
	;;#ASMSTART
	v_dot2_f32_f16 v114, v131, v115, v114
	;;#ASMEND
	;;#ASMSTART
	v_dot2_f32_f16 v114, v132, v116, v114
	;;#ASMEND
	;; [unrolled: 3-line block ×32, first 2 shown]
	ds_read_b128 v[2:5], v76 offset:64
	ds_read_b128 v[115:118], v49 offset:192
	ds_read_b128 v[119:122], v49 offset:448
	ds_read_b128 v[123:126], v49 offset:704
	ds_read_b128 v[127:130], v49 offset:960
	ds_read_b128 v[131:134], v76 offset:4672
	ds_read_b128 v[135:138], v49 offset:1216
	ds_read_b128 v[139:142], v49 offset:1472
	ds_read_b128 v[143:146], v49 offset:1728
	ds_read_b128 v[147:150], v49 offset:1984
	s_waitcnt lgkmcnt(8)
	;;#ASMSTART
	v_dot2_f32_f16 v112, v2, v115, v112
	;;#ASMEND
	;;#ASMSTART
	v_dot2_f32_f16 v112, v3, v116, v112
	;;#ASMEND
	;;#ASMSTART
	v_dot2_f32_f16 v112, v4, v117, v112
	;;#ASMEND
	;;#ASMSTART
	v_dot2_f32_f16 v112, v5, v118, v112
	;;#ASMEND
	s_waitcnt lgkmcnt(7)
	;;#ASMSTART
	v_dot2_f32_f16 v72, v2, v119, v72
	;;#ASMEND
	;;#ASMSTART
	v_dot2_f32_f16 v72, v3, v120, v72
	;;#ASMEND
	;;#ASMSTART
	v_dot2_f32_f16 v72, v4, v121, v72
	;;#ASMEND
	;;#ASMSTART
	v_dot2_f32_f16 v72, v5, v122, v72
	;;#ASMEND
	;; [unrolled: 13-line block ×8, first 2 shown]
	;;#ASMSTART
	v_dot2_f32_f16 v114, v131, v115, v114
	;;#ASMEND
	;;#ASMSTART
	v_dot2_f32_f16 v114, v132, v116, v114
	;;#ASMEND
	;; [unrolled: 3-line block ×32, first 2 shown]
	ds_read_b128 v[2:5], v76 offset:80
	ds_read_b128 v[115:118], v49 offset:208
	;; [unrolled: 1-line block ×10, first 2 shown]
	s_waitcnt lgkmcnt(8)
	;;#ASMSTART
	v_dot2_f32_f16 v112, v2, v115, v112
	;;#ASMEND
	;;#ASMSTART
	v_dot2_f32_f16 v112, v3, v116, v112
	;;#ASMEND
	;;#ASMSTART
	v_dot2_f32_f16 v112, v4, v117, v112
	;;#ASMEND
	;;#ASMSTART
	v_dot2_f32_f16 v112, v5, v118, v112
	;;#ASMEND
	s_waitcnt lgkmcnt(7)
	;;#ASMSTART
	v_dot2_f32_f16 v72, v2, v119, v72
	;;#ASMEND
	;;#ASMSTART
	v_dot2_f32_f16 v72, v3, v120, v72
	;;#ASMEND
	;;#ASMSTART
	v_dot2_f32_f16 v72, v4, v121, v72
	;;#ASMEND
	;;#ASMSTART
	v_dot2_f32_f16 v72, v5, v122, v72
	;;#ASMEND
	;; [unrolled: 13-line block ×8, first 2 shown]
	;;#ASMSTART
	v_dot2_f32_f16 v114, v131, v115, v114
	;;#ASMEND
	;;#ASMSTART
	v_dot2_f32_f16 v114, v132, v116, v114
	;;#ASMEND
	;; [unrolled: 3-line block ×32, first 2 shown]
	ds_read_b128 v[2:5], v76 offset:96
	ds_read_b128 v[115:118], v49 offset:224
	ds_read_b128 v[119:122], v49 offset:480
	ds_read_b128 v[123:126], v49 offset:736
	ds_read_b128 v[127:130], v49 offset:992
	ds_read_b128 v[131:134], v76 offset:4704
	ds_read_b128 v[135:138], v49 offset:1248
	ds_read_b128 v[139:142], v49 offset:1504
	ds_read_b128 v[143:146], v49 offset:1760
	ds_read_b128 v[147:150], v49 offset:2016
	s_waitcnt lgkmcnt(8)
	;;#ASMSTART
	v_dot2_f32_f16 v112, v2, v115, v112
	;;#ASMEND
	;;#ASMSTART
	v_dot2_f32_f16 v112, v3, v116, v112
	;;#ASMEND
	;;#ASMSTART
	v_dot2_f32_f16 v112, v4, v117, v112
	;;#ASMEND
	;;#ASMSTART
	v_dot2_f32_f16 v112, v5, v118, v112
	;;#ASMEND
	s_waitcnt lgkmcnt(7)
	;;#ASMSTART
	v_dot2_f32_f16 v72, v2, v119, v72
	;;#ASMEND
	;;#ASMSTART
	v_dot2_f32_f16 v72, v3, v120, v72
	;;#ASMEND
	;;#ASMSTART
	v_dot2_f32_f16 v72, v4, v121, v72
	;;#ASMEND
	;;#ASMSTART
	v_dot2_f32_f16 v72, v5, v122, v72
	;;#ASMEND
	;; [unrolled: 13-line block ×8, first 2 shown]
	;;#ASMSTART
	v_dot2_f32_f16 v114, v131, v115, v114
	;;#ASMEND
	;;#ASMSTART
	v_dot2_f32_f16 v114, v132, v116, v114
	;;#ASMEND
	;; [unrolled: 3-line block ×32, first 2 shown]
	ds_read_b128 v[116:119], v76 offset:112
	ds_read_b128 v[120:123], v49 offset:240
	;; [unrolled: 1-line block ×10, first 2 shown]
	s_waitcnt lgkmcnt(8)
	;;#ASMSTART
	v_dot2_f32_f16 v112, v116, v120, v112
	;;#ASMEND
	;;#ASMSTART
	v_dot2_f32_f16 v112, v117, v121, v112
	;;#ASMEND
	;;#ASMSTART
	v_dot2_f32_f16 v112, v118, v122, v112
	;;#ASMEND
	;;#ASMSTART
	v_dot2_f32_f16 v112, v119, v123, v112
	;;#ASMEND
	s_waitcnt lgkmcnt(7)
	;;#ASMSTART
	v_dot2_f32_f16 v72, v116, v124, v72
	;;#ASMEND
	;;#ASMSTART
	v_dot2_f32_f16 v72, v117, v125, v72
	;;#ASMEND
	;;#ASMSTART
	v_dot2_f32_f16 v72, v118, v126, v72
	;;#ASMEND
	;;#ASMSTART
	v_dot2_f32_f16 v72, v119, v127, v72
	;;#ASMEND
	;; [unrolled: 13-line block ×8, first 2 shown]
	;;#ASMSTART
	v_dot2_f32_f16 v114, v136, v120, v114
	;;#ASMEND
	;;#ASMSTART
	v_dot2_f32_f16 v114, v137, v121, v114
	;;#ASMEND
	;; [unrolled: 3-line block ×11, first 2 shown]
	v_add_nc_u32_e32 v4, s8, v0
	;;#ASMSTART
	v_dot2_f32_f16 v111, v139, v131, v111
	;;#ASMEND
	;;#ASMSTART
	v_dot2_f32_f16 v73, v136, v132, v73
	;;#ASMEND
	;; [unrolled: 3-line block ×7, first 2 shown]
	v_add_nc_u32_e32 v2, v4, v75
	;;#ASMSTART
	v_dot2_f32_f16 v71, v138, v142, v71
	;;#ASMEND
	;;#ASMSTART
	v_dot2_f32_f16 v71, v139, v143, v71
	;;#ASMEND
	;; [unrolled: 3-line block ×7, first 2 shown]
	v_mov_b32_e32 v115, 0
	v_ashrrev_i32_e32 v3, 31, v2
	;;#ASMSTART
	v_dot2_f32_f16 v67, v137, v149, v67
	;;#ASMEND
	;;#ASMSTART
	v_dot2_f32_f16 v67, v138, v150, v67
	;;#ASMEND
	;; [unrolled: 3-line block ×7, first 2 shown]
	s_cbranch_vccnz .LBB52_10
; %bb.9:                                ;   in Loop: Header=BB52_8 Depth=1
	v_lshlrev_b64 v[115:116], 1, v[2:3]
	v_add_co_u32 v115, vcc_lo, s46, v115
	v_add_co_ci_u32_e64 v116, null, s47, v116, vcc_lo
	global_load_ushort v5, v[115:116], off
	s_waitcnt vmcnt(0)
	v_cvt_f32_f16_e32 v5, v5
	v_mul_f32_e32 v115, v24, v5
.LBB52_10:                              ;   in Loop: Header=BB52_8 Depth=1
	v_mov_b32_e32 v5, 0
	v_mov_b32_e32 v116, 0
	s_andn2_b32 vcc_lo, exec_lo, s11
	s_cbranch_vccnz .LBB52_12
; %bb.11:                               ;   in Loop: Header=BB52_8 Depth=1
	v_lshlrev_b64 v[2:3], 1, v[2:3]
	v_add_co_u32 v2, vcc_lo, s46, v2
	v_add_co_ci_u32_e64 v3, null, s47, v3, vcc_lo
	global_load_ushort v2, v[2:3], off offset:64
	s_waitcnt vmcnt(0)
	v_cvt_f32_f16_e32 v2, v2
	v_mul_f32_e32 v116, v24, v2
.LBB52_12:                              ;   in Loop: Header=BB52_8 Depth=1
	v_xor_b32_e32 v2, 16, v93
	v_add_f32_e32 v112, v112, v115
	v_add_f32_e32 v114, v114, v116
	v_cmp_gt_i32_e32 vcc_lo, 32, v2
	v_add_f32_e32 v3, 0x40051340, v112
	v_add_f32_e32 v115, 0x40051340, v114
	v_cndmask_b32_e32 v2, v93, v2, vcc_lo
	v_lshlrev_b32_e32 v116, 2, v2
	v_max3_f32 v2, v109, v3, v115
	v_xor_b32_e32 v115, 8, v93
	ds_bpermute_b32 v3, v116, v2
	v_cmp_gt_i32_e32 vcc_lo, 32, v115
	v_cndmask_b32_e32 v115, v93, v115, vcc_lo
	v_lshlrev_b32_e32 v117, 2, v115
	v_xor_b32_e32 v115, 4, v93
	v_cmp_gt_i32_e32 vcc_lo, 32, v115
	s_waitcnt lgkmcnt(0)
	v_max_f32_e32 v3, v3, v3
	v_cndmask_b32_e32 v115, v93, v115, vcc_lo
	v_max_f32_e32 v2, v2, v3
	v_lshlrev_b32_e32 v118, 2, v115
	v_xor_b32_e32 v115, 2, v93
	ds_bpermute_b32 v3, v117, v2
	v_cmp_gt_i32_e32 vcc_lo, 32, v115
	v_cndmask_b32_e32 v115, v93, v115, vcc_lo
	v_lshlrev_b32_e32 v119, 2, v115
	v_xor_b32_e32 v115, 1, v93
	v_cmp_gt_i32_e32 vcc_lo, 32, v115
	s_waitcnt lgkmcnt(0)
	v_max_f32_e32 v3, v3, v3
	v_cndmask_b32_e32 v115, v93, v115, vcc_lo
	v_max_f32_e32 v2, v2, v3
	s_andn2_b32 vcc_lo, exec_lo, s11
	v_lshlrev_b32_e32 v120, 2, v115
	ds_bpermute_b32 v3, v118, v2
	s_waitcnt lgkmcnt(0)
	v_max_f32_e32 v3, v3, v3
	v_max_f32_e32 v2, v2, v3
	ds_bpermute_b32 v3, v119, v2
	s_waitcnt lgkmcnt(0)
	v_max_f32_e32 v3, v3, v3
	v_max_f32_e32 v125, v2, v3
	v_add_nc_u32_e32 v2, v4, v79
	ds_bpermute_b32 v126, v120, v125
	v_ashrrev_i32_e32 v3, 31, v2
	s_cbranch_vccnz .LBB52_14
; %bb.13:                               ;   in Loop: Header=BB52_8 Depth=1
	v_lshlrev_b64 v[121:122], 1, v[2:3]
	v_add_co_u32 v121, vcc_lo, s46, v121
	v_add_co_ci_u32_e64 v122, null, s47, v122, vcc_lo
	global_load_ushort v5, v[121:122], off
	s_waitcnt vmcnt(0)
	v_cvt_f32_f16_e32 v5, v5
	v_mul_f32_e32 v5, v24, v5
.LBB52_14:                              ;   in Loop: Header=BB52_8 Depth=1
	v_mov_b32_e32 v121, 0
	v_mov_b32_e32 v122, 0
	s_andn2_b32 vcc_lo, exec_lo, s11
	s_cbranch_vccnz .LBB52_16
; %bb.15:                               ;   in Loop: Header=BB52_8 Depth=1
	v_lshlrev_b64 v[2:3], 1, v[2:3]
	v_add_co_u32 v2, vcc_lo, s46, v2
	v_add_co_ci_u32_e64 v3, null, s47, v3, vcc_lo
	global_load_ushort v2, v[2:3], off offset:64
	s_waitcnt vmcnt(0)
	v_cvt_f32_f16_e32 v2, v2
	v_mul_f32_e32 v122, v24, v2
.LBB52_16:                              ;   in Loop: Header=BB52_8 Depth=1
	v_add_f32_e32 v115, v72, v5
	v_add_f32_e32 v72, v113, v122
	s_andn2_b32 vcc_lo, exec_lo, s11
	v_add_f32_e32 v2, 0x40051340, v115
	v_add_f32_e32 v3, 0x40051340, v72
	v_max3_f32 v2, v108, v2, v3
	ds_bpermute_b32 v3, v116, v2
	s_waitcnt lgkmcnt(0)
	v_max_f32_e32 v3, v3, v3
	v_max_f32_e32 v2, v2, v3
	ds_bpermute_b32 v3, v117, v2
	s_waitcnt lgkmcnt(0)
	v_max_f32_e32 v3, v3, v3
	v_max_f32_e32 v2, v2, v3
	ds_bpermute_b32 v3, v118, v2
	s_waitcnt lgkmcnt(0)
	v_max_f32_e32 v3, v3, v3
	v_max_f32_e32 v2, v2, v3
	ds_bpermute_b32 v3, v119, v2
	s_waitcnt lgkmcnt(0)
	v_max_f32_e32 v3, v3, v3
	v_max_f32_e32 v127, v2, v3
	v_add_nc_u32_e32 v2, v4, v80
	ds_bpermute_b32 v128, v120, v127
	v_ashrrev_i32_e32 v3, 31, v2
	s_cbranch_vccnz .LBB52_18
; %bb.17:                               ;   in Loop: Header=BB52_8 Depth=1
	v_lshlrev_b64 v[121:122], 1, v[2:3]
	v_add_co_u32 v121, vcc_lo, s46, v121
	v_add_co_ci_u32_e64 v122, null, s47, v122, vcc_lo
	global_load_ushort v5, v[121:122], off
	s_waitcnt vmcnt(0)
	v_cvt_f32_f16_e32 v5, v5
	v_mul_f32_e32 v121, v24, v5
.LBB52_18:                              ;   in Loop: Header=BB52_8 Depth=1
	v_mov_b32_e32 v5, 0
	v_mov_b32_e32 v122, 0
	s_andn2_b32 vcc_lo, exec_lo, s11
	s_cbranch_vccnz .LBB52_20
; %bb.19:                               ;   in Loop: Header=BB52_8 Depth=1
	v_lshlrev_b64 v[2:3], 1, v[2:3]
	v_add_co_u32 v2, vcc_lo, s46, v2
	v_add_co_ci_u32_e64 v3, null, s47, v3, vcc_lo
	global_load_ushort v2, v[2:3], off offset:64
	s_waitcnt vmcnt(0)
	v_cvt_f32_f16_e32 v2, v2
	v_mul_f32_e32 v122, v24, v2
.LBB52_20:                              ;   in Loop: Header=BB52_8 Depth=1
	v_add_f32_e32 v113, v70, v121
	v_add_f32_e32 v70, v111, v122
	s_andn2_b32 vcc_lo, exec_lo, s11
	v_add_f32_e32 v2, 0x40051340, v113
	v_add_f32_e32 v3, 0x40051340, v70
	v_max3_f32 v2, v106, v2, v3
	ds_bpermute_b32 v3, v116, v2
	s_waitcnt lgkmcnt(0)
	v_max_f32_e32 v3, v3, v3
	v_max_f32_e32 v2, v2, v3
	ds_bpermute_b32 v3, v117, v2
	s_waitcnt lgkmcnt(0)
	v_max_f32_e32 v3, v3, v3
	v_max_f32_e32 v2, v2, v3
	;; [unrolled: 48-line block ×6, first 2 shown]
	ds_bpermute_b32 v3, v118, v2
	s_waitcnt lgkmcnt(0)
	v_max_f32_e32 v3, v3, v3
	v_max_f32_e32 v2, v2, v3
	ds_bpermute_b32 v3, v119, v2
	s_waitcnt lgkmcnt(0)
	v_max_f32_e32 v3, v3, v3
	v_max_f32_e32 v7, v2, v3
	v_add_nc_u32_e32 v2, v4, v85
	ds_bpermute_b32 v134, v120, v7
	v_ashrrev_i32_e32 v3, 31, v2
	s_cbranch_vccnz .LBB52_38
; %bb.37:                               ;   in Loop: Header=BB52_8 Depth=1
	v_lshlrev_b64 v[135:136], 1, v[2:3]
	v_add_co_u32 v135, vcc_lo, s46, v135
	v_add_co_ci_u32_e64 v136, null, s47, v136, vcc_lo
	global_load_ushort v4, v[135:136], off
	s_waitcnt vmcnt(0)
	v_cvt_f32_f16_e32 v4, v4
	v_mul_f32_e32 v8, v24, v4
.LBB52_38:                              ;   in Loop: Header=BB52_8 Depth=1
	s_andn2_b32 vcc_lo, exec_lo, s11
	s_cbranch_vccnz .LBB52_40
; %bb.39:                               ;   in Loop: Header=BB52_8 Depth=1
	v_lshlrev_b64 v[2:3], 1, v[2:3]
	v_add_co_u32 v2, vcc_lo, s46, v2
	v_add_co_ci_u32_e64 v3, null, s47, v3, vcc_lo
	global_load_ushort v2, v[2:3], off offset:64
	s_waitcnt vmcnt(0)
	v_cvt_f32_f16_e32 v2, v2
	v_mul_f32_e32 v133, v24, v2
	s_branch .LBB52_41
.LBB52_40:                              ;   in Loop: Header=BB52_8 Depth=1
	v_mov_b32_e32 v133, 0
.LBB52_41:                              ;   in Loop: Header=BB52_8 Depth=1
	s_waitcnt lgkmcnt(0)
	v_max_f32_e32 v2, v134, v134
	v_max_f32_e32 v3, v7, v7
	v_add_f32_e32 v135, v6, v8
	s_mul_hi_i32 s17, s8, s12
	s_mul_i32 s16, s8, s12
	v_max_f32_e32 v8, v3, v2
	v_max_f32_e32 v2, v132, v132
	;; [unrolled: 1-line block ×4, first 2 shown]
	v_add_f32_e32 v125, v9, v133
	v_add_f32_e32 v136, 0x40051340, v135
	v_sub_f32_e32 v67, v67, v8
	v_max_f32_e32 v7, v3, v2
	v_max_f32_e32 v2, v131, v131
	;; [unrolled: 1-line block ×3, first 2 shown]
	v_add_f32_e32 v9, 0x40051340, v125
	s_lshl_b64 s[16:17], s[16:17], 2
	s_barrier
	buffer_gl0_inv
	v_max_f32_e32 v6, v3, v2
	v_max_f32_e32 v2, v73, v73
	;; [unrolled: 1-line block ×3, first 2 shown]
	v_max3_f32 v9, v96, v136, v9
	s_add_u32 s16, s9, s16
	v_sub_f32_e32 v66, v66, v6
	s_addc_u32 s17, s13, s17
	v_max_f32_e32 v5, v3, v2
	v_max_f32_e32 v2, v130, v130
	;; [unrolled: 1-line block ×3, first 2 shown]
	v_sub_f32_e32 v68, v68, v5
	v_max_f32_e32 v4, v3, v2
	v_max_f32_e32 v2, v128, v128
	;; [unrolled: 1-line block ×3, first 2 shown]
	v_sub_f32_e32 v70, v70, v4
	v_max_f32_e32 v3, v3, v2
	v_max_f32_e32 v2, v126, v126
	;; [unrolled: 1-line block ×3, first 2 shown]
	ds_bpermute_b32 v69, v116, v9
	v_sub_f32_e32 v71, v112, v2
	v_mul_f32_e32 v73, 0x3fb8aa3b, v71
	v_cmp_ngt_f32_e32 vcc_lo, 0xc2ce8ed0, v71
	v_rndne_f32_e32 v112, v73
	s_waitcnt lgkmcnt(0)
	v_max_f32_e32 v69, v69, v69
	v_max_f32_e32 v9, v9, v69
	ds_bpermute_b32 v69, v117, v9
	s_waitcnt lgkmcnt(0)
	v_max_f32_e32 v69, v69, v69
	v_max_f32_e32 v9, v9, v69
	ds_bpermute_b32 v69, v118, v9
	;; [unrolled: 4-line block ×4, first 2 shown]
	s_waitcnt lgkmcnt(0)
	v_max_f32_e32 v69, v69, v69
	v_max_f32_e32 v9, v9, v69
	v_sub_f32_e32 v69, v109, v2
	v_fma_f32 v109, 0x3fb8aa3b, v71, -v73
	v_sub_f32_e32 v73, v73, v112
	v_fmac_f32_e32 v109, 0x32a5705f, v71
	v_add_f32_e32 v73, v73, v109
	v_cvt_i32_f32_e32 v109, v112
	v_exp_f32_e32 v73, v73
	v_ldexp_f32 v73, v73, v109
	v_cndmask_b32_e32 v73, 0, v73, vcc_lo
	v_cmp_nlt_f32_e32 vcc_lo, 0x42b17218, v71
	v_cndmask_b32_e32 v71, 0x7f800000, v73, vcc_lo
	v_sub_f32_e32 v73, v114, v2
	v_cvt_f16_f32_e32 v112, v71
	v_mul_f32_e32 v109, 0x3fb8aa3b, v73
	v_cmp_ngt_f32_e32 vcc_lo, 0xc2ce8ed0, v73
	v_fma_f32 v114, 0x3fb8aa3b, v73, -v109
	v_rndne_f32_e32 v116, v109
	v_fmac_f32_e32 v114, 0x32a5705f, v73
	v_sub_f32_e32 v109, v109, v116
	v_add_f32_e32 v109, v109, v114
	v_cvt_i32_f32_e32 v114, v116
	v_exp_f32_e32 v109, v109
	v_ldexp_f32 v109, v109, v114
	v_cndmask_b32_e32 v109, 0, v109, vcc_lo
	v_cmp_nlt_f32_e32 vcc_lo, 0x42b17218, v73
	v_cndmask_b32_e32 v109, 0x7f800000, v109, vcc_lo
	v_cmp_ngt_f32_e32 vcc_lo, 0xc2ce8ed0, v69
	v_add_f32_e32 v73, v71, v109
	v_mul_f32_e32 v71, 0x3fb8aa3b, v69
	v_cvt_f16_f32_e32 v114, v109
	v_fma_f32 v109, 0x3fb8aa3b, v69, -v71
	v_rndne_f32_e32 v116, v71
	v_fmac_f32_e32 v109, 0x32a5705f, v69
	v_sub_f32_e32 v71, v71, v116
	v_add_f32_e32 v71, v71, v109
	v_cvt_i32_f32_e32 v109, v116
	v_exp_f32_e32 v71, v71
	v_ldexp_f32 v71, v71, v109
	v_cndmask_b32_e32 v71, 0, v71, vcc_lo
	v_cmp_nlt_f32_e32 vcc_lo, 0x42b17218, v69
	v_cndmask_b32_e32 v69, 0x7f800000, v71, vcc_lo
	v_fmac_f32_e32 v73, v110, v69
	v_cvt_f16_f32_e32 v69, v69
	v_mul_u32_u24_sdwa v69, v69, v94 dst_sel:DWORD dst_unused:UNUSED_PAD src0_sel:WORD_0 src1_sel:DWORD
	v_pk_mul_f16 v109, v64, v69
	v_pk_mul_f16 v64, v65, v69
	v_sub_f32_e32 v69, v115, v3
	v_sub_f32_e32 v65, v108, v3
	v_mul_f32_e32 v71, 0x3fb8aa3b, v69
	v_cmp_ngt_f32_e32 vcc_lo, 0xc2ce8ed0, v69
	v_fma_f32 v108, 0x3fb8aa3b, v69, -v71
	v_rndne_f32_e32 v110, v71
	v_fmac_f32_e32 v108, 0x32a5705f, v69
	v_sub_f32_e32 v71, v71, v110
	v_add_f32_e32 v71, v71, v108
	v_cvt_i32_f32_e32 v108, v110
	v_exp_f32_e32 v71, v71
	v_ldexp_f32 v71, v71, v108
	v_cndmask_b32_e32 v71, 0, v71, vcc_lo
	v_cmp_nlt_f32_e32 vcc_lo, 0x42b17218, v69
	v_cndmask_b32_e32 v69, 0x7f800000, v71, vcc_lo
	v_sub_f32_e32 v71, v72, v3
	v_cvt_f16_f32_e32 v108, v69
	v_mul_f32_e32 v72, 0x3fb8aa3b, v71
	v_cmp_ngt_f32_e32 vcc_lo, 0xc2ce8ed0, v71
	v_fma_f32 v110, 0x3fb8aa3b, v71, -v72
	v_rndne_f32_e32 v115, v72
	v_fmac_f32_e32 v110, 0x32a5705f, v71
	v_sub_f32_e32 v72, v72, v115
	v_add_f32_e32 v72, v72, v110
	v_cvt_i32_f32_e32 v110, v115
	v_exp_f32_e32 v72, v72
	v_ldexp_f32 v72, v72, v110
	v_cndmask_b32_e32 v72, 0, v72, vcc_lo
	v_cmp_nlt_f32_e32 vcc_lo, 0x42b17218, v71
	v_cndmask_b32_e32 v71, 0x7f800000, v72, vcc_lo
	v_cmp_ngt_f32_e32 vcc_lo, 0xc2ce8ed0, v65
	v_add_f32_e32 v72, v69, v71
	v_mul_f32_e32 v69, 0x3fb8aa3b, v65
	v_cvt_f16_f32_e32 v110, v71
	v_fma_f32 v71, 0x3fb8aa3b, v65, -v69
	v_rndne_f32_e32 v115, v69
	v_fmac_f32_e32 v71, 0x32a5705f, v65
	v_sub_f32_e32 v69, v69, v115
	v_add_f32_e32 v69, v69, v71
	v_cvt_i32_f32_e32 v71, v115
	v_exp_f32_e32 v69, v69
	v_ldexp_f32 v69, v69, v71
	v_cndmask_b32_e32 v69, 0, v69, vcc_lo
	v_cmp_nlt_f32_e32 vcc_lo, 0x42b17218, v65
	v_cndmask_b32_e32 v65, 0x7f800000, v69, vcc_lo
	v_fmac_f32_e32 v72, v107, v65
	v_cvt_f16_f32_e32 v65, v65
	v_mul_u32_u24_sdwa v69, v65, v94 dst_sel:DWORD dst_unused:UNUSED_PAD src0_sel:WORD_0 src1_sel:DWORD
	v_pk_mul_f16 v65, v62, v69
	v_pk_mul_f16 v62, v63, v69
	v_sub_f32_e32 v69, v113, v4
	v_sub_f32_e32 v63, v106, v4
	v_mul_f32_e32 v71, 0x3fb8aa3b, v69
	v_cmp_ngt_f32_e32 vcc_lo, 0xc2ce8ed0, v69
	v_fma_f32 v106, 0x3fb8aa3b, v69, -v71
	v_rndne_f32_e32 v107, v71
	v_fmac_f32_e32 v106, 0x32a5705f, v69
	v_sub_f32_e32 v71, v71, v107
	v_add_f32_e32 v71, v71, v106
	v_cvt_i32_f32_e32 v106, v107
	v_exp_f32_e32 v71, v71
	v_ldexp_f32 v71, v71, v106
	v_cndmask_b32_e32 v71, 0, v71, vcc_lo
	v_cmp_nlt_f32_e32 vcc_lo, 0x42b17218, v69
	v_cndmask_b32_e32 v69, 0x7f800000, v71, vcc_lo
	v_mul_f32_e32 v71, 0x3fb8aa3b, v70
	v_cmp_ngt_f32_e32 vcc_lo, 0xc2ce8ed0, v70
	v_cvt_f16_f32_e32 v106, v69
	v_fma_f32 v107, 0x3fb8aa3b, v70, -v71
	v_rndne_f32_e32 v113, v71
	v_fmac_f32_e32 v107, 0x32a5705f, v70
	v_sub_f32_e32 v71, v71, v113
	v_add_f32_e32 v71, v71, v107
	v_cvt_i32_f32_e32 v107, v113
	v_exp_f32_e32 v71, v71
	v_ldexp_f32 v71, v71, v107
	v_cndmask_b32_e32 v71, 0, v71, vcc_lo
	v_cmp_nlt_f32_e32 vcc_lo, 0x42b17218, v70
	v_cndmask_b32_e32 v70, 0x7f800000, v71, vcc_lo
	v_cmp_ngt_f32_e32 vcc_lo, 0xc2ce8ed0, v63
	v_add_f32_e32 v71, v69, v70
	v_mul_f32_e32 v69, 0x3fb8aa3b, v63
	v_cvt_f16_f32_e32 v107, v70
	v_fma_f32 v70, 0x3fb8aa3b, v63, -v69
	v_rndne_f32_e32 v113, v69
	v_fmac_f32_e32 v70, 0x32a5705f, v63
	v_sub_f32_e32 v69, v69, v113
	v_add_f32_e32 v69, v69, v70
	v_cvt_i32_f32_e32 v70, v113
	v_exp_f32_e32 v69, v69
	v_ldexp_f32 v69, v69, v70
	v_cndmask_b32_e32 v69, 0, v69, vcc_lo
	v_cmp_nlt_f32_e32 vcc_lo, 0x42b17218, v63
	v_cndmask_b32_e32 v63, 0x7f800000, v69, vcc_lo
	v_fmac_f32_e32 v71, v105, v63
	v_cvt_f16_f32_e32 v63, v63
	v_mul_u32_u24_sdwa v69, v63, v94 dst_sel:DWORD dst_unused:UNUSED_PAD src0_sel:WORD_0 src1_sel:DWORD
	v_pk_mul_f16 v63, v60, v69
	v_pk_mul_f16 v60, v61, v69
	v_sub_f32_e32 v69, v111, v5
	v_sub_f32_e32 v61, v104, v5
	v_mul_f32_e32 v70, 0x3fb8aa3b, v69
	v_cmp_ngt_f32_e32 vcc_lo, 0xc2ce8ed0, v69
	v_fma_f32 v104, 0x3fb8aa3b, v69, -v70
	v_rndne_f32_e32 v105, v70
	v_fmac_f32_e32 v104, 0x32a5705f, v69
	v_sub_f32_e32 v70, v70, v105
	v_add_f32_e32 v70, v70, v104
	v_cvt_i32_f32_e32 v104, v105
	v_exp_f32_e32 v70, v70
	v_ldexp_f32 v70, v70, v104
	v_cndmask_b32_e32 v70, 0, v70, vcc_lo
	v_cmp_nlt_f32_e32 vcc_lo, 0x42b17218, v69
	v_cndmask_b32_e32 v69, 0x7f800000, v70, vcc_lo
	v_mul_f32_e32 v70, 0x3fb8aa3b, v68
	v_cmp_ngt_f32_e32 vcc_lo, 0xc2ce8ed0, v68
	v_cvt_f16_f32_e32 v104, v69
	v_fma_f32 v105, 0x3fb8aa3b, v68, -v70
	v_rndne_f32_e32 v111, v70
	v_fmac_f32_e32 v105, 0x32a5705f, v68
	v_sub_f32_e32 v70, v70, v111
	v_add_f32_e32 v70, v70, v105
	v_cvt_i32_f32_e32 v105, v111
	v_exp_f32_e32 v70, v70
	v_ldexp_f32 v70, v70, v105
	v_cndmask_b32_e32 v70, 0, v70, vcc_lo
	v_cmp_nlt_f32_e32 vcc_lo, 0x42b17218, v68
	v_cndmask_b32_e32 v68, 0x7f800000, v70, vcc_lo
	v_cmp_ngt_f32_e32 vcc_lo, 0xc2ce8ed0, v61
	v_add_f32_e32 v70, v69, v68
	v_cvt_f16_f32_e32 v105, v68
	v_mul_f32_e32 v68, 0x3fb8aa3b, v61
	v_fma_f32 v69, 0x3fb8aa3b, v61, -v68
	v_rndne_f32_e32 v111, v68
	v_fmac_f32_e32 v69, 0x32a5705f, v61
	v_sub_f32_e32 v68, v68, v111
	v_add_f32_e32 v68, v68, v69
	v_cvt_i32_f32_e32 v69, v111
	v_exp_f32_e32 v68, v68
	v_ldexp_f32 v68, v68, v69
	v_cndmask_b32_e32 v68, 0, v68, vcc_lo
	v_cmp_nlt_f32_e32 vcc_lo, 0x42b17218, v61
	v_cndmask_b32_e32 v61, 0x7f800000, v68, vcc_lo
	v_fmac_f32_e32 v70, v103, v61
	v_cvt_f16_f32_e32 v61, v61
	v_mul_u32_u24_sdwa v68, v61, v94 dst_sel:DWORD dst_unused:UNUSED_PAD src0_sel:WORD_0 src1_sel:DWORD
	v_pk_mul_f16 v61, v58, v68
	v_pk_mul_f16 v58, v59, v68
	v_sub_f32_e32 v68, v121, v6
	v_sub_f32_e32 v59, v102, v6
	v_mul_f32_e32 v69, 0x3fb8aa3b, v68
	v_cmp_ngt_f32_e32 vcc_lo, 0xc2ce8ed0, v68
	v_fma_f32 v102, 0x3fb8aa3b, v68, -v69
	v_rndne_f32_e32 v103, v69
	v_fmac_f32_e32 v102, 0x32a5705f, v68
	v_sub_f32_e32 v69, v69, v103
	v_add_f32_e32 v69, v69, v102
	v_cvt_i32_f32_e32 v102, v103
	v_exp_f32_e32 v69, v69
	v_ldexp_f32 v69, v69, v102
	v_cndmask_b32_e32 v69, 0, v69, vcc_lo
	v_cmp_nlt_f32_e32 vcc_lo, 0x42b17218, v68
	v_cndmask_b32_e32 v68, 0x7f800000, v69, vcc_lo
	v_mul_f32_e32 v69, 0x3fb8aa3b, v66
	v_cmp_ngt_f32_e32 vcc_lo, 0xc2ce8ed0, v66
	v_cvt_f16_f32_e32 v102, v68
	v_fma_f32 v103, 0x3fb8aa3b, v66, -v69
	v_rndne_f32_e32 v111, v69
	v_fmac_f32_e32 v103, 0x32a5705f, v66
	v_sub_f32_e32 v69, v69, v111
	v_add_f32_e32 v69, v69, v103
	v_cvt_i32_f32_e32 v103, v111
	v_exp_f32_e32 v69, v69
	v_ldexp_f32 v69, v69, v103
	v_cndmask_b32_e32 v69, 0, v69, vcc_lo
	v_cmp_nlt_f32_e32 vcc_lo, 0x42b17218, v66
	v_cndmask_b32_e32 v66, 0x7f800000, v69, vcc_lo
	v_cmp_ngt_f32_e32 vcc_lo, 0xc2ce8ed0, v59
	v_add_f32_e32 v69, v68, v66
	v_cvt_f16_f32_e32 v103, v66
	v_mul_f32_e32 v66, 0x3fb8aa3b, v59
	v_fma_f32 v68, 0x3fb8aa3b, v59, -v66
	v_rndne_f32_e32 v111, v66
	v_fmac_f32_e32 v68, 0x32a5705f, v59
	v_sub_f32_e32 v66, v66, v111
	v_add_f32_e32 v66, v66, v68
	v_cvt_i32_f32_e32 v68, v111
	v_exp_f32_e32 v66, v66
	v_ldexp_f32 v66, v66, v68
	v_cndmask_b32_e32 v66, 0, v66, vcc_lo
	v_cmp_nlt_f32_e32 vcc_lo, 0x42b17218, v59
	v_cndmask_b32_e32 v59, 0x7f800000, v66, vcc_lo
	v_fmac_f32_e32 v69, v101, v59
	v_cvt_f16_f32_e32 v59, v59
	v_mul_u32_u24_sdwa v66, v59, v94 dst_sel:DWORD dst_unused:UNUSED_PAD src0_sel:WORD_0 src1_sel:DWORD
	v_pk_mul_f16 v59, v56, v66
	v_pk_mul_f16 v56, v57, v66
	v_sub_f32_e32 v66, v123, v7
	v_sub_f32_e32 v57, v100, v7
	v_mul_f32_e32 v68, 0x3fb8aa3b, v66
	v_cmp_ngt_f32_e32 vcc_lo, 0xc2ce8ed0, v66
	v_fma_f32 v100, 0x3fb8aa3b, v66, -v68
	v_rndne_f32_e32 v101, v68
	v_fmac_f32_e32 v100, 0x32a5705f, v66
	v_sub_f32_e32 v68, v68, v101
	v_add_f32_e32 v68, v68, v100
	v_cvt_i32_f32_e32 v100, v101
	v_exp_f32_e32 v68, v68
	v_ldexp_f32 v68, v68, v100
	v_cndmask_b32_e32 v68, 0, v68, vcc_lo
	v_cmp_nlt_f32_e32 vcc_lo, 0x42b17218, v66
	v_cndmask_b32_e32 v66, 0x7f800000, v68, vcc_lo
	v_sub_f32_e32 v68, v122, v7
	v_cvt_f16_f32_e32 v100, v66
	v_mul_f32_e32 v101, 0x3fb8aa3b, v68
	v_cmp_ngt_f32_e32 vcc_lo, 0xc2ce8ed0, v68
	v_fma_f32 v111, 0x3fb8aa3b, v68, -v101
	v_rndne_f32_e32 v113, v101
	v_fmac_f32_e32 v111, 0x32a5705f, v68
	v_sub_f32_e32 v101, v101, v113
	v_add_f32_e32 v101, v101, v111
	v_cvt_i32_f32_e32 v111, v113
	v_exp_f32_e32 v101, v101
	v_ldexp_f32 v101, v101, v111
	v_cndmask_b32_e32 v101, 0, v101, vcc_lo
	v_cmp_nlt_f32_e32 vcc_lo, 0x42b17218, v68
	v_cndmask_b32_e32 v101, 0x7f800000, v101, vcc_lo
	v_cmp_ngt_f32_e32 vcc_lo, 0xc2ce8ed0, v57
	v_add_f32_e32 v68, v66, v101
	v_mul_f32_e32 v66, 0x3fb8aa3b, v57
	v_cvt_f16_f32_e32 v101, v101
	v_fma_f32 v111, 0x3fb8aa3b, v57, -v66
	v_rndne_f32_e32 v113, v66
	v_fmac_f32_e32 v111, 0x32a5705f, v57
	v_sub_f32_e32 v66, v66, v113
	v_add_f32_e32 v66, v66, v111
	v_cvt_i32_f32_e32 v111, v113
	v_exp_f32_e32 v66, v66
	v_ldexp_f32 v66, v66, v111
	v_cndmask_b32_e32 v66, 0, v66, vcc_lo
	v_cmp_nlt_f32_e32 vcc_lo, 0x42b17218, v57
	v_cndmask_b32_e32 v57, 0x7f800000, v66, vcc_lo
	v_fmac_f32_e32 v68, v99, v57
	v_cvt_f16_f32_e32 v57, v57
	v_mul_u32_u24_sdwa v66, v57, v94 dst_sel:DWORD dst_unused:UNUSED_PAD src0_sel:WORD_0 src1_sel:DWORD
	v_pk_mul_f16 v57, v54, v66
	v_pk_mul_f16 v54, v55, v66
	v_sub_f32_e32 v66, v124, v8
	v_sub_f32_e32 v55, v98, v8
	v_mul_f32_e32 v98, 0x3fb8aa3b, v66
	v_cmp_ngt_f32_e32 vcc_lo, 0xc2ce8ed0, v66
	v_fma_f32 v99, 0x3fb8aa3b, v66, -v98
	v_rndne_f32_e32 v111, v98
	v_fmac_f32_e32 v99, 0x32a5705f, v66
	v_sub_f32_e32 v98, v98, v111
	v_add_f32_e32 v98, v98, v99
	v_cvt_i32_f32_e32 v99, v111
	v_exp_f32_e32 v98, v98
	v_ldexp_f32 v98, v98, v99
	v_mul_f32_e32 v99, 0x3fb8aa3b, v67
	v_cndmask_b32_e32 v98, 0, v98, vcc_lo
	v_fma_f32 v111, 0x3fb8aa3b, v67, -v99
	v_rndne_f32_e32 v113, v99
	v_cmp_nlt_f32_e32 vcc_lo, 0x42b17218, v66
	v_fmac_f32_e32 v111, 0x32a5705f, v67
	v_sub_f32_e32 v99, v99, v113
	v_cndmask_b32_e32 v66, 0x7f800000, v98, vcc_lo
	v_cmp_ngt_f32_e32 vcc_lo, 0xc2ce8ed0, v67
	v_add_f32_e32 v99, v99, v111
	v_cvt_i32_f32_e32 v111, v113
	v_cvt_f16_f32_e32 v98, v66
	v_exp_f32_e32 v99, v99
	v_ldexp_f32 v99, v99, v111
	v_cndmask_b32_e32 v99, 0, v99, vcc_lo
	v_cmp_nlt_f32_e32 vcc_lo, 0x42b17218, v67
	v_cndmask_b32_e32 v99, 0x7f800000, v99, vcc_lo
	v_cmp_ngt_f32_e32 vcc_lo, 0xc2ce8ed0, v55
	v_add_f32_e32 v67, v66, v99
	v_mul_f32_e32 v66, 0x3fb8aa3b, v55
	v_cvt_f16_f32_e32 v99, v99
	v_fma_f32 v111, 0x3fb8aa3b, v55, -v66
	v_rndne_f32_e32 v113, v66
	v_fmac_f32_e32 v111, 0x32a5705f, v55
	v_sub_f32_e32 v66, v66, v113
	v_add_f32_e32 v66, v66, v111
	v_cvt_i32_f32_e32 v111, v113
	v_exp_f32_e32 v66, v66
	v_ldexp_f32 v66, v66, v111
	v_cndmask_b32_e32 v66, 0, v66, vcc_lo
	v_cmp_nlt_f32_e32 vcc_lo, 0x42b17218, v55
	v_cndmask_b32_e32 v55, 0x7f800000, v66, vcc_lo
	v_fmac_f32_e32 v67, v97, v55
	v_cvt_f16_f32_e32 v55, v55
	v_mul_u32_u24_sdwa v66, v55, v94 dst_sel:DWORD dst_unused:UNUSED_PAD src0_sel:WORD_0 src1_sel:DWORD
	v_pk_mul_f16 v55, v52, v66
	v_pk_mul_f16 v52, v53, v66
	v_sub_f32_e32 v66, v135, v9
	v_sub_f32_e32 v53, v96, v9
	v_mul_f32_e32 v96, 0x3fb8aa3b, v66
	v_cmp_ngt_f32_e32 vcc_lo, 0xc2ce8ed0, v66
	v_fma_f32 v97, 0x3fb8aa3b, v66, -v96
	v_rndne_f32_e32 v111, v96
	v_fmac_f32_e32 v97, 0x32a5705f, v66
	v_sub_f32_e32 v96, v96, v111
	v_add_f32_e32 v96, v96, v97
	v_cvt_i32_f32_e32 v97, v111
	v_exp_f32_e32 v96, v96
	v_ldexp_f32 v96, v96, v97
	v_sub_f32_e32 v97, v125, v9
	v_cndmask_b32_e32 v96, 0, v96, vcc_lo
	v_mul_f32_e32 v111, 0x3fb8aa3b, v97
	v_cmp_nlt_f32_e32 vcc_lo, 0x42b17218, v66
	v_fma_f32 v113, 0x3fb8aa3b, v97, -v111
	v_rndne_f32_e32 v115, v111
	v_cndmask_b32_e32 v66, 0x7f800000, v96, vcc_lo
	v_cmp_ngt_f32_e32 vcc_lo, 0xc2ce8ed0, v97
	v_fmac_f32_e32 v113, 0x32a5705f, v97
	v_sub_f32_e32 v111, v111, v115
	v_cvt_f16_f32_e32 v96, v66
	v_add_f32_e32 v111, v111, v113
	v_cvt_i32_f32_e32 v113, v115
	v_pack_b32_f16 v98, v98, v96
	v_pack_b32_f16 v96, v106, v104
	v_exp_f32_e32 v111, v111
	v_ldexp_f32 v111, v111, v113
	v_cndmask_b32_e32 v111, 0, v111, vcc_lo
	v_cmp_nlt_f32_e32 vcc_lo, 0x42b17218, v97
	v_cndmask_b32_e32 v97, 0x7f800000, v111, vcc_lo
	v_cmp_ngt_f32_e32 vcc_lo, 0xc2ce8ed0, v53
	v_add_f32_e32 v66, v66, v97
	v_cvt_f16_f32_e32 v111, v97
	v_mul_f32_e32 v97, 0x3fb8aa3b, v53
	v_fma_f32 v113, 0x3fb8aa3b, v53, -v97
	v_rndne_f32_e32 v115, v97
	v_fmac_f32_e32 v113, 0x32a5705f, v53
	v_sub_f32_e32 v97, v97, v115
	v_add_f32_e32 v97, v97, v113
	v_cvt_i32_f32_e32 v113, v115
	v_exp_f32_e32 v97, v97
	v_ldexp_f32 v97, v97, v113
	v_cndmask_b32_e32 v97, 0, v97, vcc_lo
	v_cmp_nlt_f32_e32 vcc_lo, 0x42b17218, v53
	v_cndmask_b32_e32 v53, 0x7f800000, v97, vcc_lo
	v_pack_b32_f16 v97, v102, v100
	v_fmac_f32_e32 v66, v95, v53
	v_cvt_f16_f32_e32 v53, v53
	v_pack_b32_f16 v95, v112, v108
	v_mul_u32_u24_sdwa v53, v53, v94 dst_sel:DWORD dst_unused:UNUSED_PAD src0_sel:WORD_0 src1_sel:DWORD
	ds_write_b128 v91, v[95:98]
	v_pack_b32_f16 v98, v99, v111
	v_pack_b32_f16 v97, v103, v101
	;; [unrolled: 1-line block ×4, first 2 shown]
	v_pk_mul_f16 v51, v51, v53
	v_pk_mul_f16 v50, v50, v53
	v_add_co_u32 v53, vcc_lo, s16, v14
	ds_write_b128 v91, v[95:98] offset:512
	v_add_co_ci_u32_e64 v96, null, s17, v15, vcc_lo
	v_add_co_u32 v95, vcc_lo, v53, v92
	v_add_co_ci_u32_e64 v96, null, 0, v96, vcc_lo
	v_add_co_u32 v53, vcc_lo, s16, v16
	s_or_b32 s16, s8, 32
	global_load_dwordx4 v[95:98], v[95:96], off
	s_waitcnt vmcnt(0)
	ds_write_b128 v87, v[95:98]
	v_add_co_ci_u32_e64 v96, null, s17, v17, vcc_lo
	v_add_co_u32 v95, vcc_lo, v53, v92
	s_mul_hi_i32 s17, s16, s12
	v_add_co_ci_u32_e64 v96, null, 0, v96, vcc_lo
	s_mul_i32 s16, s16, s12
	s_lshl_b64 s[16:17], s[16:17], 2
	global_load_dwordx4 v[95:98], v[95:96], off
	s_add_u32 s16, s9, s16
	s_addc_u32 s17, s13, s17
	s_waitcnt vmcnt(0)
	ds_write_b128 v88, v[95:98]
	s_waitcnt lgkmcnt(0)
	s_barrier
	buffer_gl0_inv
	ds_read2_b64 v[95:98], v89 offset1:32
	ds_read_b128 v[99:102], v86
	ds_read_b128 v[103:106], v86 offset:16
	ds_read_b128 v[110:113], v86 offset:32
	;; [unrolled: 1-line block ×3, first 2 shown]
	s_waitcnt lgkmcnt(3)
	v_mul_u32_u24_sdwa v53, v99, v94 dst_sel:DWORD dst_unused:UNUSED_PAD src0_sel:WORD_0 src1_sel:DWORD
	v_mul_u32_u24_sdwa v99, v99, v94 dst_sel:DWORD dst_unused:UNUSED_PAD src0_sel:WORD_1 src1_sel:DWORD
	v_mul_u32_u24_sdwa v107, v100, v94 dst_sel:DWORD dst_unused:UNUSED_PAD src0_sel:WORD_0 src1_sel:DWORD
	v_mul_u32_u24_sdwa v100, v100, v94 dst_sel:DWORD dst_unused:UNUSED_PAD src0_sel:WORD_1 src1_sel:DWORD
	;; [unrolled: 2-line block ×4, first 2 shown]
	v_pk_fma_f16 v109, v95, v53, v109
	v_pk_fma_f16 v65, v95, v99, v65
	;; [unrolled: 1-line block ×16, first 2 shown]
	s_waitcnt lgkmcnt(2)
	v_mul_u32_u24_sdwa v64, v103, v94 dst_sel:DWORD dst_unused:UNUSED_PAD src0_sel:WORD_0 src1_sel:DWORD
	v_mul_u32_u24_sdwa v95, v103, v94 dst_sel:DWORD dst_unused:UNUSED_PAD src0_sel:WORD_1 src1_sel:DWORD
	v_mul_u32_u24_sdwa v96, v104, v94 dst_sel:DWORD dst_unused:UNUSED_PAD src0_sel:WORD_0 src1_sel:DWORD
	v_mul_u32_u24_sdwa v99, v104, v94 dst_sel:DWORD dst_unused:UNUSED_PAD src0_sel:WORD_1 src1_sel:DWORD
	;; [unrolled: 2-line block ×4, first 2 shown]
	v_pk_fma_f16 v104, v97, v64, v109
	v_pk_fma_f16 v65, v97, v95, v65
	;; [unrolled: 1-line block ×13, first 2 shown]
	ds_read2_b64 v[50:53], v89 offset0:64 offset1:96
	v_pk_fma_f16 v58, v98, v99, v58
	v_pk_fma_f16 v56, v98, v100, v56
	;; [unrolled: 1-line block ×3, first 2 shown]
	s_waitcnt lgkmcnt(2)
	v_mul_u32_u24_sdwa v98, v110, v94 dst_sel:DWORD dst_unused:UNUSED_PAD src0_sel:WORD_0 src1_sel:DWORD
	v_mul_u32_u24_sdwa v99, v110, v94 dst_sel:DWORD dst_unused:UNUSED_PAD src0_sel:WORD_1 src1_sel:DWORD
	v_mul_u32_u24_sdwa v100, v111, v94 dst_sel:DWORD dst_unused:UNUSED_PAD src0_sel:WORD_0 src1_sel:DWORD
	v_mul_u32_u24_sdwa v101, v111, v94 dst_sel:DWORD dst_unused:UNUSED_PAD src0_sel:WORD_1 src1_sel:DWORD
	;; [unrolled: 2-line block ×4, first 2 shown]
	s_waitcnt lgkmcnt(0)
	v_pk_fma_f16 v104, v50, v98, v104
	v_pk_fma_f16 v65, v50, v99, v65
	;; [unrolled: 1-line block ×16, first 2 shown]
	v_mul_u32_u24_sdwa v96, v114, v94 dst_sel:DWORD dst_unused:UNUSED_PAD src0_sel:WORD_0 src1_sel:DWORD
	v_mul_u32_u24_sdwa v97, v114, v94 dst_sel:DWORD dst_unused:UNUSED_PAD src0_sel:WORD_1 src1_sel:DWORD
	v_mul_u32_u24_sdwa v98, v115, v94 dst_sel:DWORD dst_unused:UNUSED_PAD src0_sel:WORD_0 src1_sel:DWORD
	v_mul_u32_u24_sdwa v99, v115, v94 dst_sel:DWORD dst_unused:UNUSED_PAD src0_sel:WORD_1 src1_sel:DWORD
	;; [unrolled: 2-line block ×4, first 2 shown]
	v_pk_fma_f16 v104, v52, v96, v104
	v_pk_fma_f16 v65, v52, v97, v65
	;; [unrolled: 1-line block ×16, first 2 shown]
	ds_read2_b64 v[50:53], v89 offset0:128 offset1:160
	ds_read_b128 v[54:57], v86 offset:64
	s_waitcnt lgkmcnt(0)
	v_mul_u32_u24_sdwa v99, v54, v94 dst_sel:DWORD dst_unused:UNUSED_PAD src0_sel:WORD_0 src1_sel:DWORD
	v_mul_u32_u24_sdwa v54, v54, v94 dst_sel:DWORD dst_unused:UNUSED_PAD src0_sel:WORD_1 src1_sel:DWORD
	v_mul_u32_u24_sdwa v100, v55, v94 dst_sel:DWORD dst_unused:UNUSED_PAD src0_sel:WORD_0 src1_sel:DWORD
	v_mul_u32_u24_sdwa v55, v55, v94 dst_sel:DWORD dst_unused:UNUSED_PAD src0_sel:WORD_1 src1_sel:DWORD
	;; [unrolled: 2-line block ×4, first 2 shown]
	v_pk_fma_f16 v103, v50, v99, v104
	v_pk_fma_f16 v65, v50, v54, v65
	;; [unrolled: 1-line block ×16, first 2 shown]
	ds_read_b128 v[54:57], v86 offset:80
	s_waitcnt lgkmcnt(0)
	v_mul_u32_u24_sdwa v98, v54, v94 dst_sel:DWORD dst_unused:UNUSED_PAD src0_sel:WORD_0 src1_sel:DWORD
	v_mul_u32_u24_sdwa v54, v54, v94 dst_sel:DWORD dst_unused:UNUSED_PAD src0_sel:WORD_1 src1_sel:DWORD
	v_mul_u32_u24_sdwa v99, v55, v94 dst_sel:DWORD dst_unused:UNUSED_PAD src0_sel:WORD_0 src1_sel:DWORD
	v_mul_u32_u24_sdwa v55, v55, v94 dst_sel:DWORD dst_unused:UNUSED_PAD src0_sel:WORD_1 src1_sel:DWORD
	;; [unrolled: 2-line block ×4, first 2 shown]
	v_pk_fma_f16 v102, v52, v98, v103
	v_pk_fma_f16 v65, v52, v54, v65
	;; [unrolled: 1-line block ×16, first 2 shown]
	ds_read2_b64 v[50:53], v89 offset0:192 offset1:224
	ds_read_b128 v[54:57], v86 offset:96
	s_waitcnt lgkmcnt(0)
	v_mul_u32_u24_sdwa v99, v54, v94 dst_sel:DWORD dst_unused:UNUSED_PAD src0_sel:WORD_0 src1_sel:DWORD
	v_mul_u32_u24_sdwa v54, v54, v94 dst_sel:DWORD dst_unused:UNUSED_PAD src0_sel:WORD_1 src1_sel:DWORD
	v_mul_u32_u24_sdwa v100, v55, v94 dst_sel:DWORD dst_unused:UNUSED_PAD src0_sel:WORD_0 src1_sel:DWORD
	v_mul_u32_u24_sdwa v55, v55, v94 dst_sel:DWORD dst_unused:UNUSED_PAD src0_sel:WORD_1 src1_sel:DWORD
	;; [unrolled: 2-line block ×4, first 2 shown]
	v_pk_fma_f16 v102, v50, v99, v102
	v_pk_fma_f16 v65, v50, v54, v65
	;; [unrolled: 1-line block ×16, first 2 shown]
	ds_read_b128 v[54:57], v86 offset:112
	s_waitcnt lgkmcnt(0)
	v_mul_u32_u24_sdwa v99, v55, v94 dst_sel:DWORD dst_unused:UNUSED_PAD src0_sel:WORD_0 src1_sel:DWORD
	v_mul_u32_u24_sdwa v101, v57, v94 dst_sel:DWORD dst_unused:UNUSED_PAD src0_sel:WORD_0 src1_sel:DWORD
	v_mul_u32_u24_sdwa v57, v57, v94 dst_sel:DWORD dst_unused:UNUSED_PAD src0_sel:WORD_1 src1_sel:DWORD
	v_mul_u32_u24_sdwa v98, v54, v94 dst_sel:DWORD dst_unused:UNUSED_PAD src0_sel:WORD_0 src1_sel:DWORD
	v_mul_u32_u24_sdwa v54, v54, v94 dst_sel:DWORD dst_unused:UNUSED_PAD src0_sel:WORD_1 src1_sel:DWORD
	v_mul_u32_u24_sdwa v55, v55, v94 dst_sel:DWORD dst_unused:UNUSED_PAD src0_sel:WORD_1 src1_sel:DWORD
	v_mul_u32_u24_sdwa v100, v56, v94 dst_sel:DWORD dst_unused:UNUSED_PAD src0_sel:WORD_0 src1_sel:DWORD
	v_mul_u32_u24_sdwa v56, v56, v94 dst_sel:DWORD dst_unused:UNUSED_PAD src0_sel:WORD_1 src1_sel:DWORD
	v_pk_fma_f16 v63, v52, v99, v63
	v_pk_fma_f16 v60, v53, v99, v60
	;; [unrolled: 1-line block ×3, first 2 shown]
	v_add_nc_u32_e32 v51, 0x800, v89
	v_pk_fma_f16 v102, v52, v98, v102
	v_pk_fma_f16 v65, v52, v54, v65
	;; [unrolled: 1-line block ×13, first 2 shown]
	ds_read2_b64 v[52:55], v51 offset1:32
	ds_read_b128 v[56:59], v86 offset:128
	s_waitcnt lgkmcnt(0)
	v_mul_u32_u24_sdwa v100, v56, v94 dst_sel:DWORD dst_unused:UNUSED_PAD src0_sel:WORD_0 src1_sel:DWORD
	v_mul_u32_u24_sdwa v56, v56, v94 dst_sel:DWORD dst_unused:UNUSED_PAD src0_sel:WORD_1 src1_sel:DWORD
	v_mul_u32_u24_sdwa v101, v57, v94 dst_sel:DWORD dst_unused:UNUSED_PAD src0_sel:WORD_0 src1_sel:DWORD
	v_mul_u32_u24_sdwa v57, v57, v94 dst_sel:DWORD dst_unused:UNUSED_PAD src0_sel:WORD_1 src1_sel:DWORD
	v_mul_u32_u24_sdwa v106, v58, v94 dst_sel:DWORD dst_unused:UNUSED_PAD src0_sel:WORD_0 src1_sel:DWORD
	v_mul_u32_u24_sdwa v58, v58, v94 dst_sel:DWORD dst_unused:UNUSED_PAD src0_sel:WORD_1 src1_sel:DWORD
	v_mul_u32_u24_sdwa v107, v59, v94 dst_sel:DWORD dst_unused:UNUSED_PAD src0_sel:WORD_0 src1_sel:DWORD
	v_mul_u32_u24_sdwa v59, v59, v94 dst_sel:DWORD dst_unused:UNUSED_PAD src0_sel:WORD_1 src1_sel:DWORD
	v_pk_fma_f16 v102, v52, v100, v102
	v_pk_fma_f16 v65, v52, v56, v65
	v_pk_fma_f16 v63, v52, v101, v63
	v_pk_fma_f16 v61, v52, v57, v61
	v_pk_fma_f16 v105, v52, v106, v105
	v_pk_fma_f16 v103, v52, v58, v103
	v_pk_fma_f16 v104, v52, v107, v104
	v_pk_fma_f16 v50, v52, v59, v50
	v_pk_fma_f16 v52, v53, v100, v64
	v_pk_fma_f16 v62, v53, v56, v62
	v_pk_fma_f16 v60, v53, v101, v60
	v_pk_fma_f16 v64, v53, v57, v98
	v_pk_fma_f16 v96, v53, v106, v96
	v_pk_fma_f16 v97, v53, v58, v97
	v_pk_fma_f16 v95, v53, v107, v95
	v_pk_fma_f16 v53, v53, v59, v99
	ds_read_b128 v[56:59], v86 offset:144
	s_waitcnt lgkmcnt(0)
	v_mul_u32_u24_sdwa v98, v56, v94 dst_sel:DWORD dst_unused:UNUSED_PAD src0_sel:WORD_0 src1_sel:DWORD
	v_mul_u32_u24_sdwa v56, v56, v94 dst_sel:DWORD dst_unused:UNUSED_PAD src0_sel:WORD_1 src1_sel:DWORD
	v_mul_u32_u24_sdwa v99, v57, v94 dst_sel:DWORD dst_unused:UNUSED_PAD src0_sel:WORD_0 src1_sel:DWORD
	v_mul_u32_u24_sdwa v57, v57, v94 dst_sel:DWORD dst_unused:UNUSED_PAD src0_sel:WORD_1 src1_sel:DWORD
	v_mul_u32_u24_sdwa v100, v58, v94 dst_sel:DWORD dst_unused:UNUSED_PAD src0_sel:WORD_0 src1_sel:DWORD
	v_mul_u32_u24_sdwa v58, v58, v94 dst_sel:DWORD dst_unused:UNUSED_PAD src0_sel:WORD_1 src1_sel:DWORD
	v_mul_u32_u24_sdwa v101, v59, v94 dst_sel:DWORD dst_unused:UNUSED_PAD src0_sel:WORD_0 src1_sel:DWORD
	v_mul_u32_u24_sdwa v59, v59, v94 dst_sel:DWORD dst_unused:UNUSED_PAD src0_sel:WORD_1 src1_sel:DWORD
	v_pk_fma_f16 v102, v54, v98, v102
	v_pk_fma_f16 v65, v54, v56, v65
	v_pk_fma_f16 v63, v54, v99, v63
	v_pk_fma_f16 v61, v54, v57, v61
	v_pk_fma_f16 v105, v54, v100, v105
	v_pk_fma_f16 v103, v54, v58, v103
	v_pk_fma_f16 v104, v54, v101, v104
	v_pk_fma_f16 v50, v54, v59, v50
	v_pk_fma_f16 v98, v55, v98, v52
	v_pk_fma_f16 v62, v55, v56, v62
	v_pk_fma_f16 v60, v55, v99, v60
	v_pk_fma_f16 v64, v55, v57, v64
	v_pk_fma_f16 v96, v55, v100, v96
	v_pk_fma_f16 v97, v55, v58, v97
	v_pk_fma_f16 v95, v55, v101, v95
	v_pk_fma_f16 v99, v55, v59, v53
	ds_read2_b64 v[52:55], v51 offset0:64 offset1:96
	ds_read_b128 v[56:59], v86 offset:160
	s_waitcnt lgkmcnt(0)
	v_mul_u32_u24_sdwa v100, v56, v94 dst_sel:DWORD dst_unused:UNUSED_PAD src0_sel:WORD_0 src1_sel:DWORD
	v_mul_u32_u24_sdwa v56, v56, v94 dst_sel:DWORD dst_unused:UNUSED_PAD src0_sel:WORD_1 src1_sel:DWORD
	v_mul_u32_u24_sdwa v101, v57, v94 dst_sel:DWORD dst_unused:UNUSED_PAD src0_sel:WORD_0 src1_sel:DWORD
	v_mul_u32_u24_sdwa v57, v57, v94 dst_sel:DWORD dst_unused:UNUSED_PAD src0_sel:WORD_1 src1_sel:DWORD
	v_mul_u32_u24_sdwa v106, v58, v94 dst_sel:DWORD dst_unused:UNUSED_PAD src0_sel:WORD_0 src1_sel:DWORD
	v_mul_u32_u24_sdwa v58, v58, v94 dst_sel:DWORD dst_unused:UNUSED_PAD src0_sel:WORD_1 src1_sel:DWORD
	v_mul_u32_u24_sdwa v107, v59, v94 dst_sel:DWORD dst_unused:UNUSED_PAD src0_sel:WORD_0 src1_sel:DWORD
	v_mul_u32_u24_sdwa v59, v59, v94 dst_sel:DWORD dst_unused:UNUSED_PAD src0_sel:WORD_1 src1_sel:DWORD
	v_pk_fma_f16 v102, v52, v100, v102
	v_pk_fma_f16 v65, v52, v56, v65
	v_pk_fma_f16 v63, v52, v101, v63
	v_pk_fma_f16 v61, v52, v57, v61
	v_pk_fma_f16 v105, v52, v106, v105
	v_pk_fma_f16 v103, v52, v58, v103
	v_pk_fma_f16 v104, v52, v107, v104
	v_pk_fma_f16 v50, v52, v59, v50
	v_pk_fma_f16 v52, v53, v100, v98
	v_pk_fma_f16 v62, v53, v56, v62
	v_pk_fma_f16 v60, v53, v101, v60
	v_pk_fma_f16 v64, v53, v57, v64
	v_pk_fma_f16 v96, v53, v106, v96
	v_pk_fma_f16 v97, v53, v58, v97
	v_pk_fma_f16 v95, v53, v107, v95
	v_pk_fma_f16 v53, v53, v59, v99
	ds_read_b128 v[56:59], v86 offset:176
	s_waitcnt lgkmcnt(0)
	v_mul_u32_u24_sdwa v98, v56, v94 dst_sel:DWORD dst_unused:UNUSED_PAD src0_sel:WORD_0 src1_sel:DWORD
	v_mul_u32_u24_sdwa v56, v56, v94 dst_sel:DWORD dst_unused:UNUSED_PAD src0_sel:WORD_1 src1_sel:DWORD
	v_mul_u32_u24_sdwa v99, v57, v94 dst_sel:DWORD dst_unused:UNUSED_PAD src0_sel:WORD_0 src1_sel:DWORD
	v_mul_u32_u24_sdwa v57, v57, v94 dst_sel:DWORD dst_unused:UNUSED_PAD src0_sel:WORD_1 src1_sel:DWORD
	v_mul_u32_u24_sdwa v100, v58, v94 dst_sel:DWORD dst_unused:UNUSED_PAD src0_sel:WORD_0 src1_sel:DWORD
	v_mul_u32_u24_sdwa v58, v58, v94 dst_sel:DWORD dst_unused:UNUSED_PAD src0_sel:WORD_1 src1_sel:DWORD
	v_mul_u32_u24_sdwa v101, v59, v94 dst_sel:DWORD dst_unused:UNUSED_PAD src0_sel:WORD_0 src1_sel:DWORD
	v_mul_u32_u24_sdwa v59, v59, v94 dst_sel:DWORD dst_unused:UNUSED_PAD src0_sel:WORD_1 src1_sel:DWORD
	v_pk_fma_f16 v102, v54, v98, v102
	v_pk_fma_f16 v65, v54, v56, v65
	v_pk_fma_f16 v63, v54, v99, v63
	v_pk_fma_f16 v61, v54, v57, v61
	v_pk_fma_f16 v105, v54, v100, v105
	v_pk_fma_f16 v103, v54, v58, v103
	v_pk_fma_f16 v104, v54, v101, v104
	v_pk_fma_f16 v50, v54, v59, v50
	v_pk_fma_f16 v98, v55, v98, v52
	v_pk_fma_f16 v62, v55, v56, v62
	v_pk_fma_f16 v60, v55, v99, v60
	v_pk_fma_f16 v64, v55, v57, v64
	v_pk_fma_f16 v96, v55, v100, v96
	v_pk_fma_f16 v97, v55, v58, v97
	v_pk_fma_f16 v95, v55, v101, v95
	v_pk_fma_f16 v99, v55, v59, v53
	ds_read2_b64 v[52:55], v51 offset0:128 offset1:160
	;; [unrolled: 53-line block ×3, first 2 shown]
	ds_read_b128 v[56:59], v86 offset:224
	s_waitcnt lgkmcnt(0)
	v_mul_u32_u24_sdwa v100, v56, v94 dst_sel:DWORD dst_unused:UNUSED_PAD src0_sel:WORD_0 src1_sel:DWORD
	v_mul_u32_u24_sdwa v56, v56, v94 dst_sel:DWORD dst_unused:UNUSED_PAD src0_sel:WORD_1 src1_sel:DWORD
	v_mul_u32_u24_sdwa v101, v57, v94 dst_sel:DWORD dst_unused:UNUSED_PAD src0_sel:WORD_0 src1_sel:DWORD
	v_mul_u32_u24_sdwa v57, v57, v94 dst_sel:DWORD dst_unused:UNUSED_PAD src0_sel:WORD_1 src1_sel:DWORD
	;; [unrolled: 2-line block ×4, first 2 shown]
	v_pk_fma_f16 v102, v52, v100, v102
	v_pk_fma_f16 v65, v52, v56, v65
	;; [unrolled: 1-line block ×16, first 2 shown]
	ds_read_b128 v[56:59], v86 offset:240
	s_waitcnt lgkmcnt(0)
	v_mul_u32_u24_sdwa v98, v56, v94 dst_sel:DWORD dst_unused:UNUSED_PAD src0_sel:WORD_0 src1_sel:DWORD
	v_mul_u32_u24_sdwa v56, v56, v94 dst_sel:DWORD dst_unused:UNUSED_PAD src0_sel:WORD_1 src1_sel:DWORD
	v_mul_u32_u24_sdwa v99, v57, v94 dst_sel:DWORD dst_unused:UNUSED_PAD src0_sel:WORD_0 src1_sel:DWORD
	v_mul_u32_u24_sdwa v57, v57, v94 dst_sel:DWORD dst_unused:UNUSED_PAD src0_sel:WORD_1 src1_sel:DWORD
	;; [unrolled: 2-line block ×4, first 2 shown]
	v_pk_fma_f16 v102, v54, v98, v102
	v_pk_fma_f16 v98, v55, v98, v52
	v_add_nc_u32_e32 v52, 0x1000, v89
	v_pk_fma_f16 v65, v54, v56, v65
	v_pk_fma_f16 v63, v54, v99, v63
	;; [unrolled: 1-line block ×14, first 2 shown]
	ds_read2_b64 v[53:56], v52 offset1:32
	ds_read_b128 v[57:60], v86 offset:256
	s_waitcnt lgkmcnt(0)
	v_mul_u32_u24_sdwa v101, v57, v94 dst_sel:DWORD dst_unused:UNUSED_PAD src0_sel:WORD_0 src1_sel:DWORD
	v_mul_u32_u24_sdwa v57, v57, v94 dst_sel:DWORD dst_unused:UNUSED_PAD src0_sel:WORD_1 src1_sel:DWORD
	v_mul_u32_u24_sdwa v106, v58, v94 dst_sel:DWORD dst_unused:UNUSED_PAD src0_sel:WORD_0 src1_sel:DWORD
	v_mul_u32_u24_sdwa v58, v58, v94 dst_sel:DWORD dst_unused:UNUSED_PAD src0_sel:WORD_1 src1_sel:DWORD
	v_mul_u32_u24_sdwa v107, v59, v94 dst_sel:DWORD dst_unused:UNUSED_PAD src0_sel:WORD_0 src1_sel:DWORD
	v_mul_u32_u24_sdwa v59, v59, v94 dst_sel:DWORD dst_unused:UNUSED_PAD src0_sel:WORD_1 src1_sel:DWORD
	v_mul_u32_u24_sdwa v108, v60, v94 dst_sel:DWORD dst_unused:UNUSED_PAD src0_sel:WORD_0 src1_sel:DWORD
	v_mul_u32_u24_sdwa v60, v60, v94 dst_sel:DWORD dst_unused:UNUSED_PAD src0_sel:WORD_1 src1_sel:DWORD
	v_pk_fma_f16 v102, v53, v101, v102
	v_pk_fma_f16 v65, v53, v57, v65
	v_pk_fma_f16 v63, v53, v106, v63
	v_pk_fma_f16 v61, v53, v58, v61
	v_pk_fma_f16 v105, v53, v107, v105
	v_pk_fma_f16 v103, v53, v59, v103
	v_pk_fma_f16 v104, v53, v108, v104
	v_pk_fma_f16 v50, v53, v60, v50
	v_pk_fma_f16 v53, v54, v101, v98
	v_pk_fma_f16 v62, v54, v57, v62
	v_pk_fma_f16 v98, v54, v106, v99
	v_pk_fma_f16 v64, v54, v58, v64
	v_pk_fma_f16 v96, v54, v107, v96
	v_pk_fma_f16 v97, v54, v59, v97
	v_pk_fma_f16 v95, v54, v108, v95
	v_pk_fma_f16 v54, v54, v60, v100
	ds_read_b128 v[57:60], v86 offset:272
	s_waitcnt lgkmcnt(0)
	v_mul_u32_u24_sdwa v99, v57, v94 dst_sel:DWORD dst_unused:UNUSED_PAD src0_sel:WORD_0 src1_sel:DWORD
	v_mul_u32_u24_sdwa v57, v57, v94 dst_sel:DWORD dst_unused:UNUSED_PAD src0_sel:WORD_1 src1_sel:DWORD
	v_mul_u32_u24_sdwa v100, v58, v94 dst_sel:DWORD dst_unused:UNUSED_PAD src0_sel:WORD_0 src1_sel:DWORD
	v_mul_u32_u24_sdwa v58, v58, v94 dst_sel:DWORD dst_unused:UNUSED_PAD src0_sel:WORD_1 src1_sel:DWORD
	v_mul_u32_u24_sdwa v101, v59, v94 dst_sel:DWORD dst_unused:UNUSED_PAD src0_sel:WORD_0 src1_sel:DWORD
	v_mul_u32_u24_sdwa v59, v59, v94 dst_sel:DWORD dst_unused:UNUSED_PAD src0_sel:WORD_1 src1_sel:DWORD
	v_mul_u32_u24_sdwa v106, v60, v94 dst_sel:DWORD dst_unused:UNUSED_PAD src0_sel:WORD_0 src1_sel:DWORD
	v_mul_u32_u24_sdwa v60, v60, v94 dst_sel:DWORD dst_unused:UNUSED_PAD src0_sel:WORD_1 src1_sel:DWORD
	v_pk_fma_f16 v102, v55, v99, v102
	v_pk_fma_f16 v65, v55, v57, v65
	v_pk_fma_f16 v63, v55, v100, v63
	v_pk_fma_f16 v61, v55, v58, v61
	v_pk_fma_f16 v105, v55, v101, v105
	v_pk_fma_f16 v103, v55, v59, v103
	v_pk_fma_f16 v104, v55, v106, v104
	v_pk_fma_f16 v50, v55, v60, v50
	v_pk_fma_f16 v99, v56, v99, v53
	v_pk_fma_f16 v62, v56, v57, v62
	v_pk_fma_f16 v98, v56, v100, v98
	v_pk_fma_f16 v64, v56, v58, v64
	v_pk_fma_f16 v96, v56, v101, v96
	v_pk_fma_f16 v97, v56, v59, v97
	v_pk_fma_f16 v95, v56, v106, v95
	v_pk_fma_f16 v100, v56, v60, v54
	ds_read2_b64 v[53:56], v52 offset0:64 offset1:96
	ds_read_b128 v[57:60], v86 offset:288
	s_waitcnt lgkmcnt(0)
	v_mul_u32_u24_sdwa v101, v57, v94 dst_sel:DWORD dst_unused:UNUSED_PAD src0_sel:WORD_0 src1_sel:DWORD
	v_mul_u32_u24_sdwa v57, v57, v94 dst_sel:DWORD dst_unused:UNUSED_PAD src0_sel:WORD_1 src1_sel:DWORD
	v_mul_u32_u24_sdwa v106, v58, v94 dst_sel:DWORD dst_unused:UNUSED_PAD src0_sel:WORD_0 src1_sel:DWORD
	v_mul_u32_u24_sdwa v58, v58, v94 dst_sel:DWORD dst_unused:UNUSED_PAD src0_sel:WORD_1 src1_sel:DWORD
	v_mul_u32_u24_sdwa v107, v59, v94 dst_sel:DWORD dst_unused:UNUSED_PAD src0_sel:WORD_0 src1_sel:DWORD
	v_mul_u32_u24_sdwa v59, v59, v94 dst_sel:DWORD dst_unused:UNUSED_PAD src0_sel:WORD_1 src1_sel:DWORD
	v_mul_u32_u24_sdwa v108, v60, v94 dst_sel:DWORD dst_unused:UNUSED_PAD src0_sel:WORD_0 src1_sel:DWORD
	v_mul_u32_u24_sdwa v60, v60, v94 dst_sel:DWORD dst_unused:UNUSED_PAD src0_sel:WORD_1 src1_sel:DWORD
	v_pk_fma_f16 v102, v53, v101, v102
	v_pk_fma_f16 v65, v53, v57, v65
	v_pk_fma_f16 v63, v53, v106, v63
	v_pk_fma_f16 v61, v53, v58, v61
	v_pk_fma_f16 v105, v53, v107, v105
	v_pk_fma_f16 v103, v53, v59, v103
	v_pk_fma_f16 v104, v53, v108, v104
	v_pk_fma_f16 v50, v53, v60, v50
	v_pk_fma_f16 v53, v54, v101, v99
	v_pk_fma_f16 v62, v54, v57, v62
	v_pk_fma_f16 v98, v54, v106, v98
	v_pk_fma_f16 v64, v54, v58, v64
	v_pk_fma_f16 v96, v54, v107, v96
	v_pk_fma_f16 v97, v54, v59, v97
	v_pk_fma_f16 v95, v54, v108, v95
	v_pk_fma_f16 v54, v54, v60, v100
	ds_read_b128 v[57:60], v86 offset:304
	s_waitcnt lgkmcnt(0)
	v_mul_u32_u24_sdwa v99, v57, v94 dst_sel:DWORD dst_unused:UNUSED_PAD src0_sel:WORD_0 src1_sel:DWORD
	v_mul_u32_u24_sdwa v57, v57, v94 dst_sel:DWORD dst_unused:UNUSED_PAD src0_sel:WORD_1 src1_sel:DWORD
	v_mul_u32_u24_sdwa v100, v58, v94 dst_sel:DWORD dst_unused:UNUSED_PAD src0_sel:WORD_0 src1_sel:DWORD
	v_mul_u32_u24_sdwa v58, v58, v94 dst_sel:DWORD dst_unused:UNUSED_PAD src0_sel:WORD_1 src1_sel:DWORD
	v_mul_u32_u24_sdwa v101, v59, v94 dst_sel:DWORD dst_unused:UNUSED_PAD src0_sel:WORD_0 src1_sel:DWORD
	v_mul_u32_u24_sdwa v59, v59, v94 dst_sel:DWORD dst_unused:UNUSED_PAD src0_sel:WORD_1 src1_sel:DWORD
	v_mul_u32_u24_sdwa v106, v60, v94 dst_sel:DWORD dst_unused:UNUSED_PAD src0_sel:WORD_0 src1_sel:DWORD
	v_mul_u32_u24_sdwa v60, v60, v94 dst_sel:DWORD dst_unused:UNUSED_PAD src0_sel:WORD_1 src1_sel:DWORD
	v_pk_fma_f16 v102, v55, v99, v102
	v_pk_fma_f16 v65, v55, v57, v65
	v_pk_fma_f16 v63, v55, v100, v63
	v_pk_fma_f16 v61, v55, v58, v61
	v_pk_fma_f16 v105, v55, v101, v105
	v_pk_fma_f16 v103, v55, v59, v103
	v_pk_fma_f16 v104, v55, v106, v104
	v_pk_fma_f16 v50, v55, v60, v50
	v_pk_fma_f16 v99, v56, v99, v53
	v_pk_fma_f16 v62, v56, v57, v62
	v_pk_fma_f16 v98, v56, v100, v98
	v_pk_fma_f16 v64, v56, v58, v64
	v_pk_fma_f16 v96, v56, v101, v96
	v_pk_fma_f16 v97, v56, v59, v97
	v_pk_fma_f16 v95, v56, v106, v95
	v_pk_fma_f16 v100, v56, v60, v54
	ds_read2_b64 v[53:56], v52 offset0:128 offset1:160
	ds_read_b128 v[57:60], v86 offset:320
	s_waitcnt lgkmcnt(0)
	v_mul_u32_u24_sdwa v101, v57, v94 dst_sel:DWORD dst_unused:UNUSED_PAD src0_sel:WORD_0 src1_sel:DWORD
	v_mul_u32_u24_sdwa v57, v57, v94 dst_sel:DWORD dst_unused:UNUSED_PAD src0_sel:WORD_1 src1_sel:DWORD
	v_mul_u32_u24_sdwa v106, v58, v94 dst_sel:DWORD dst_unused:UNUSED_PAD src0_sel:WORD_0 src1_sel:DWORD
	v_mul_u32_u24_sdwa v58, v58, v94 dst_sel:DWORD dst_unused:UNUSED_PAD src0_sel:WORD_1 src1_sel:DWORD
	v_mul_u32_u24_sdwa v107, v59, v94 dst_sel:DWORD dst_unused:UNUSED_PAD src0_sel:WORD_0 src1_sel:DWORD
	v_mul_u32_u24_sdwa v59, v59, v94 dst_sel:DWORD dst_unused:UNUSED_PAD src0_sel:WORD_1 src1_sel:DWORD
	v_mul_u32_u24_sdwa v108, v60, v94 dst_sel:DWORD dst_unused:UNUSED_PAD src0_sel:WORD_0 src1_sel:DWORD
	v_mul_u32_u24_sdwa v60, v60, v94 dst_sel:DWORD dst_unused:UNUSED_PAD src0_sel:WORD_1 src1_sel:DWORD
	v_pk_fma_f16 v102, v53, v101, v102
	v_pk_fma_f16 v65, v53, v57, v65
	v_pk_fma_f16 v63, v53, v106, v63
	v_pk_fma_f16 v61, v53, v58, v61
	v_pk_fma_f16 v105, v53, v107, v105
	v_pk_fma_f16 v103, v53, v59, v103
	v_pk_fma_f16 v104, v53, v108, v104
	v_pk_fma_f16 v50, v53, v60, v50
	v_pk_fma_f16 v53, v54, v101, v99
	v_pk_fma_f16 v62, v54, v57, v62
	v_pk_fma_f16 v98, v54, v106, v98
	v_pk_fma_f16 v64, v54, v58, v64
	v_pk_fma_f16 v96, v54, v107, v96
	v_pk_fma_f16 v97, v54, v59, v97
	v_pk_fma_f16 v95, v54, v108, v95
	v_pk_fma_f16 v54, v54, v60, v100
	ds_read_b128 v[57:60], v86 offset:336
	s_waitcnt lgkmcnt(0)
	v_mul_u32_u24_sdwa v99, v57, v94 dst_sel:DWORD dst_unused:UNUSED_PAD src0_sel:WORD_0 src1_sel:DWORD
	v_mul_u32_u24_sdwa v57, v57, v94 dst_sel:DWORD dst_unused:UNUSED_PAD src0_sel:WORD_1 src1_sel:DWORD
	v_mul_u32_u24_sdwa v100, v58, v94 dst_sel:DWORD dst_unused:UNUSED_PAD src0_sel:WORD_0 src1_sel:DWORD
	v_mul_u32_u24_sdwa v58, v58, v94 dst_sel:DWORD dst_unused:UNUSED_PAD src0_sel:WORD_1 src1_sel:DWORD
	v_mul_u32_u24_sdwa v101, v59, v94 dst_sel:DWORD dst_unused:UNUSED_PAD src0_sel:WORD_0 src1_sel:DWORD
	v_mul_u32_u24_sdwa v59, v59, v94 dst_sel:DWORD dst_unused:UNUSED_PAD src0_sel:WORD_1 src1_sel:DWORD
	v_mul_u32_u24_sdwa v106, v60, v94 dst_sel:DWORD dst_unused:UNUSED_PAD src0_sel:WORD_0 src1_sel:DWORD
	v_mul_u32_u24_sdwa v60, v60, v94 dst_sel:DWORD dst_unused:UNUSED_PAD src0_sel:WORD_1 src1_sel:DWORD
	v_pk_fma_f16 v102, v55, v99, v102
	v_pk_fma_f16 v65, v55, v57, v65
	v_pk_fma_f16 v63, v55, v100, v63
	v_pk_fma_f16 v61, v55, v58, v61
	v_pk_fma_f16 v105, v55, v101, v105
	v_pk_fma_f16 v103, v55, v59, v103
	v_pk_fma_f16 v104, v55, v106, v104
	v_pk_fma_f16 v50, v55, v60, v50
	v_pk_fma_f16 v99, v56, v99, v53
	v_pk_fma_f16 v62, v56, v57, v62
	v_pk_fma_f16 v98, v56, v100, v98
	v_pk_fma_f16 v64, v56, v58, v64
	v_pk_fma_f16 v96, v56, v101, v96
	v_pk_fma_f16 v97, v56, v59, v97
	v_pk_fma_f16 v95, v56, v106, v95
	v_pk_fma_f16 v100, v56, v60, v54
	ds_read2_b64 v[53:56], v52 offset0:192 offset1:224
	ds_read_b128 v[57:60], v86 offset:352
	s_waitcnt lgkmcnt(0)
	v_mul_u32_u24_sdwa v101, v57, v94 dst_sel:DWORD dst_unused:UNUSED_PAD src0_sel:WORD_0 src1_sel:DWORD
	v_mul_u32_u24_sdwa v57, v57, v94 dst_sel:DWORD dst_unused:UNUSED_PAD src0_sel:WORD_1 src1_sel:DWORD
	v_mul_u32_u24_sdwa v106, v58, v94 dst_sel:DWORD dst_unused:UNUSED_PAD src0_sel:WORD_0 src1_sel:DWORD
	v_mul_u32_u24_sdwa v58, v58, v94 dst_sel:DWORD dst_unused:UNUSED_PAD src0_sel:WORD_1 src1_sel:DWORD
	;; [unrolled: 2-line block ×4, first 2 shown]
	v_pk_fma_f16 v102, v53, v101, v102
	v_pk_fma_f16 v65, v53, v57, v65
	;; [unrolled: 1-line block ×16, first 2 shown]
	ds_read_b128 v[57:60], v86 offset:368
	s_waitcnt lgkmcnt(0)
	v_mul_u32_u24_sdwa v106, v60, v94 dst_sel:DWORD dst_unused:UNUSED_PAD src0_sel:WORD_0 src1_sel:DWORD
	v_mul_u32_u24_sdwa v60, v60, v94 dst_sel:DWORD dst_unused:UNUSED_PAD src0_sel:WORD_1 src1_sel:DWORD
	v_mul_u32_u24_sdwa v99, v57, v94 dst_sel:DWORD dst_unused:UNUSED_PAD src0_sel:WORD_0 src1_sel:DWORD
	v_mul_u32_u24_sdwa v57, v57, v94 dst_sel:DWORD dst_unused:UNUSED_PAD src0_sel:WORD_1 src1_sel:DWORD
	;; [unrolled: 2-line block ×4, first 2 shown]
	v_pk_fma_f16 v107, v55, v60, v50
	v_add_nc_u32_e32 v50, 0x1800, v89
	v_pk_fma_f16 v102, v55, v99, v102
	v_pk_fma_f16 v65, v55, v57, v65
	;; [unrolled: 1-line block ×15, first 2 shown]
	ds_read2_b64 v[53:56], v50 offset1:32
	ds_read_b128 v[57:60], v86 offset:384
	s_waitcnt lgkmcnt(0)
	v_mul_u32_u24_sdwa v101, v57, v94 dst_sel:DWORD dst_unused:UNUSED_PAD src0_sel:WORD_0 src1_sel:DWORD
	v_mul_u32_u24_sdwa v57, v57, v94 dst_sel:DWORD dst_unused:UNUSED_PAD src0_sel:WORD_1 src1_sel:DWORD
	v_mul_u32_u24_sdwa v106, v58, v94 dst_sel:DWORD dst_unused:UNUSED_PAD src0_sel:WORD_0 src1_sel:DWORD
	v_mul_u32_u24_sdwa v58, v58, v94 dst_sel:DWORD dst_unused:UNUSED_PAD src0_sel:WORD_1 src1_sel:DWORD
	v_mul_u32_u24_sdwa v108, v59, v94 dst_sel:DWORD dst_unused:UNUSED_PAD src0_sel:WORD_0 src1_sel:DWORD
	v_mul_u32_u24_sdwa v59, v59, v94 dst_sel:DWORD dst_unused:UNUSED_PAD src0_sel:WORD_1 src1_sel:DWORD
	v_mul_u32_u24_sdwa v109, v60, v94 dst_sel:DWORD dst_unused:UNUSED_PAD src0_sel:WORD_0 src1_sel:DWORD
	v_mul_u32_u24_sdwa v60, v60, v94 dst_sel:DWORD dst_unused:UNUSED_PAD src0_sel:WORD_1 src1_sel:DWORD
	v_pk_fma_f16 v102, v53, v101, v102
	v_pk_fma_f16 v65, v53, v57, v65
	v_pk_fma_f16 v63, v53, v106, v63
	v_pk_fma_f16 v61, v53, v58, v61
	v_pk_fma_f16 v105, v53, v108, v105
	v_pk_fma_f16 v103, v53, v59, v103
	v_pk_fma_f16 v104, v53, v109, v104
	v_pk_fma_f16 v53, v53, v60, v107
	v_pk_fma_f16 v99, v54, v101, v99
	v_pk_fma_f16 v62, v54, v57, v62
	v_pk_fma_f16 v98, v54, v106, v98
	v_pk_fma_f16 v64, v54, v58, v64
	v_pk_fma_f16 v96, v54, v108, v96
	v_pk_fma_f16 v97, v54, v59, v97
	v_pk_fma_f16 v95, v54, v109, v95
	v_pk_fma_f16 v54, v54, v60, v100
	ds_read_b128 v[57:60], v86 offset:400
	s_waitcnt lgkmcnt(0)
	v_mul_u32_u24_sdwa v100, v57, v94 dst_sel:DWORD dst_unused:UNUSED_PAD src0_sel:WORD_0 src1_sel:DWORD
	v_mul_u32_u24_sdwa v57, v57, v94 dst_sel:DWORD dst_unused:UNUSED_PAD src0_sel:WORD_1 src1_sel:DWORD
	v_mul_u32_u24_sdwa v101, v58, v94 dst_sel:DWORD dst_unused:UNUSED_PAD src0_sel:WORD_0 src1_sel:DWORD
	v_mul_u32_u24_sdwa v58, v58, v94 dst_sel:DWORD dst_unused:UNUSED_PAD src0_sel:WORD_1 src1_sel:DWORD
	v_mul_u32_u24_sdwa v106, v59, v94 dst_sel:DWORD dst_unused:UNUSED_PAD src0_sel:WORD_0 src1_sel:DWORD
	v_mul_u32_u24_sdwa v59, v59, v94 dst_sel:DWORD dst_unused:UNUSED_PAD src0_sel:WORD_1 src1_sel:DWORD
	v_mul_u32_u24_sdwa v107, v60, v94 dst_sel:DWORD dst_unused:UNUSED_PAD src0_sel:WORD_0 src1_sel:DWORD
	v_mul_u32_u24_sdwa v60, v60, v94 dst_sel:DWORD dst_unused:UNUSED_PAD src0_sel:WORD_1 src1_sel:DWORD
	v_pk_fma_f16 v102, v55, v100, v102
	v_pk_fma_f16 v65, v55, v57, v65
	v_pk_fma_f16 v63, v55, v101, v63
	v_pk_fma_f16 v61, v55, v58, v61
	v_pk_fma_f16 v105, v55, v106, v105
	v_pk_fma_f16 v103, v55, v59, v103
	v_pk_fma_f16 v104, v55, v107, v104
	v_pk_fma_f16 v108, v55, v60, v53
	v_pk_fma_f16 v99, v56, v100, v99
	v_pk_fma_f16 v62, v56, v57, v62
	v_pk_fma_f16 v98, v56, v101, v98
	v_pk_fma_f16 v64, v56, v58, v64
	v_pk_fma_f16 v96, v56, v106, v96
	v_pk_fma_f16 v97, v56, v59, v97
	v_pk_fma_f16 v95, v56, v107, v95
	v_pk_fma_f16 v100, v56, v60, v54
	ds_read2_b64 v[53:56], v50 offset0:64 offset1:96
	ds_read_b128 v[57:60], v86 offset:416
	s_waitcnt lgkmcnt(0)
	v_mul_u32_u24_sdwa v101, v57, v94 dst_sel:DWORD dst_unused:UNUSED_PAD src0_sel:WORD_0 src1_sel:DWORD
	v_mul_u32_u24_sdwa v57, v57, v94 dst_sel:DWORD dst_unused:UNUSED_PAD src0_sel:WORD_1 src1_sel:DWORD
	v_mul_u32_u24_sdwa v106, v58, v94 dst_sel:DWORD dst_unused:UNUSED_PAD src0_sel:WORD_0 src1_sel:DWORD
	v_mul_u32_u24_sdwa v58, v58, v94 dst_sel:DWORD dst_unused:UNUSED_PAD src0_sel:WORD_1 src1_sel:DWORD
	v_mul_u32_u24_sdwa v107, v59, v94 dst_sel:DWORD dst_unused:UNUSED_PAD src0_sel:WORD_0 src1_sel:DWORD
	v_mul_u32_u24_sdwa v59, v59, v94 dst_sel:DWORD dst_unused:UNUSED_PAD src0_sel:WORD_1 src1_sel:DWORD
	v_mul_u32_u24_sdwa v109, v60, v94 dst_sel:DWORD dst_unused:UNUSED_PAD src0_sel:WORD_0 src1_sel:DWORD
	v_mul_u32_u24_sdwa v60, v60, v94 dst_sel:DWORD dst_unused:UNUSED_PAD src0_sel:WORD_1 src1_sel:DWORD
	v_pk_fma_f16 v102, v53, v101, v102
	v_pk_fma_f16 v65, v53, v57, v65
	v_pk_fma_f16 v63, v53, v106, v63
	v_pk_fma_f16 v61, v53, v58, v61
	v_pk_fma_f16 v105, v53, v107, v105
	v_pk_fma_f16 v103, v53, v59, v103
	v_pk_fma_f16 v104, v53, v109, v104
	v_pk_fma_f16 v53, v53, v60, v108
	v_pk_fma_f16 v99, v54, v101, v99
	v_pk_fma_f16 v62, v54, v57, v62
	v_pk_fma_f16 v98, v54, v106, v98
	v_pk_fma_f16 v64, v54, v58, v64
	v_pk_fma_f16 v96, v54, v107, v96
	v_pk_fma_f16 v97, v54, v59, v97
	v_pk_fma_f16 v95, v54, v109, v95
	v_pk_fma_f16 v54, v54, v60, v100
	ds_read_b128 v[57:60], v86 offset:432
	s_waitcnt lgkmcnt(0)
	v_mul_u32_u24_sdwa v100, v57, v94 dst_sel:DWORD dst_unused:UNUSED_PAD src0_sel:WORD_0 src1_sel:DWORD
	v_mul_u32_u24_sdwa v57, v57, v94 dst_sel:DWORD dst_unused:UNUSED_PAD src0_sel:WORD_1 src1_sel:DWORD
	v_mul_u32_u24_sdwa v101, v58, v94 dst_sel:DWORD dst_unused:UNUSED_PAD src0_sel:WORD_0 src1_sel:DWORD
	v_mul_u32_u24_sdwa v58, v58, v94 dst_sel:DWORD dst_unused:UNUSED_PAD src0_sel:WORD_1 src1_sel:DWORD
	v_mul_u32_u24_sdwa v106, v59, v94 dst_sel:DWORD dst_unused:UNUSED_PAD src0_sel:WORD_0 src1_sel:DWORD
	v_mul_u32_u24_sdwa v59, v59, v94 dst_sel:DWORD dst_unused:UNUSED_PAD src0_sel:WORD_1 src1_sel:DWORD
	v_mul_u32_u24_sdwa v107, v60, v94 dst_sel:DWORD dst_unused:UNUSED_PAD src0_sel:WORD_0 src1_sel:DWORD
	v_mul_u32_u24_sdwa v60, v60, v94 dst_sel:DWORD dst_unused:UNUSED_PAD src0_sel:WORD_1 src1_sel:DWORD
	v_pk_fma_f16 v102, v55, v100, v102
	v_pk_fma_f16 v65, v55, v57, v65
	v_pk_fma_f16 v63, v55, v101, v63
	v_pk_fma_f16 v61, v55, v58, v61
	v_pk_fma_f16 v105, v55, v106, v105
	v_pk_fma_f16 v103, v55, v59, v103
	v_pk_fma_f16 v104, v55, v107, v104
	v_pk_fma_f16 v108, v55, v60, v53
	v_pk_fma_f16 v99, v56, v100, v99
	v_pk_fma_f16 v62, v56, v57, v62
	v_pk_fma_f16 v98, v56, v101, v98
	v_pk_fma_f16 v64, v56, v58, v64
	v_pk_fma_f16 v96, v56, v106, v96
	v_pk_fma_f16 v97, v56, v59, v97
	v_pk_fma_f16 v95, v56, v107, v95
	v_pk_fma_f16 v100, v56, v60, v54
	ds_read2_b64 v[53:56], v50 offset0:128 offset1:160
	;; [unrolled: 53-line block ×3, first 2 shown]
	ds_read_b128 v[53:56], v86 offset:480
	s_waitcnt lgkmcnt(0)
	v_mul_u32_u24_sdwa v101, v53, v94 dst_sel:DWORD dst_unused:UNUSED_PAD src0_sel:WORD_0 src1_sel:DWORD
	v_mul_u32_u24_sdwa v53, v53, v94 dst_sel:DWORD dst_unused:UNUSED_PAD src0_sel:WORD_1 src1_sel:DWORD
	v_mul_u32_u24_sdwa v106, v54, v94 dst_sel:DWORD dst_unused:UNUSED_PAD src0_sel:WORD_0 src1_sel:DWORD
	v_mul_u32_u24_sdwa v54, v54, v94 dst_sel:DWORD dst_unused:UNUSED_PAD src0_sel:WORD_1 src1_sel:DWORD
	;; [unrolled: 2-line block ×4, first 2 shown]
	v_pk_fma_f16 v102, v95, v101, v102
	v_pk_fma_f16 v65, v95, v53, v65
	;; [unrolled: 1-line block ×14, first 2 shown]
	ds_read_b128 v[53:56], v86 offset:496
	v_pk_fma_f16 v106, v96, v106, v62
	v_pk_fma_f16 v107, v96, v107, v64
	s_waitcnt lgkmcnt(0)
	s_barrier
	buffer_gl0_inv
	v_mul_u32_u24_sdwa v62, v53, v94 dst_sel:DWORD dst_unused:UNUSED_PAD src0_sel:WORD_0 src1_sel:DWORD
	v_mul_u32_u24_sdwa v64, v53, v94 dst_sel:DWORD dst_unused:UNUSED_PAD src0_sel:WORD_1 src1_sel:DWORD
	v_mul_u32_u24_sdwa v96, v54, v94 dst_sel:DWORD dst_unused:UNUSED_PAD src0_sel:WORD_0 src1_sel:DWORD
	v_mul_u32_u24_sdwa v111, v54, v94 dst_sel:DWORD dst_unused:UNUSED_PAD src0_sel:WORD_1 src1_sel:DWORD
	v_mul_u32_u24_sdwa v112, v55, v94 dst_sel:DWORD dst_unused:UNUSED_PAD src0_sel:WORD_0 src1_sel:DWORD
	v_mul_u32_u24_sdwa v113, v55, v94 dst_sel:DWORD dst_unused:UNUSED_PAD src0_sel:WORD_1 src1_sel:DWORD
	v_mul_u32_u24_sdwa v114, v56, v94 dst_sel:DWORD dst_unused:UNUSED_PAD src0_sel:WORD_0 src1_sel:DWORD
	v_mul_u32_u24_sdwa v115, v56, v94 dst_sel:DWORD dst_unused:UNUSED_PAD src0_sel:WORD_1 src1_sel:DWORD
	v_pk_fma_f16 v53, v97, v62, v102
	v_pk_fma_f16 v54, v97, v64, v65
	;; [unrolled: 1-line block ×16, first 2 shown]
	v_add_co_u32 v98, vcc_lo, s16, v14
	v_add_co_ci_u32_e64 v99, null, s17, v15, vcc_lo
	v_add_co_u32 v98, vcc_lo, v98, v92
	v_add_co_ci_u32_e64 v99, null, 0, v99, vcc_lo
	global_load_dwordx4 v[98:101], v[98:99], off
	s_waitcnt vmcnt(0)
	ds_write_b128 v87, v[98:101]
	v_add_co_u32 v98, vcc_lo, s16, v16
	v_add_co_ci_u32_e64 v99, null, s17, v17, vcc_lo
	v_add_co_u32 v98, vcc_lo, v98, v92
	v_add_co_ci_u32_e64 v99, null, 0, v99, vcc_lo
	global_load_dwordx4 v[98:101], v[98:99], off
	s_waitcnt vmcnt(0)
	ds_write_b128 v88, v[98:101]
	s_waitcnt lgkmcnt(0)
	s_barrier
	buffer_gl0_inv
	ds_read2_b64 v[98:101], v89 offset1:32
	ds_read_b128 v[102:105], v86 offset:512
	ds_read_b128 v[106:109], v86 offset:528
	;; [unrolled: 1-line block ×4, first 2 shown]
	s_waitcnt lgkmcnt(3)
	v_mul_u32_u24_sdwa v118, v102, v94 dst_sel:DWORD dst_unused:UNUSED_PAD src0_sel:WORD_0 src1_sel:DWORD
	v_mul_u32_u24_sdwa v102, v102, v94 dst_sel:DWORD dst_unused:UNUSED_PAD src0_sel:WORD_1 src1_sel:DWORD
	v_mul_u32_u24_sdwa v119, v103, v94 dst_sel:DWORD dst_unused:UNUSED_PAD src0_sel:WORD_0 src1_sel:DWORD
	v_mul_u32_u24_sdwa v103, v103, v94 dst_sel:DWORD dst_unused:UNUSED_PAD src0_sel:WORD_1 src1_sel:DWORD
	;; [unrolled: 2-line block ×4, first 2 shown]
	v_pk_fma_f16 v53, v98, v118, v53
	v_pk_fma_f16 v54, v98, v102, v54
	;; [unrolled: 1-line block ×16, first 2 shown]
	s_waitcnt lgkmcnt(2)
	v_mul_u32_u24_sdwa v98, v106, v94 dst_sel:DWORD dst_unused:UNUSED_PAD src0_sel:WORD_0 src1_sel:DWORD
	v_mul_u32_u24_sdwa v99, v106, v94 dst_sel:DWORD dst_unused:UNUSED_PAD src0_sel:WORD_1 src1_sel:DWORD
	v_mul_u32_u24_sdwa v102, v107, v94 dst_sel:DWORD dst_unused:UNUSED_PAD src0_sel:WORD_0 src1_sel:DWORD
	v_mul_u32_u24_sdwa v103, v107, v94 dst_sel:DWORD dst_unused:UNUSED_PAD src0_sel:WORD_1 src1_sel:DWORD
	;; [unrolled: 2-line block ×4, first 2 shown]
	v_pk_fma_f16 v108, v100, v98, v53
	v_pk_fma_f16 v109, v100, v99, v54
	;; [unrolled: 1-line block ×4, first 2 shown]
	ds_read2_b64 v[53:56], v89 offset0:64 offset1:96
	v_pk_fma_f16 v57, v100, v104, v57
	v_pk_fma_f16 v58, v100, v105, v58
	;; [unrolled: 1-line block ×12, first 2 shown]
	s_waitcnt lgkmcnt(2)
	v_mul_u32_u24_sdwa v98, v110, v94 dst_sel:DWORD dst_unused:UNUSED_PAD src0_sel:WORD_0 src1_sel:DWORD
	v_mul_u32_u24_sdwa v99, v110, v94 dst_sel:DWORD dst_unused:UNUSED_PAD src0_sel:WORD_1 src1_sel:DWORD
	v_mul_u32_u24_sdwa v100, v111, v94 dst_sel:DWORD dst_unused:UNUSED_PAD src0_sel:WORD_0 src1_sel:DWORD
	v_mul_u32_u24_sdwa v101, v111, v94 dst_sel:DWORD dst_unused:UNUSED_PAD src0_sel:WORD_1 src1_sel:DWORD
	;; [unrolled: 2-line block ×4, first 2 shown]
	s_waitcnt lgkmcnt(0)
	v_pk_fma_f16 v106, v53, v98, v108
	v_pk_fma_f16 v107, v53, v99, v109
	v_pk_fma_f16 v108, v53, v100, v118
	v_pk_fma_f16 v109, v53, v101, v119
	v_pk_fma_f16 v57, v53, v102, v57
	v_pk_fma_f16 v58, v53, v103, v58
	v_pk_fma_f16 v59, v53, v104, v59
	v_pk_fma_f16 v53, v53, v105, v60
	v_pk_fma_f16 v60, v54, v98, v61
	v_pk_fma_f16 v61, v54, v99, v62
	v_pk_fma_f16 v62, v54, v100, v63
	v_pk_fma_f16 v63, v54, v101, v64
	v_pk_fma_f16 v64, v54, v102, v65
	v_pk_fma_f16 v65, v54, v103, v95
	v_pk_fma_f16 v95, v54, v104, v96
	v_pk_fma_f16 v54, v54, v105, v97
	v_mul_u32_u24_sdwa v96, v114, v94 dst_sel:DWORD dst_unused:UNUSED_PAD src0_sel:WORD_0 src1_sel:DWORD
	v_mul_u32_u24_sdwa v97, v114, v94 dst_sel:DWORD dst_unused:UNUSED_PAD src0_sel:WORD_1 src1_sel:DWORD
	v_mul_u32_u24_sdwa v98, v115, v94 dst_sel:DWORD dst_unused:UNUSED_PAD src0_sel:WORD_0 src1_sel:DWORD
	v_mul_u32_u24_sdwa v99, v115, v94 dst_sel:DWORD dst_unused:UNUSED_PAD src0_sel:WORD_1 src1_sel:DWORD
	;; [unrolled: 2-line block ×4, first 2 shown]
	v_pk_fma_f16 v104, v55, v96, v106
	v_pk_fma_f16 v105, v55, v97, v107
	;; [unrolled: 1-line block ×16, first 2 shown]
	ds_read2_b64 v[53:56], v89 offset0:128 offset1:160
	ds_read_b128 v[57:60], v86 offset:576
	s_waitcnt lgkmcnt(0)
	v_mul_u32_u24_sdwa v98, v57, v94 dst_sel:DWORD dst_unused:UNUSED_PAD src0_sel:WORD_0 src1_sel:DWORD
	v_mul_u32_u24_sdwa v57, v57, v94 dst_sel:DWORD dst_unused:UNUSED_PAD src0_sel:WORD_1 src1_sel:DWORD
	v_mul_u32_u24_sdwa v99, v58, v94 dst_sel:DWORD dst_unused:UNUSED_PAD src0_sel:WORD_0 src1_sel:DWORD
	v_mul_u32_u24_sdwa v58, v58, v94 dst_sel:DWORD dst_unused:UNUSED_PAD src0_sel:WORD_1 src1_sel:DWORD
	;; [unrolled: 2-line block ×4, first 2 shown]
	v_pk_fma_f16 v102, v53, v98, v104
	v_pk_fma_f16 v103, v53, v57, v105
	;; [unrolled: 1-line block ×16, first 2 shown]
	ds_read_b128 v[57:60], v86 offset:592
	s_waitcnt lgkmcnt(0)
	v_mul_u32_u24_sdwa v97, v57, v94 dst_sel:DWORD dst_unused:UNUSED_PAD src0_sel:WORD_0 src1_sel:DWORD
	v_mul_u32_u24_sdwa v57, v57, v94 dst_sel:DWORD dst_unused:UNUSED_PAD src0_sel:WORD_1 src1_sel:DWORD
	v_mul_u32_u24_sdwa v98, v58, v94 dst_sel:DWORD dst_unused:UNUSED_PAD src0_sel:WORD_0 src1_sel:DWORD
	v_mul_u32_u24_sdwa v58, v58, v94 dst_sel:DWORD dst_unused:UNUSED_PAD src0_sel:WORD_1 src1_sel:DWORD
	;; [unrolled: 2-line block ×4, first 2 shown]
	v_pk_fma_f16 v101, v55, v97, v102
	v_pk_fma_f16 v102, v55, v57, v103
	v_pk_fma_f16 v103, v55, v98, v104
	v_pk_fma_f16 v104, v55, v58, v105
	v_pk_fma_f16 v105, v55, v99, v106
	v_pk_fma_f16 v106, v55, v59, v107
	v_pk_fma_f16 v107, v55, v100, v108
	v_pk_fma_f16 v108, v55, v60, v53
	v_pk_fma_f16 v96, v56, v97, v96
	v_pk_fma_f16 v61, v56, v57, v61
	v_pk_fma_f16 v62, v56, v98, v62
	v_pk_fma_f16 v63, v56, v58, v63
	v_pk_fma_f16 v64, v56, v99, v64
	v_pk_fma_f16 v65, v56, v59, v65
	v_pk_fma_f16 v95, v56, v100, v95
	v_pk_fma_f16 v97, v56, v60, v54
	ds_read2_b64 v[53:56], v89 offset0:192 offset1:224
	ds_read_b128 v[57:60], v86 offset:608
	s_waitcnt lgkmcnt(0)
	v_mul_u32_u24_sdwa v98, v57, v94 dst_sel:DWORD dst_unused:UNUSED_PAD src0_sel:WORD_0 src1_sel:DWORD
	v_mul_u32_u24_sdwa v57, v57, v94 dst_sel:DWORD dst_unused:UNUSED_PAD src0_sel:WORD_1 src1_sel:DWORD
	v_mul_u32_u24_sdwa v99, v58, v94 dst_sel:DWORD dst_unused:UNUSED_PAD src0_sel:WORD_0 src1_sel:DWORD
	v_mul_u32_u24_sdwa v58, v58, v94 dst_sel:DWORD dst_unused:UNUSED_PAD src0_sel:WORD_1 src1_sel:DWORD
	;; [unrolled: 2-line block ×4, first 2 shown]
	v_pk_fma_f16 v101, v53, v98, v101
	v_pk_fma_f16 v102, v53, v57, v102
	;; [unrolled: 1-line block ×16, first 2 shown]
	ds_read_b128 v[57:60], v86 offset:624
	s_waitcnt lgkmcnt(0)
	v_mul_u32_u24_sdwa v97, v57, v94 dst_sel:DWORD dst_unused:UNUSED_PAD src0_sel:WORD_0 src1_sel:DWORD
	v_mul_u32_u24_sdwa v57, v57, v94 dst_sel:DWORD dst_unused:UNUSED_PAD src0_sel:WORD_1 src1_sel:DWORD
	v_mul_u32_u24_sdwa v98, v58, v94 dst_sel:DWORD dst_unused:UNUSED_PAD src0_sel:WORD_0 src1_sel:DWORD
	v_mul_u32_u24_sdwa v58, v58, v94 dst_sel:DWORD dst_unused:UNUSED_PAD src0_sel:WORD_1 src1_sel:DWORD
	;; [unrolled: 2-line block ×4, first 2 shown]
	v_pk_fma_f16 v101, v55, v97, v101
	v_pk_fma_f16 v102, v55, v57, v102
	;; [unrolled: 1-line block ×16, first 2 shown]
	ds_read2_b64 v[53:56], v51 offset1:32
	ds_read_b128 v[57:60], v86 offset:640
	s_waitcnt lgkmcnt(0)
	v_mul_u32_u24_sdwa v98, v57, v94 dst_sel:DWORD dst_unused:UNUSED_PAD src0_sel:WORD_0 src1_sel:DWORD
	v_mul_u32_u24_sdwa v57, v57, v94 dst_sel:DWORD dst_unused:UNUSED_PAD src0_sel:WORD_1 src1_sel:DWORD
	v_mul_u32_u24_sdwa v99, v58, v94 dst_sel:DWORD dst_unused:UNUSED_PAD src0_sel:WORD_0 src1_sel:DWORD
	v_mul_u32_u24_sdwa v58, v58, v94 dst_sel:DWORD dst_unused:UNUSED_PAD src0_sel:WORD_1 src1_sel:DWORD
	v_mul_u32_u24_sdwa v100, v59, v94 dst_sel:DWORD dst_unused:UNUSED_PAD src0_sel:WORD_0 src1_sel:DWORD
	v_mul_u32_u24_sdwa v59, v59, v94 dst_sel:DWORD dst_unused:UNUSED_PAD src0_sel:WORD_1 src1_sel:DWORD
	v_mul_u32_u24_sdwa v109, v60, v94 dst_sel:DWORD dst_unused:UNUSED_PAD src0_sel:WORD_0 src1_sel:DWORD
	v_mul_u32_u24_sdwa v60, v60, v94 dst_sel:DWORD dst_unused:UNUSED_PAD src0_sel:WORD_1 src1_sel:DWORD
	v_pk_fma_f16 v101, v53, v98, v101
	v_pk_fma_f16 v102, v53, v57, v102
	v_pk_fma_f16 v103, v53, v99, v103
	v_pk_fma_f16 v104, v53, v58, v104
	v_pk_fma_f16 v105, v53, v100, v105
	v_pk_fma_f16 v106, v53, v59, v106
	v_pk_fma_f16 v107, v53, v109, v107
	v_pk_fma_f16 v53, v53, v60, v108
	v_pk_fma_f16 v96, v54, v98, v96
	v_pk_fma_f16 v61, v54, v57, v61
	v_pk_fma_f16 v62, v54, v99, v62
	v_pk_fma_f16 v63, v54, v58, v63
	v_pk_fma_f16 v64, v54, v100, v64
	v_pk_fma_f16 v65, v54, v59, v65
	v_pk_fma_f16 v95, v54, v109, v95
	v_pk_fma_f16 v54, v54, v60, v97
	ds_read_b128 v[57:60], v86 offset:656
	s_waitcnt lgkmcnt(0)
	v_mul_u32_u24_sdwa v97, v57, v94 dst_sel:DWORD dst_unused:UNUSED_PAD src0_sel:WORD_0 src1_sel:DWORD
	v_mul_u32_u24_sdwa v57, v57, v94 dst_sel:DWORD dst_unused:UNUSED_PAD src0_sel:WORD_1 src1_sel:DWORD
	v_mul_u32_u24_sdwa v98, v58, v94 dst_sel:DWORD dst_unused:UNUSED_PAD src0_sel:WORD_0 src1_sel:DWORD
	v_mul_u32_u24_sdwa v58, v58, v94 dst_sel:DWORD dst_unused:UNUSED_PAD src0_sel:WORD_1 src1_sel:DWORD
	v_mul_u32_u24_sdwa v99, v59, v94 dst_sel:DWORD dst_unused:UNUSED_PAD src0_sel:WORD_0 src1_sel:DWORD
	v_mul_u32_u24_sdwa v59, v59, v94 dst_sel:DWORD dst_unused:UNUSED_PAD src0_sel:WORD_1 src1_sel:DWORD
	v_mul_u32_u24_sdwa v100, v60, v94 dst_sel:DWORD dst_unused:UNUSED_PAD src0_sel:WORD_0 src1_sel:DWORD
	v_mul_u32_u24_sdwa v60, v60, v94 dst_sel:DWORD dst_unused:UNUSED_PAD src0_sel:WORD_1 src1_sel:DWORD
	v_pk_fma_f16 v101, v55, v97, v101
	v_pk_fma_f16 v102, v55, v57, v102
	v_pk_fma_f16 v103, v55, v98, v103
	v_pk_fma_f16 v104, v55, v58, v104
	v_pk_fma_f16 v105, v55, v99, v105
	v_pk_fma_f16 v106, v55, v59, v106
	v_pk_fma_f16 v107, v55, v100, v107
	v_pk_fma_f16 v108, v55, v60, v53
	v_pk_fma_f16 v96, v56, v97, v96
	v_pk_fma_f16 v61, v56, v57, v61
	v_pk_fma_f16 v62, v56, v98, v62
	v_pk_fma_f16 v63, v56, v58, v63
	v_pk_fma_f16 v64, v56, v99, v64
	v_pk_fma_f16 v65, v56, v59, v65
	v_pk_fma_f16 v95, v56, v100, v95
	v_pk_fma_f16 v97, v56, v60, v54
	ds_read2_b64 v[53:56], v51 offset0:64 offset1:96
	ds_read_b128 v[57:60], v86 offset:672
	s_waitcnt lgkmcnt(0)
	v_mul_u32_u24_sdwa v98, v57, v94 dst_sel:DWORD dst_unused:UNUSED_PAD src0_sel:WORD_0 src1_sel:DWORD
	v_mul_u32_u24_sdwa v57, v57, v94 dst_sel:DWORD dst_unused:UNUSED_PAD src0_sel:WORD_1 src1_sel:DWORD
	v_mul_u32_u24_sdwa v99, v58, v94 dst_sel:DWORD dst_unused:UNUSED_PAD src0_sel:WORD_0 src1_sel:DWORD
	v_mul_u32_u24_sdwa v58, v58, v94 dst_sel:DWORD dst_unused:UNUSED_PAD src0_sel:WORD_1 src1_sel:DWORD
	v_mul_u32_u24_sdwa v100, v59, v94 dst_sel:DWORD dst_unused:UNUSED_PAD src0_sel:WORD_0 src1_sel:DWORD
	v_mul_u32_u24_sdwa v59, v59, v94 dst_sel:DWORD dst_unused:UNUSED_PAD src0_sel:WORD_1 src1_sel:DWORD
	v_mul_u32_u24_sdwa v109, v60, v94 dst_sel:DWORD dst_unused:UNUSED_PAD src0_sel:WORD_0 src1_sel:DWORD
	v_mul_u32_u24_sdwa v60, v60, v94 dst_sel:DWORD dst_unused:UNUSED_PAD src0_sel:WORD_1 src1_sel:DWORD
	v_pk_fma_f16 v101, v53, v98, v101
	v_pk_fma_f16 v102, v53, v57, v102
	v_pk_fma_f16 v103, v53, v99, v103
	v_pk_fma_f16 v104, v53, v58, v104
	v_pk_fma_f16 v105, v53, v100, v105
	v_pk_fma_f16 v106, v53, v59, v106
	v_pk_fma_f16 v107, v53, v109, v107
	v_pk_fma_f16 v53, v53, v60, v108
	v_pk_fma_f16 v96, v54, v98, v96
	v_pk_fma_f16 v61, v54, v57, v61
	v_pk_fma_f16 v62, v54, v99, v62
	v_pk_fma_f16 v63, v54, v58, v63
	v_pk_fma_f16 v64, v54, v100, v64
	v_pk_fma_f16 v65, v54, v59, v65
	v_pk_fma_f16 v95, v54, v109, v95
	v_pk_fma_f16 v54, v54, v60, v97
	ds_read_b128 v[57:60], v86 offset:688
	s_waitcnt lgkmcnt(0)
	v_mul_u32_u24_sdwa v97, v57, v94 dst_sel:DWORD dst_unused:UNUSED_PAD src0_sel:WORD_0 src1_sel:DWORD
	v_mul_u32_u24_sdwa v57, v57, v94 dst_sel:DWORD dst_unused:UNUSED_PAD src0_sel:WORD_1 src1_sel:DWORD
	v_mul_u32_u24_sdwa v98, v58, v94 dst_sel:DWORD dst_unused:UNUSED_PAD src0_sel:WORD_0 src1_sel:DWORD
	v_mul_u32_u24_sdwa v58, v58, v94 dst_sel:DWORD dst_unused:UNUSED_PAD src0_sel:WORD_1 src1_sel:DWORD
	v_mul_u32_u24_sdwa v99, v59, v94 dst_sel:DWORD dst_unused:UNUSED_PAD src0_sel:WORD_0 src1_sel:DWORD
	v_mul_u32_u24_sdwa v59, v59, v94 dst_sel:DWORD dst_unused:UNUSED_PAD src0_sel:WORD_1 src1_sel:DWORD
	v_mul_u32_u24_sdwa v100, v60, v94 dst_sel:DWORD dst_unused:UNUSED_PAD src0_sel:WORD_0 src1_sel:DWORD
	v_mul_u32_u24_sdwa v60, v60, v94 dst_sel:DWORD dst_unused:UNUSED_PAD src0_sel:WORD_1 src1_sel:DWORD
	v_pk_fma_f16 v101, v55, v97, v101
	v_pk_fma_f16 v102, v55, v57, v102
	v_pk_fma_f16 v103, v55, v98, v103
	v_pk_fma_f16 v104, v55, v58, v104
	v_pk_fma_f16 v105, v55, v99, v105
	v_pk_fma_f16 v106, v55, v59, v106
	v_pk_fma_f16 v107, v55, v100, v107
	v_pk_fma_f16 v108, v55, v60, v53
	v_pk_fma_f16 v96, v56, v97, v96
	v_pk_fma_f16 v61, v56, v57, v61
	v_pk_fma_f16 v62, v56, v98, v62
	v_pk_fma_f16 v63, v56, v58, v63
	v_pk_fma_f16 v64, v56, v99, v64
	v_pk_fma_f16 v65, v56, v59, v65
	v_pk_fma_f16 v95, v56, v100, v95
	v_pk_fma_f16 v97, v56, v60, v54
	ds_read2_b64 v[53:56], v51 offset0:128 offset1:160
	;; [unrolled: 53-line block ×3, first 2 shown]
	ds_read_b128 v[57:60], v86 offset:736
	s_waitcnt lgkmcnt(0)
	v_mul_u32_u24_sdwa v51, v57, v94 dst_sel:DWORD dst_unused:UNUSED_PAD src0_sel:WORD_0 src1_sel:DWORD
	v_mul_u32_u24_sdwa v57, v57, v94 dst_sel:DWORD dst_unused:UNUSED_PAD src0_sel:WORD_1 src1_sel:DWORD
	v_mul_u32_u24_sdwa v98, v58, v94 dst_sel:DWORD dst_unused:UNUSED_PAD src0_sel:WORD_0 src1_sel:DWORD
	v_mul_u32_u24_sdwa v58, v58, v94 dst_sel:DWORD dst_unused:UNUSED_PAD src0_sel:WORD_1 src1_sel:DWORD
	;; [unrolled: 2-line block ×4, first 2 shown]
	v_pk_fma_f16 v101, v53, v51, v101
	v_pk_fma_f16 v102, v53, v57, v102
	;; [unrolled: 1-line block ×16, first 2 shown]
	ds_read_b128 v[57:60], v86 offset:752
	s_waitcnt lgkmcnt(0)
	v_mul_u32_u24_sdwa v96, v57, v94 dst_sel:DWORD dst_unused:UNUSED_PAD src0_sel:WORD_0 src1_sel:DWORD
	v_mul_u32_u24_sdwa v57, v57, v94 dst_sel:DWORD dst_unused:UNUSED_PAD src0_sel:WORD_1 src1_sel:DWORD
	v_mul_u32_u24_sdwa v97, v58, v94 dst_sel:DWORD dst_unused:UNUSED_PAD src0_sel:WORD_0 src1_sel:DWORD
	v_mul_u32_u24_sdwa v58, v58, v94 dst_sel:DWORD dst_unused:UNUSED_PAD src0_sel:WORD_1 src1_sel:DWORD
	;; [unrolled: 2-line block ×4, first 2 shown]
	v_pk_fma_f16 v100, v55, v96, v101
	v_pk_fma_f16 v101, v55, v57, v102
	;; [unrolled: 1-line block ×16, first 2 shown]
	ds_read2_b64 v[53:56], v52 offset1:32
	ds_read_b128 v[57:60], v86 offset:768
	s_waitcnt lgkmcnt(0)
	v_mul_u32_u24_sdwa v97, v57, v94 dst_sel:DWORD dst_unused:UNUSED_PAD src0_sel:WORD_0 src1_sel:DWORD
	v_mul_u32_u24_sdwa v57, v57, v94 dst_sel:DWORD dst_unused:UNUSED_PAD src0_sel:WORD_1 src1_sel:DWORD
	v_mul_u32_u24_sdwa v98, v58, v94 dst_sel:DWORD dst_unused:UNUSED_PAD src0_sel:WORD_0 src1_sel:DWORD
	v_mul_u32_u24_sdwa v58, v58, v94 dst_sel:DWORD dst_unused:UNUSED_PAD src0_sel:WORD_1 src1_sel:DWORD
	v_mul_u32_u24_sdwa v99, v59, v94 dst_sel:DWORD dst_unused:UNUSED_PAD src0_sel:WORD_0 src1_sel:DWORD
	v_mul_u32_u24_sdwa v59, v59, v94 dst_sel:DWORD dst_unused:UNUSED_PAD src0_sel:WORD_1 src1_sel:DWORD
	v_mul_u32_u24_sdwa v108, v60, v94 dst_sel:DWORD dst_unused:UNUSED_PAD src0_sel:WORD_0 src1_sel:DWORD
	v_mul_u32_u24_sdwa v60, v60, v94 dst_sel:DWORD dst_unused:UNUSED_PAD src0_sel:WORD_1 src1_sel:DWORD
	v_pk_fma_f16 v100, v53, v97, v100
	v_pk_fma_f16 v101, v53, v57, v101
	v_pk_fma_f16 v102, v53, v98, v102
	v_pk_fma_f16 v103, v53, v58, v103
	v_pk_fma_f16 v104, v53, v99, v104
	v_pk_fma_f16 v105, v53, v59, v105
	v_pk_fma_f16 v106, v53, v108, v106
	v_pk_fma_f16 v53, v53, v60, v107
	v_pk_fma_f16 v51, v54, v97, v51
	v_pk_fma_f16 v61, v54, v57, v61
	v_pk_fma_f16 v62, v54, v98, v62
	v_pk_fma_f16 v63, v54, v58, v63
	v_pk_fma_f16 v64, v54, v99, v64
	v_pk_fma_f16 v65, v54, v59, v65
	v_pk_fma_f16 v95, v54, v108, v95
	v_pk_fma_f16 v54, v54, v60, v96
	ds_read_b128 v[57:60], v86 offset:784
	s_waitcnt lgkmcnt(0)
	v_mul_u32_u24_sdwa v96, v57, v94 dst_sel:DWORD dst_unused:UNUSED_PAD src0_sel:WORD_0 src1_sel:DWORD
	v_mul_u32_u24_sdwa v57, v57, v94 dst_sel:DWORD dst_unused:UNUSED_PAD src0_sel:WORD_1 src1_sel:DWORD
	v_mul_u32_u24_sdwa v97, v58, v94 dst_sel:DWORD dst_unused:UNUSED_PAD src0_sel:WORD_0 src1_sel:DWORD
	v_mul_u32_u24_sdwa v58, v58, v94 dst_sel:DWORD dst_unused:UNUSED_PAD src0_sel:WORD_1 src1_sel:DWORD
	v_mul_u32_u24_sdwa v98, v59, v94 dst_sel:DWORD dst_unused:UNUSED_PAD src0_sel:WORD_0 src1_sel:DWORD
	v_mul_u32_u24_sdwa v59, v59, v94 dst_sel:DWORD dst_unused:UNUSED_PAD src0_sel:WORD_1 src1_sel:DWORD
	v_mul_u32_u24_sdwa v99, v60, v94 dst_sel:DWORD dst_unused:UNUSED_PAD src0_sel:WORD_0 src1_sel:DWORD
	v_mul_u32_u24_sdwa v60, v60, v94 dst_sel:DWORD dst_unused:UNUSED_PAD src0_sel:WORD_1 src1_sel:DWORD
	v_pk_fma_f16 v100, v55, v96, v100
	v_pk_fma_f16 v101, v55, v57, v101
	v_pk_fma_f16 v102, v55, v97, v102
	v_pk_fma_f16 v103, v55, v58, v103
	v_pk_fma_f16 v104, v55, v98, v104
	v_pk_fma_f16 v105, v55, v59, v105
	v_pk_fma_f16 v106, v55, v99, v106
	v_pk_fma_f16 v107, v55, v60, v53
	v_pk_fma_f16 v51, v56, v96, v51
	v_pk_fma_f16 v61, v56, v57, v61
	v_pk_fma_f16 v62, v56, v97, v62
	v_pk_fma_f16 v63, v56, v58, v63
	v_pk_fma_f16 v64, v56, v98, v64
	v_pk_fma_f16 v65, v56, v59, v65
	v_pk_fma_f16 v95, v56, v99, v95
	v_pk_fma_f16 v96, v56, v60, v54
	ds_read2_b64 v[53:56], v52 offset0:64 offset1:96
	ds_read_b128 v[57:60], v86 offset:800
	s_waitcnt lgkmcnt(0)
	v_mul_u32_u24_sdwa v97, v57, v94 dst_sel:DWORD dst_unused:UNUSED_PAD src0_sel:WORD_0 src1_sel:DWORD
	v_mul_u32_u24_sdwa v57, v57, v94 dst_sel:DWORD dst_unused:UNUSED_PAD src0_sel:WORD_1 src1_sel:DWORD
	v_mul_u32_u24_sdwa v98, v58, v94 dst_sel:DWORD dst_unused:UNUSED_PAD src0_sel:WORD_0 src1_sel:DWORD
	v_mul_u32_u24_sdwa v58, v58, v94 dst_sel:DWORD dst_unused:UNUSED_PAD src0_sel:WORD_1 src1_sel:DWORD
	v_mul_u32_u24_sdwa v99, v59, v94 dst_sel:DWORD dst_unused:UNUSED_PAD src0_sel:WORD_0 src1_sel:DWORD
	v_mul_u32_u24_sdwa v59, v59, v94 dst_sel:DWORD dst_unused:UNUSED_PAD src0_sel:WORD_1 src1_sel:DWORD
	v_mul_u32_u24_sdwa v108, v60, v94 dst_sel:DWORD dst_unused:UNUSED_PAD src0_sel:WORD_0 src1_sel:DWORD
	v_mul_u32_u24_sdwa v60, v60, v94 dst_sel:DWORD dst_unused:UNUSED_PAD src0_sel:WORD_1 src1_sel:DWORD
	v_pk_fma_f16 v100, v53, v97, v100
	v_pk_fma_f16 v101, v53, v57, v101
	v_pk_fma_f16 v102, v53, v98, v102
	v_pk_fma_f16 v103, v53, v58, v103
	v_pk_fma_f16 v104, v53, v99, v104
	v_pk_fma_f16 v105, v53, v59, v105
	v_pk_fma_f16 v106, v53, v108, v106
	v_pk_fma_f16 v53, v53, v60, v107
	v_pk_fma_f16 v51, v54, v97, v51
	v_pk_fma_f16 v61, v54, v57, v61
	v_pk_fma_f16 v62, v54, v98, v62
	v_pk_fma_f16 v63, v54, v58, v63
	v_pk_fma_f16 v64, v54, v99, v64
	v_pk_fma_f16 v65, v54, v59, v65
	v_pk_fma_f16 v95, v54, v108, v95
	v_pk_fma_f16 v54, v54, v60, v96
	ds_read_b128 v[57:60], v86 offset:816
	s_waitcnt lgkmcnt(0)
	v_mul_u32_u24_sdwa v96, v57, v94 dst_sel:DWORD dst_unused:UNUSED_PAD src0_sel:WORD_0 src1_sel:DWORD
	v_mul_u32_u24_sdwa v57, v57, v94 dst_sel:DWORD dst_unused:UNUSED_PAD src0_sel:WORD_1 src1_sel:DWORD
	v_mul_u32_u24_sdwa v97, v58, v94 dst_sel:DWORD dst_unused:UNUSED_PAD src0_sel:WORD_0 src1_sel:DWORD
	v_mul_u32_u24_sdwa v58, v58, v94 dst_sel:DWORD dst_unused:UNUSED_PAD src0_sel:WORD_1 src1_sel:DWORD
	v_mul_u32_u24_sdwa v98, v59, v94 dst_sel:DWORD dst_unused:UNUSED_PAD src0_sel:WORD_0 src1_sel:DWORD
	v_mul_u32_u24_sdwa v59, v59, v94 dst_sel:DWORD dst_unused:UNUSED_PAD src0_sel:WORD_1 src1_sel:DWORD
	v_mul_u32_u24_sdwa v99, v60, v94 dst_sel:DWORD dst_unused:UNUSED_PAD src0_sel:WORD_0 src1_sel:DWORD
	v_mul_u32_u24_sdwa v60, v60, v94 dst_sel:DWORD dst_unused:UNUSED_PAD src0_sel:WORD_1 src1_sel:DWORD
	v_pk_fma_f16 v100, v55, v96, v100
	v_pk_fma_f16 v101, v55, v57, v101
	v_pk_fma_f16 v102, v55, v97, v102
	v_pk_fma_f16 v103, v55, v58, v103
	v_pk_fma_f16 v104, v55, v98, v104
	v_pk_fma_f16 v105, v55, v59, v105
	v_pk_fma_f16 v106, v55, v99, v106
	v_pk_fma_f16 v107, v55, v60, v53
	v_pk_fma_f16 v51, v56, v96, v51
	v_pk_fma_f16 v61, v56, v57, v61
	v_pk_fma_f16 v62, v56, v97, v62
	v_pk_fma_f16 v63, v56, v58, v63
	v_pk_fma_f16 v64, v56, v98, v64
	v_pk_fma_f16 v65, v56, v59, v65
	v_pk_fma_f16 v95, v56, v99, v95
	v_pk_fma_f16 v96, v56, v60, v54
	ds_read2_b64 v[53:56], v52 offset0:128 offset1:160
	;; [unrolled: 53-line block ×3, first 2 shown]
	ds_read_b128 v[55:58], v86 offset:864
	s_waitcnt lgkmcnt(0)
	v_mul_u32_u24_sdwa v95, v55, v94 dst_sel:DWORD dst_unused:UNUSED_PAD src0_sel:WORD_0 src1_sel:DWORD
	v_mul_u32_u24_sdwa v55, v55, v94 dst_sel:DWORD dst_unused:UNUSED_PAD src0_sel:WORD_1 src1_sel:DWORD
	v_mul_u32_u24_sdwa v97, v56, v94 dst_sel:DWORD dst_unused:UNUSED_PAD src0_sel:WORD_0 src1_sel:DWORD
	v_mul_u32_u24_sdwa v56, v56, v94 dst_sel:DWORD dst_unused:UNUSED_PAD src0_sel:WORD_1 src1_sel:DWORD
	;; [unrolled: 2-line block ×4, first 2 shown]
	v_pk_fma_f16 v100, v51, v95, v100
	v_pk_fma_f16 v101, v51, v55, v101
	;; [unrolled: 1-line block ×16, first 2 shown]
	ds_read_b128 v[55:58], v86 offset:880
	s_waitcnt lgkmcnt(0)
	v_mul_u32_u24_sdwa v60, v55, v94 dst_sel:DWORD dst_unused:UNUSED_PAD src0_sel:WORD_0 src1_sel:DWORD
	v_mul_u32_u24_sdwa v55, v55, v94 dst_sel:DWORD dst_unused:UNUSED_PAD src0_sel:WORD_1 src1_sel:DWORD
	v_mul_u32_u24_sdwa v96, v56, v94 dst_sel:DWORD dst_unused:UNUSED_PAD src0_sel:WORD_0 src1_sel:DWORD
	v_mul_u32_u24_sdwa v56, v56, v94 dst_sel:DWORD dst_unused:UNUSED_PAD src0_sel:WORD_1 src1_sel:DWORD
	;; [unrolled: 2-line block ×4, first 2 shown]
	v_pk_fma_f16 v99, v53, v60, v100
	v_pk_fma_f16 v100, v53, v55, v101
	;; [unrolled: 1-line block ×16, first 2 shown]
	ds_read2_b64 v[51:54], v50 offset1:32
	ds_read_b128 v[55:58], v86 offset:896
	s_waitcnt lgkmcnt(0)
	v_mul_u32_u24_sdwa v96, v55, v94 dst_sel:DWORD dst_unused:UNUSED_PAD src0_sel:WORD_0 src1_sel:DWORD
	v_mul_u32_u24_sdwa v55, v55, v94 dst_sel:DWORD dst_unused:UNUSED_PAD src0_sel:WORD_1 src1_sel:DWORD
	v_mul_u32_u24_sdwa v97, v56, v94 dst_sel:DWORD dst_unused:UNUSED_PAD src0_sel:WORD_0 src1_sel:DWORD
	v_mul_u32_u24_sdwa v56, v56, v94 dst_sel:DWORD dst_unused:UNUSED_PAD src0_sel:WORD_1 src1_sel:DWORD
	v_mul_u32_u24_sdwa v98, v57, v94 dst_sel:DWORD dst_unused:UNUSED_PAD src0_sel:WORD_0 src1_sel:DWORD
	v_mul_u32_u24_sdwa v57, v57, v94 dst_sel:DWORD dst_unused:UNUSED_PAD src0_sel:WORD_1 src1_sel:DWORD
	v_mul_u32_u24_sdwa v107, v58, v94 dst_sel:DWORD dst_unused:UNUSED_PAD src0_sel:WORD_0 src1_sel:DWORD
	v_mul_u32_u24_sdwa v58, v58, v94 dst_sel:DWORD dst_unused:UNUSED_PAD src0_sel:WORD_1 src1_sel:DWORD
	v_pk_fma_f16 v99, v51, v96, v99
	v_pk_fma_f16 v100, v51, v55, v100
	v_pk_fma_f16 v101, v51, v97, v101
	v_pk_fma_f16 v102, v51, v56, v102
	v_pk_fma_f16 v103, v51, v98, v103
	v_pk_fma_f16 v104, v51, v57, v104
	v_pk_fma_f16 v105, v51, v107, v105
	v_pk_fma_f16 v51, v51, v58, v106
	v_pk_fma_f16 v60, v52, v96, v60
	v_pk_fma_f16 v61, v52, v55, v61
	v_pk_fma_f16 v62, v52, v97, v62
	v_pk_fma_f16 v63, v52, v56, v63
	v_pk_fma_f16 v64, v52, v98, v64
	v_pk_fma_f16 v59, v52, v57, v59
	v_pk_fma_f16 v65, v52, v107, v65
	v_pk_fma_f16 v52, v52, v58, v95
	ds_read_b128 v[55:58], v86 offset:912
	s_waitcnt lgkmcnt(0)
	v_mul_u32_u24_sdwa v95, v55, v94 dst_sel:DWORD dst_unused:UNUSED_PAD src0_sel:WORD_0 src1_sel:DWORD
	v_mul_u32_u24_sdwa v55, v55, v94 dst_sel:DWORD dst_unused:UNUSED_PAD src0_sel:WORD_1 src1_sel:DWORD
	v_mul_u32_u24_sdwa v96, v56, v94 dst_sel:DWORD dst_unused:UNUSED_PAD src0_sel:WORD_0 src1_sel:DWORD
	v_mul_u32_u24_sdwa v56, v56, v94 dst_sel:DWORD dst_unused:UNUSED_PAD src0_sel:WORD_1 src1_sel:DWORD
	v_mul_u32_u24_sdwa v97, v57, v94 dst_sel:DWORD dst_unused:UNUSED_PAD src0_sel:WORD_0 src1_sel:DWORD
	v_mul_u32_u24_sdwa v57, v57, v94 dst_sel:DWORD dst_unused:UNUSED_PAD src0_sel:WORD_1 src1_sel:DWORD
	v_mul_u32_u24_sdwa v98, v58, v94 dst_sel:DWORD dst_unused:UNUSED_PAD src0_sel:WORD_0 src1_sel:DWORD
	v_mul_u32_u24_sdwa v58, v58, v94 dst_sel:DWORD dst_unused:UNUSED_PAD src0_sel:WORD_1 src1_sel:DWORD
	v_pk_fma_f16 v99, v53, v95, v99
	v_pk_fma_f16 v100, v53, v55, v100
	v_pk_fma_f16 v101, v53, v96, v101
	v_pk_fma_f16 v102, v53, v56, v102
	v_pk_fma_f16 v103, v53, v97, v103
	v_pk_fma_f16 v104, v53, v57, v104
	v_pk_fma_f16 v105, v53, v98, v105
	v_pk_fma_f16 v106, v53, v58, v51
	v_pk_fma_f16 v60, v54, v95, v60
	v_pk_fma_f16 v61, v54, v55, v61
	v_pk_fma_f16 v62, v54, v96, v62
	v_pk_fma_f16 v63, v54, v56, v63
	v_pk_fma_f16 v64, v54, v97, v64
	v_pk_fma_f16 v59, v54, v57, v59
	v_pk_fma_f16 v65, v54, v98, v65
	v_pk_fma_f16 v95, v54, v58, v52
	ds_read2_b64 v[51:54], v50 offset0:64 offset1:96
	ds_read_b128 v[55:58], v86 offset:928
	s_waitcnt lgkmcnt(0)
	v_mul_u32_u24_sdwa v96, v55, v94 dst_sel:DWORD dst_unused:UNUSED_PAD src0_sel:WORD_0 src1_sel:DWORD
	v_mul_u32_u24_sdwa v55, v55, v94 dst_sel:DWORD dst_unused:UNUSED_PAD src0_sel:WORD_1 src1_sel:DWORD
	v_mul_u32_u24_sdwa v97, v56, v94 dst_sel:DWORD dst_unused:UNUSED_PAD src0_sel:WORD_0 src1_sel:DWORD
	v_mul_u32_u24_sdwa v56, v56, v94 dst_sel:DWORD dst_unused:UNUSED_PAD src0_sel:WORD_1 src1_sel:DWORD
	v_mul_u32_u24_sdwa v98, v57, v94 dst_sel:DWORD dst_unused:UNUSED_PAD src0_sel:WORD_0 src1_sel:DWORD
	v_mul_u32_u24_sdwa v57, v57, v94 dst_sel:DWORD dst_unused:UNUSED_PAD src0_sel:WORD_1 src1_sel:DWORD
	v_mul_u32_u24_sdwa v107, v58, v94 dst_sel:DWORD dst_unused:UNUSED_PAD src0_sel:WORD_0 src1_sel:DWORD
	v_mul_u32_u24_sdwa v58, v58, v94 dst_sel:DWORD dst_unused:UNUSED_PAD src0_sel:WORD_1 src1_sel:DWORD
	v_pk_fma_f16 v99, v51, v96, v99
	v_pk_fma_f16 v100, v51, v55, v100
	v_pk_fma_f16 v101, v51, v97, v101
	v_pk_fma_f16 v102, v51, v56, v102
	v_pk_fma_f16 v103, v51, v98, v103
	v_pk_fma_f16 v104, v51, v57, v104
	v_pk_fma_f16 v105, v51, v107, v105
	v_pk_fma_f16 v51, v51, v58, v106
	v_pk_fma_f16 v60, v52, v96, v60
	v_pk_fma_f16 v61, v52, v55, v61
	v_pk_fma_f16 v62, v52, v97, v62
	v_pk_fma_f16 v63, v52, v56, v63
	v_pk_fma_f16 v64, v52, v98, v64
	v_pk_fma_f16 v59, v52, v57, v59
	v_pk_fma_f16 v65, v52, v107, v65
	v_pk_fma_f16 v52, v52, v58, v95
	ds_read_b128 v[55:58], v86 offset:944
	s_waitcnt lgkmcnt(0)
	v_mul_u32_u24_sdwa v95, v55, v94 dst_sel:DWORD dst_unused:UNUSED_PAD src0_sel:WORD_0 src1_sel:DWORD
	v_mul_u32_u24_sdwa v55, v55, v94 dst_sel:DWORD dst_unused:UNUSED_PAD src0_sel:WORD_1 src1_sel:DWORD
	v_mul_u32_u24_sdwa v96, v56, v94 dst_sel:DWORD dst_unused:UNUSED_PAD src0_sel:WORD_0 src1_sel:DWORD
	v_mul_u32_u24_sdwa v56, v56, v94 dst_sel:DWORD dst_unused:UNUSED_PAD src0_sel:WORD_1 src1_sel:DWORD
	v_mul_u32_u24_sdwa v97, v57, v94 dst_sel:DWORD dst_unused:UNUSED_PAD src0_sel:WORD_0 src1_sel:DWORD
	v_mul_u32_u24_sdwa v57, v57, v94 dst_sel:DWORD dst_unused:UNUSED_PAD src0_sel:WORD_1 src1_sel:DWORD
	v_mul_u32_u24_sdwa v98, v58, v94 dst_sel:DWORD dst_unused:UNUSED_PAD src0_sel:WORD_0 src1_sel:DWORD
	v_mul_u32_u24_sdwa v58, v58, v94 dst_sel:DWORD dst_unused:UNUSED_PAD src0_sel:WORD_1 src1_sel:DWORD
	v_pk_fma_f16 v99, v53, v95, v99
	v_pk_fma_f16 v100, v53, v55, v100
	v_pk_fma_f16 v101, v53, v96, v101
	v_pk_fma_f16 v102, v53, v56, v102
	v_pk_fma_f16 v103, v53, v97, v103
	v_pk_fma_f16 v104, v53, v57, v104
	v_pk_fma_f16 v105, v53, v98, v105
	v_pk_fma_f16 v106, v53, v58, v51
	v_pk_fma_f16 v60, v54, v95, v60
	v_pk_fma_f16 v61, v54, v55, v61
	v_pk_fma_f16 v62, v54, v96, v62
	v_pk_fma_f16 v63, v54, v56, v63
	v_pk_fma_f16 v64, v54, v97, v64
	v_pk_fma_f16 v59, v54, v57, v59
	v_pk_fma_f16 v65, v54, v98, v65
	v_pk_fma_f16 v95, v54, v58, v52
	ds_read2_b64 v[51:54], v50 offset0:128 offset1:160
	ds_read_b128 v[55:58], v86 offset:960
	s_waitcnt lgkmcnt(0)
	v_mul_u32_u24_sdwa v96, v55, v94 dst_sel:DWORD dst_unused:UNUSED_PAD src0_sel:WORD_0 src1_sel:DWORD
	v_mul_u32_u24_sdwa v55, v55, v94 dst_sel:DWORD dst_unused:UNUSED_PAD src0_sel:WORD_1 src1_sel:DWORD
	v_mul_u32_u24_sdwa v97, v56, v94 dst_sel:DWORD dst_unused:UNUSED_PAD src0_sel:WORD_0 src1_sel:DWORD
	v_mul_u32_u24_sdwa v56, v56, v94 dst_sel:DWORD dst_unused:UNUSED_PAD src0_sel:WORD_1 src1_sel:DWORD
	v_mul_u32_u24_sdwa v98, v57, v94 dst_sel:DWORD dst_unused:UNUSED_PAD src0_sel:WORD_0 src1_sel:DWORD
	v_mul_u32_u24_sdwa v57, v57, v94 dst_sel:DWORD dst_unused:UNUSED_PAD src0_sel:WORD_1 src1_sel:DWORD
	v_mul_u32_u24_sdwa v107, v58, v94 dst_sel:DWORD dst_unused:UNUSED_PAD src0_sel:WORD_0 src1_sel:DWORD
	v_mul_u32_u24_sdwa v58, v58, v94 dst_sel:DWORD dst_unused:UNUSED_PAD src0_sel:WORD_1 src1_sel:DWORD
	v_pk_fma_f16 v99, v51, v96, v99
	v_pk_fma_f16 v100, v51, v55, v100
	v_pk_fma_f16 v101, v51, v97, v101
	v_pk_fma_f16 v102, v51, v56, v102
	v_pk_fma_f16 v103, v51, v98, v103
	v_pk_fma_f16 v104, v51, v57, v104
	v_pk_fma_f16 v105, v51, v107, v105
	v_pk_fma_f16 v51, v51, v58, v106
	v_pk_fma_f16 v60, v52, v96, v60
	v_pk_fma_f16 v61, v52, v55, v61
	v_pk_fma_f16 v62, v52, v97, v62
	v_pk_fma_f16 v63, v52, v56, v63
	v_pk_fma_f16 v64, v52, v98, v64
	v_pk_fma_f16 v59, v52, v57, v59
	v_pk_fma_f16 v65, v52, v107, v65
	v_pk_fma_f16 v52, v52, v58, v95
	ds_read_b128 v[55:58], v86 offset:976
	s_waitcnt lgkmcnt(0)
	v_mul_u32_u24_sdwa v95, v55, v94 dst_sel:DWORD dst_unused:UNUSED_PAD src0_sel:WORD_0 src1_sel:DWORD
	v_mul_u32_u24_sdwa v55, v55, v94 dst_sel:DWORD dst_unused:UNUSED_PAD src0_sel:WORD_1 src1_sel:DWORD
	v_mul_u32_u24_sdwa v96, v56, v94 dst_sel:DWORD dst_unused:UNUSED_PAD src0_sel:WORD_0 src1_sel:DWORD
	v_mul_u32_u24_sdwa v56, v56, v94 dst_sel:DWORD dst_unused:UNUSED_PAD src0_sel:WORD_1 src1_sel:DWORD
	v_mul_u32_u24_sdwa v97, v57, v94 dst_sel:DWORD dst_unused:UNUSED_PAD src0_sel:WORD_0 src1_sel:DWORD
	v_mul_u32_u24_sdwa v57, v57, v94 dst_sel:DWORD dst_unused:UNUSED_PAD src0_sel:WORD_1 src1_sel:DWORD
	v_mul_u32_u24_sdwa v98, v58, v94 dst_sel:DWORD dst_unused:UNUSED_PAD src0_sel:WORD_0 src1_sel:DWORD
	v_mul_u32_u24_sdwa v58, v58, v94 dst_sel:DWORD dst_unused:UNUSED_PAD src0_sel:WORD_1 src1_sel:DWORD
	v_pk_fma_f16 v99, v53, v95, v99
	v_pk_fma_f16 v100, v53, v55, v100
	v_pk_fma_f16 v101, v53, v96, v101
	v_pk_fma_f16 v102, v53, v56, v102
	v_pk_fma_f16 v103, v53, v97, v103
	v_pk_fma_f16 v104, v53, v57, v104
	v_pk_fma_f16 v105, v53, v98, v105
	v_pk_fma_f16 v106, v53, v58, v51
	v_pk_fma_f16 v60, v54, v95, v60
	v_pk_fma_f16 v55, v54, v55, v61
	v_pk_fma_f16 v61, v54, v96, v62
	v_pk_fma_f16 v56, v54, v56, v63
	v_pk_fma_f16 v62, v54, v97, v64
	v_pk_fma_f16 v57, v54, v57, v59
	v_pk_fma_f16 v59, v54, v98, v65
	v_pk_fma_f16 v54, v54, v58, v52
	ds_read2_b64 v[95:98], v50 offset0:192 offset1:224
	ds_read_b128 v[50:53], v86 offset:992
	s_waitcnt lgkmcnt(0)
	v_mul_u32_u24_sdwa v58, v50, v94 dst_sel:DWORD dst_unused:UNUSED_PAD src0_sel:WORD_0 src1_sel:DWORD
	v_mul_u32_u24_sdwa v50, v50, v94 dst_sel:DWORD dst_unused:UNUSED_PAD src0_sel:WORD_1 src1_sel:DWORD
	v_mul_u32_u24_sdwa v63, v51, v94 dst_sel:DWORD dst_unused:UNUSED_PAD src0_sel:WORD_0 src1_sel:DWORD
	v_mul_u32_u24_sdwa v51, v51, v94 dst_sel:DWORD dst_unused:UNUSED_PAD src0_sel:WORD_1 src1_sel:DWORD
	;; [unrolled: 2-line block ×4, first 2 shown]
	v_pk_fma_f16 v99, v95, v58, v99
	v_pk_fma_f16 v100, v95, v50, v100
	;; [unrolled: 1-line block ×16, first 2 shown]
	ds_read_b128 v[50:53], v86 offset:1008
	s_waitcnt lgkmcnt(0)
	s_barrier
	buffer_gl0_inv
	s_load_dword s16, s[6:7], 0x4
	v_mul_u32_u24_sdwa v57, v50, v94 dst_sel:DWORD dst_unused:UNUSED_PAD src0_sel:WORD_0 src1_sel:DWORD
	v_mul_u32_u24_sdwa v50, v50, v94 dst_sel:DWORD dst_unused:UNUSED_PAD src0_sel:WORD_1 src1_sel:DWORD
	v_mul_u32_u24_sdwa v59, v51, v94 dst_sel:DWORD dst_unused:UNUSED_PAD src0_sel:WORD_0 src1_sel:DWORD
	v_mul_u32_u24_sdwa v111, v51, v94 dst_sel:DWORD dst_unused:UNUSED_PAD src0_sel:WORD_1 src1_sel:DWORD
	;; [unrolled: 2-line block ×4, first 2 shown]
	s_waitcnt lgkmcnt(0)
	s_lshl_b32 s16, s16, 6
	v_pk_fma_f16 v64, v97, v57, v99
	v_pk_fma_f16 v62, v97, v50, v100
	;; [unrolled: 1-line block ×16, first 2 shown]
	s_add_i32 s8, s16, s8
	s_cmp_lt_i32 s8, s10
	s_cbranch_scc0 .LBB52_44
; %bb.42:                               ;   in Loop: Header=BB52_8 Depth=1
	v_mov_b32_e32 v109, v2
	v_mov_b32_e32 v108, v3
	;; [unrolled: 1-line block ×16, first 2 shown]
	s_branch .LBB52_8
.LBB52_43:
	v_mov_b32_e32 v2, 0xfeffffff
	v_mov_b32_e32 v64, 0
	;; [unrolled: 1-line block ×31, first 2 shown]
.LBB52_44:
	s_cmp_gt_i32 s48, s8
	s_cbranch_scc1 .LBB52_47
; %bb.45:
	v_mbcnt_lo_u32_b32 v10, -1, 0
	v_mov_b32_e32 v77, 32
	v_xor_b32_e32 v80, 16, v10
	v_xor_b32_e32 v79, 8, v10
	;; [unrolled: 1-line block ×5, first 2 shown]
	s_cbranch_execz .LBB52_48
; %bb.46:
	v_mov_b32_e32 v20, v10
	s_branch .LBB52_128
.LBB52_47:
                                        ; implicit-def: $vgpr10
                                        ; implicit-def: $vgpr77
                                        ; implicit-def: $vgpr80
                                        ; implicit-def: $vgpr79
                                        ; implicit-def: $vgpr78
                                        ; implicit-def: $vgpr76
                                        ; implicit-def: $vgpr75
.LBB52_48:
	v_lshl_add_u32 v15, v1, 2, v19
	s_mul_hi_i32 s7, s8, s22
	s_mul_i32 s6, s8, s22
	s_mov_b64 s[10:11], src_private_base
	s_lshl_b64 s[6:7], s[6:7], 2
	v_mul_lo_u32 v10, s22, v15
	s_sub_i32 s10, s48, s8
	s_add_u32 s14, s14, s6
	v_lshlrev_b32_e32 v16, 2, v74
	s_addc_u32 s7, s15, s7
	v_cmp_gt_i32_e64 s6, s10, v15
	v_mov_b32_e32 v75, 0
	buffer_store_dword v75, off, s[0:3], 0
	buffer_store_dword v75, off, s[0:3], 0 offset:4
	buffer_store_dword v75, off, s[0:3], 0 offset:8
	;; [unrolled: 1-line block ×3, first 2 shown]
	v_ashrrev_i32_e32 v11, 31, v10
	v_add_nc_u32_e32 v17, 32, v15
	v_mov_b32_e32 v92, 0
	v_mov_b32_e32 v90, 0
	;; [unrolled: 1-line block ×3, first 2 shown]
	v_lshlrev_b64 v[11:12], 2, v[10:11]
	v_lshl_add_u32 v10, s22, 5, v10
	v_mov_b32_e32 v86, 0
	v_mov_b32_e32 v84, 0
	;; [unrolled: 1-line block ×4, first 2 shown]
	v_add_co_u32 v11, vcc_lo, s14, v11
	v_add_co_ci_u32_e64 v12, null, s7, v12, vcc_lo
	v_mov_b32_e32 v74, 0
	v_add_co_u32 v13, vcc_lo, v11, v16
	v_add_co_ci_u32_e64 v14, null, 0, v12, vcc_lo
	v_mov_b32_e32 v95, 0
	v_cndmask_b32_e64 v11, 0, v13, s6
	v_mov_b32_e32 v94, 0
	v_cndmask_b32_e64 v12, s11, v14, s6
	v_mov_b32_e32 v93, 0
	v_mov_b32_e32 v91, 0
	;; [unrolled: 1-line block ×4, first 2 shown]
	flat_load_dwordx4 v[76:79], v[11:12]
	v_ashrrev_i32_e32 v11, 31, v10
	buffer_store_dword v75, off, s[0:3], 0
	buffer_store_dword v75, off, s[0:3], 0 offset:4
	buffer_store_dword v75, off, s[0:3], 0 offset:8
	;; [unrolled: 1-line block ×3, first 2 shown]
	v_mov_b32_e32 v85, 0
	v_mov_b32_e32 v83, 0
	v_lshlrev_b64 v[10:11], 2, v[10:11]
	s_cmp_lg_u64 s[46:47], 0
	v_add_co_u32 v10, vcc_lo, s14, v10
	v_add_co_ci_u32_e64 v12, null, s7, v11, vcc_lo
	v_add_co_u32 v11, vcc_lo, v10, v16
	v_add_co_ci_u32_e64 v12, null, 0, v12, vcc_lo
	v_cmp_gt_i32_e32 vcc_lo, s10, v17
	v_mad_u32_u24 v10, 0x90, v15, v16
	v_add_co_u32 v17, s7, 0x80, v13
	v_add_co_ci_u32_e64 v19, null, 0, v14, s7
	v_cndmask_b32_e32 v16, s11, v12, vcc_lo
	v_cndmask_b32_e32 v15, 0, v11, vcc_lo
	s_cselect_b32 s7, -1, 0
	s_waitcnt vmcnt(0) lgkmcnt(0)
	ds_write_b128 v10, v[76:79] offset:16384
	flat_load_dwordx4 v[77:80], v[15:16]
	v_mul_u32_u24_e32 v76, 0x90, v0
	s_waitcnt vmcnt(0) lgkmcnt(0)
	ds_write_b128 v10, v[77:80] offset:20992
	s_waitcnt lgkmcnt(0)
	s_waitcnt_vscnt null, 0x0
	s_barrier
	buffer_gl0_inv
	ds_read_b128 v[77:80], v76 offset:16384
	ds_read_b128 v[96:99], v49
	ds_read_b128 v[100:103], v49 offset:256
	ds_read_b128 v[104:107], v49 offset:512
	;; [unrolled: 1-line block ×8, first 2 shown]
	s_waitcnt lgkmcnt(8)
	;;#ASMSTART
	v_dot2_f32_f16 v92, v77, v96, v92
	;;#ASMEND
	;;#ASMSTART
	v_dot2_f32_f16 v92, v78, v97, v92
	;;#ASMEND
	;;#ASMSTART
	v_dot2_f32_f16 v92, v79, v98, v92
	;;#ASMEND
	;;#ASMSTART
	v_dot2_f32_f16 v92, v80, v99, v92
	;;#ASMEND
	s_waitcnt lgkmcnt(7)
	;;#ASMSTART
	v_dot2_f32_f16 v90, v77, v100, v90
	;;#ASMEND
	;;#ASMSTART
	v_dot2_f32_f16 v90, v78, v101, v90
	;;#ASMEND
	;;#ASMSTART
	v_dot2_f32_f16 v90, v79, v102, v90
	;;#ASMEND
	;;#ASMSTART
	v_dot2_f32_f16 v90, v80, v103, v90
	;;#ASMEND
	;; [unrolled: 13-line block ×8, first 2 shown]
	;;#ASMSTART
	v_dot2_f32_f16 v95, v112, v96, v95
	;;#ASMEND
	;;#ASMSTART
	v_dot2_f32_f16 v95, v113, v97, v95
	;;#ASMEND
	;; [unrolled: 3-line block ×32, first 2 shown]
	ds_read_b128 v[77:80], v76 offset:16400
	ds_read_b128 v[96:99], v49 offset:16
	;; [unrolled: 1-line block ×10, first 2 shown]
	s_waitcnt lgkmcnt(8)
	;;#ASMSTART
	v_dot2_f32_f16 v92, v77, v96, v92
	;;#ASMEND
	;;#ASMSTART
	v_dot2_f32_f16 v92, v78, v97, v92
	;;#ASMEND
	;;#ASMSTART
	v_dot2_f32_f16 v92, v79, v98, v92
	;;#ASMEND
	;;#ASMSTART
	v_dot2_f32_f16 v92, v80, v99, v92
	;;#ASMEND
	s_waitcnt lgkmcnt(7)
	;;#ASMSTART
	v_dot2_f32_f16 v90, v77, v100, v90
	;;#ASMEND
	;;#ASMSTART
	v_dot2_f32_f16 v90, v78, v101, v90
	;;#ASMEND
	;;#ASMSTART
	v_dot2_f32_f16 v90, v79, v102, v90
	;;#ASMEND
	;;#ASMSTART
	v_dot2_f32_f16 v90, v80, v103, v90
	;;#ASMEND
	;; [unrolled: 13-line block ×8, first 2 shown]
	;;#ASMSTART
	v_dot2_f32_f16 v95, v112, v96, v95
	;;#ASMEND
	;;#ASMSTART
	v_dot2_f32_f16 v95, v113, v97, v95
	;;#ASMEND
	;;#ASMSTART
	v_dot2_f32_f16 v95, v114, v98, v95
	;;#ASMEND
	;;#ASMSTART
	v_dot2_f32_f16 v95, v115, v99, v95
	;;#ASMEND
	;;#ASMSTART
	v_dot2_f32_f16 v94, v112, v100, v94
	;;#ASMEND
	;;#ASMSTART
	v_dot2_f32_f16 v94, v113, v101, v94
	;;#ASMEND
	;;#ASMSTART
	v_dot2_f32_f16 v94, v114, v102, v94
	;;#ASMEND
	;;#ASMSTART
	v_dot2_f32_f16 v94, v115, v103, v94
	;;#ASMEND
	;;#ASMSTART
	v_dot2_f32_f16 v93, v112, v104, v93
	;;#ASMEND
	;;#ASMSTART
	v_dot2_f32_f16 v93, v113, v105, v93
	;;#ASMEND
	;;#ASMSTART
	v_dot2_f32_f16 v93, v114, v106, v93
	;;#ASMEND
	;;#ASMSTART
	v_dot2_f32_f16 v93, v115, v107, v93
	;;#ASMEND
	;;#ASMSTART
	v_dot2_f32_f16 v91, v112, v108, v91
	;;#ASMEND
	;;#ASMSTART
	v_dot2_f32_f16 v91, v113, v109, v91
	;;#ASMEND
	;;#ASMSTART
	v_dot2_f32_f16 v91, v114, v110, v91
	;;#ASMEND
	;;#ASMSTART
	v_dot2_f32_f16 v91, v115, v111, v91
	;;#ASMEND
	;;#ASMSTART
	v_dot2_f32_f16 v89, v112, v116, v89
	;;#ASMEND
	;;#ASMSTART
	v_dot2_f32_f16 v89, v113, v117, v89
	;;#ASMEND
	;;#ASMSTART
	v_dot2_f32_f16 v89, v114, v118, v89
	;;#ASMEND
	;;#ASMSTART
	v_dot2_f32_f16 v89, v115, v119, v89
	;;#ASMEND
	;;#ASMSTART
	v_dot2_f32_f16 v87, v112, v120, v87
	;;#ASMEND
	;;#ASMSTART
	v_dot2_f32_f16 v87, v113, v121, v87
	;;#ASMEND
	;;#ASMSTART
	v_dot2_f32_f16 v87, v114, v122, v87
	;;#ASMEND
	;;#ASMSTART
	v_dot2_f32_f16 v87, v115, v123, v87
	;;#ASMEND
	;;#ASMSTART
	v_dot2_f32_f16 v85, v112, v124, v85
	;;#ASMEND
	;;#ASMSTART
	v_dot2_f32_f16 v85, v113, v125, v85
	;;#ASMEND
	;;#ASMSTART
	v_dot2_f32_f16 v85, v114, v126, v85
	;;#ASMEND
	;;#ASMSTART
	v_dot2_f32_f16 v85, v115, v127, v85
	;;#ASMEND
	;;#ASMSTART
	v_dot2_f32_f16 v83, v112, v128, v83
	;;#ASMEND
	;;#ASMSTART
	v_dot2_f32_f16 v83, v113, v129, v83
	;;#ASMEND
	;;#ASMSTART
	v_dot2_f32_f16 v83, v114, v130, v83
	;;#ASMEND
	;;#ASMSTART
	v_dot2_f32_f16 v83, v115, v131, v83
	;;#ASMEND
	ds_read_b128 v[77:80], v76 offset:16416
	ds_read_b128 v[96:99], v49 offset:32
	ds_read_b128 v[100:103], v49 offset:288
	ds_read_b128 v[104:107], v49 offset:544
	ds_read_b128 v[108:111], v49 offset:800
	ds_read_b128 v[112:115], v76 offset:21024
	ds_read_b128 v[116:119], v49 offset:1056
	ds_read_b128 v[120:123], v49 offset:1312
	ds_read_b128 v[124:127], v49 offset:1568
	ds_read_b128 v[128:131], v49 offset:1824
	s_waitcnt lgkmcnt(8)
	;;#ASMSTART
	v_dot2_f32_f16 v92, v77, v96, v92
	;;#ASMEND
	;;#ASMSTART
	v_dot2_f32_f16 v92, v78, v97, v92
	;;#ASMEND
	;;#ASMSTART
	v_dot2_f32_f16 v92, v79, v98, v92
	;;#ASMEND
	;;#ASMSTART
	v_dot2_f32_f16 v92, v80, v99, v92
	;;#ASMEND
	s_waitcnt lgkmcnt(7)
	;;#ASMSTART
	v_dot2_f32_f16 v90, v77, v100, v90
	;;#ASMEND
	;;#ASMSTART
	v_dot2_f32_f16 v90, v78, v101, v90
	;;#ASMEND
	;;#ASMSTART
	v_dot2_f32_f16 v90, v79, v102, v90
	;;#ASMEND
	;;#ASMSTART
	v_dot2_f32_f16 v90, v80, v103, v90
	;;#ASMEND
	;; [unrolled: 13-line block ×8, first 2 shown]
	;;#ASMSTART
	v_dot2_f32_f16 v95, v112, v96, v95
	;;#ASMEND
	;;#ASMSTART
	v_dot2_f32_f16 v95, v113, v97, v95
	;;#ASMEND
	;;#ASMSTART
	v_dot2_f32_f16 v95, v114, v98, v95
	;;#ASMEND
	;;#ASMSTART
	v_dot2_f32_f16 v95, v115, v99, v95
	;;#ASMEND
	;;#ASMSTART
	v_dot2_f32_f16 v94, v112, v100, v94
	;;#ASMEND
	;;#ASMSTART
	v_dot2_f32_f16 v94, v113, v101, v94
	;;#ASMEND
	;;#ASMSTART
	v_dot2_f32_f16 v94, v114, v102, v94
	;;#ASMEND
	;;#ASMSTART
	v_dot2_f32_f16 v94, v115, v103, v94
	;;#ASMEND
	;;#ASMSTART
	v_dot2_f32_f16 v93, v112, v104, v93
	;;#ASMEND
	;;#ASMSTART
	v_dot2_f32_f16 v93, v113, v105, v93
	;;#ASMEND
	;;#ASMSTART
	v_dot2_f32_f16 v93, v114, v106, v93
	;;#ASMEND
	;;#ASMSTART
	v_dot2_f32_f16 v93, v115, v107, v93
	;;#ASMEND
	;;#ASMSTART
	v_dot2_f32_f16 v91, v112, v108, v91
	;;#ASMEND
	;;#ASMSTART
	v_dot2_f32_f16 v91, v113, v109, v91
	;;#ASMEND
	;;#ASMSTART
	v_dot2_f32_f16 v91, v114, v110, v91
	;;#ASMEND
	;;#ASMSTART
	v_dot2_f32_f16 v91, v115, v111, v91
	;;#ASMEND
	;;#ASMSTART
	v_dot2_f32_f16 v89, v112, v116, v89
	;;#ASMEND
	;;#ASMSTART
	v_dot2_f32_f16 v89, v113, v117, v89
	;;#ASMEND
	;;#ASMSTART
	v_dot2_f32_f16 v89, v114, v118, v89
	;;#ASMEND
	;;#ASMSTART
	v_dot2_f32_f16 v89, v115, v119, v89
	;;#ASMEND
	;;#ASMSTART
	v_dot2_f32_f16 v87, v112, v120, v87
	;;#ASMEND
	;;#ASMSTART
	v_dot2_f32_f16 v87, v113, v121, v87
	;;#ASMEND
	;;#ASMSTART
	v_dot2_f32_f16 v87, v114, v122, v87
	;;#ASMEND
	;;#ASMSTART
	v_dot2_f32_f16 v87, v115, v123, v87
	;;#ASMEND
	;;#ASMSTART
	v_dot2_f32_f16 v85, v112, v124, v85
	;;#ASMEND
	;;#ASMSTART
	v_dot2_f32_f16 v85, v113, v125, v85
	;;#ASMEND
	;;#ASMSTART
	v_dot2_f32_f16 v85, v114, v126, v85
	;;#ASMEND
	;;#ASMSTART
	v_dot2_f32_f16 v85, v115, v127, v85
	;;#ASMEND
	;;#ASMSTART
	v_dot2_f32_f16 v83, v112, v128, v83
	;;#ASMEND
	;;#ASMSTART
	v_dot2_f32_f16 v83, v113, v129, v83
	;;#ASMEND
	;;#ASMSTART
	v_dot2_f32_f16 v83, v114, v130, v83
	;;#ASMEND
	;;#ASMSTART
	v_dot2_f32_f16 v83, v115, v131, v83
	;;#ASMEND
	ds_read_b128 v[77:80], v76 offset:16432
	ds_read_b128 v[96:99], v49 offset:48
	;; [unrolled: 1-line block ×10, first 2 shown]
	s_waitcnt lgkmcnt(8)
	;;#ASMSTART
	v_dot2_f32_f16 v92, v77, v96, v92
	;;#ASMEND
	;;#ASMSTART
	v_dot2_f32_f16 v92, v78, v97, v92
	;;#ASMEND
	;;#ASMSTART
	v_dot2_f32_f16 v92, v79, v98, v92
	;;#ASMEND
	;;#ASMSTART
	v_dot2_f32_f16 v92, v80, v99, v92
	;;#ASMEND
	s_waitcnt lgkmcnt(7)
	;;#ASMSTART
	v_dot2_f32_f16 v90, v77, v100, v90
	;;#ASMEND
	;;#ASMSTART
	v_dot2_f32_f16 v90, v78, v101, v90
	;;#ASMEND
	;;#ASMSTART
	v_dot2_f32_f16 v90, v79, v102, v90
	;;#ASMEND
	;;#ASMSTART
	v_dot2_f32_f16 v90, v80, v103, v90
	;;#ASMEND
	;; [unrolled: 13-line block ×8, first 2 shown]
	;;#ASMSTART
	v_dot2_f32_f16 v95, v112, v96, v95
	;;#ASMEND
	;;#ASMSTART
	v_dot2_f32_f16 v95, v113, v97, v95
	;;#ASMEND
	;; [unrolled: 3-line block ×32, first 2 shown]
	ds_read_b128 v[77:80], v76 offset:16448
	ds_read_b128 v[96:99], v49 offset:64
	;; [unrolled: 1-line block ×10, first 2 shown]
	s_waitcnt lgkmcnt(8)
	;;#ASMSTART
	v_dot2_f32_f16 v92, v77, v96, v92
	;;#ASMEND
	;;#ASMSTART
	v_dot2_f32_f16 v92, v78, v97, v92
	;;#ASMEND
	;;#ASMSTART
	v_dot2_f32_f16 v92, v79, v98, v92
	;;#ASMEND
	;;#ASMSTART
	v_dot2_f32_f16 v92, v80, v99, v92
	;;#ASMEND
	s_waitcnt lgkmcnt(7)
	;;#ASMSTART
	v_dot2_f32_f16 v90, v77, v100, v90
	;;#ASMEND
	;;#ASMSTART
	v_dot2_f32_f16 v90, v78, v101, v90
	;;#ASMEND
	;;#ASMSTART
	v_dot2_f32_f16 v90, v79, v102, v90
	;;#ASMEND
	;;#ASMSTART
	v_dot2_f32_f16 v90, v80, v103, v90
	;;#ASMEND
	s_waitcnt lgkmcnt(6)
	;;#ASMSTART
	v_dot2_f32_f16 v88, v77, v104, v88
	;;#ASMEND
	;;#ASMSTART
	v_dot2_f32_f16 v88, v78, v105, v88
	;;#ASMEND
	;;#ASMSTART
	v_dot2_f32_f16 v88, v79, v106, v88
	;;#ASMEND
	;;#ASMSTART
	v_dot2_f32_f16 v88, v80, v107, v88
	;;#ASMEND
	s_waitcnt lgkmcnt(5)
	;;#ASMSTART
	v_dot2_f32_f16 v86, v77, v108, v86
	;;#ASMEND
	;;#ASMSTART
	v_dot2_f32_f16 v86, v78, v109, v86
	;;#ASMEND
	;;#ASMSTART
	v_dot2_f32_f16 v86, v79, v110, v86
	;;#ASMEND
	;;#ASMSTART
	v_dot2_f32_f16 v86, v80, v111, v86
	;;#ASMEND
	s_waitcnt lgkmcnt(3)
	;;#ASMSTART
	v_dot2_f32_f16 v84, v77, v116, v84
	;;#ASMEND
	;;#ASMSTART
	v_dot2_f32_f16 v84, v78, v117, v84
	;;#ASMEND
	;;#ASMSTART
	v_dot2_f32_f16 v84, v79, v118, v84
	;;#ASMEND
	;;#ASMSTART
	v_dot2_f32_f16 v84, v80, v119, v84
	;;#ASMEND
	s_waitcnt lgkmcnt(2)
	;;#ASMSTART
	v_dot2_f32_f16 v82, v77, v120, v82
	;;#ASMEND
	;;#ASMSTART
	v_dot2_f32_f16 v82, v78, v121, v82
	;;#ASMEND
	;;#ASMSTART
	v_dot2_f32_f16 v82, v79, v122, v82
	;;#ASMEND
	;;#ASMSTART
	v_dot2_f32_f16 v82, v80, v123, v82
	;;#ASMEND
	s_waitcnt lgkmcnt(1)
	;;#ASMSTART
	v_dot2_f32_f16 v81, v77, v124, v81
	;;#ASMEND
	;;#ASMSTART
	v_dot2_f32_f16 v81, v78, v125, v81
	;;#ASMEND
	;;#ASMSTART
	v_dot2_f32_f16 v81, v79, v126, v81
	;;#ASMEND
	;;#ASMSTART
	v_dot2_f32_f16 v81, v80, v127, v81
	;;#ASMEND
	s_waitcnt lgkmcnt(0)
	;;#ASMSTART
	v_dot2_f32_f16 v74, v77, v128, v74
	;;#ASMEND
	;;#ASMSTART
	v_dot2_f32_f16 v74, v78, v129, v74
	;;#ASMEND
	;;#ASMSTART
	v_dot2_f32_f16 v74, v79, v130, v74
	;;#ASMEND
	;;#ASMSTART
	v_dot2_f32_f16 v74, v80, v131, v74
	;;#ASMEND
	;;#ASMSTART
	v_dot2_f32_f16 v95, v112, v96, v95
	;;#ASMEND
	;;#ASMSTART
	v_dot2_f32_f16 v95, v113, v97, v95
	;;#ASMEND
	;; [unrolled: 3-line block ×32, first 2 shown]
	ds_read_b128 v[77:80], v76 offset:16464
	ds_read_b128 v[96:99], v49 offset:80
	;; [unrolled: 1-line block ×10, first 2 shown]
	s_waitcnt lgkmcnt(8)
	;;#ASMSTART
	v_dot2_f32_f16 v92, v77, v96, v92
	;;#ASMEND
	;;#ASMSTART
	v_dot2_f32_f16 v92, v78, v97, v92
	;;#ASMEND
	;;#ASMSTART
	v_dot2_f32_f16 v92, v79, v98, v92
	;;#ASMEND
	;;#ASMSTART
	v_dot2_f32_f16 v92, v80, v99, v92
	;;#ASMEND
	s_waitcnt lgkmcnt(7)
	;;#ASMSTART
	v_dot2_f32_f16 v90, v77, v100, v90
	;;#ASMEND
	;;#ASMSTART
	v_dot2_f32_f16 v90, v78, v101, v90
	;;#ASMEND
	;;#ASMSTART
	v_dot2_f32_f16 v90, v79, v102, v90
	;;#ASMEND
	;;#ASMSTART
	v_dot2_f32_f16 v90, v80, v103, v90
	;;#ASMEND
	;; [unrolled: 13-line block ×8, first 2 shown]
	;;#ASMSTART
	v_dot2_f32_f16 v95, v112, v96, v95
	;;#ASMEND
	;;#ASMSTART
	v_dot2_f32_f16 v95, v113, v97, v95
	;;#ASMEND
	;; [unrolled: 3-line block ×32, first 2 shown]
	ds_read_b128 v[77:80], v76 offset:16480
	ds_read_b128 v[96:99], v49 offset:96
	;; [unrolled: 1-line block ×10, first 2 shown]
	s_waitcnt lgkmcnt(8)
	;;#ASMSTART
	v_dot2_f32_f16 v92, v77, v96, v92
	;;#ASMEND
	;;#ASMSTART
	v_dot2_f32_f16 v92, v78, v97, v92
	;;#ASMEND
	;;#ASMSTART
	v_dot2_f32_f16 v92, v79, v98, v92
	;;#ASMEND
	;;#ASMSTART
	v_dot2_f32_f16 v92, v80, v99, v92
	;;#ASMEND
	s_waitcnt lgkmcnt(7)
	;;#ASMSTART
	v_dot2_f32_f16 v90, v77, v100, v90
	;;#ASMEND
	;;#ASMSTART
	v_dot2_f32_f16 v90, v78, v101, v90
	;;#ASMEND
	;;#ASMSTART
	v_dot2_f32_f16 v90, v79, v102, v90
	;;#ASMEND
	;;#ASMSTART
	v_dot2_f32_f16 v90, v80, v103, v90
	;;#ASMEND
	;; [unrolled: 13-line block ×8, first 2 shown]
	;;#ASMSTART
	v_dot2_f32_f16 v95, v112, v96, v95
	;;#ASMEND
	;;#ASMSTART
	v_dot2_f32_f16 v95, v113, v97, v95
	;;#ASMEND
	;; [unrolled: 3-line block ×32, first 2 shown]
	ds_read_b128 v[77:80], v76 offset:16496
	ds_read_b128 v[96:99], v49 offset:112
	;; [unrolled: 1-line block ×10, first 2 shown]
	s_waitcnt lgkmcnt(8)
	;;#ASMSTART
	v_dot2_f32_f16 v92, v77, v96, v92
	;;#ASMEND
	;;#ASMSTART
	v_dot2_f32_f16 v92, v78, v97, v92
	;;#ASMEND
	;;#ASMSTART
	v_dot2_f32_f16 v92, v79, v98, v92
	;;#ASMEND
	;;#ASMSTART
	v_dot2_f32_f16 v92, v80, v99, v92
	;;#ASMEND
	s_waitcnt lgkmcnt(7)
	;;#ASMSTART
	v_dot2_f32_f16 v90, v77, v100, v90
	;;#ASMEND
	;;#ASMSTART
	v_dot2_f32_f16 v90, v78, v101, v90
	;;#ASMEND
	;;#ASMSTART
	v_dot2_f32_f16 v90, v79, v102, v90
	;;#ASMEND
	;;#ASMSTART
	v_dot2_f32_f16 v90, v80, v103, v90
	;;#ASMEND
	s_waitcnt lgkmcnt(6)
	;;#ASMSTART
	v_dot2_f32_f16 v88, v77, v13, v88
	;;#ASMEND
	;;#ASMSTART
	v_dot2_f32_f16 v88, v78, v14, v88
	;;#ASMEND
	;;#ASMSTART
	v_dot2_f32_f16 v88, v79, v15, v88
	;;#ASMEND
	;;#ASMSTART
	v_dot2_f32_f16 v88, v80, v16, v88
	;;#ASMEND
	s_waitcnt lgkmcnt(5)
	;;#ASMSTART
	v_dot2_f32_f16 v86, v77, v104, v86
	;;#ASMEND
	;;#ASMSTART
	v_dot2_f32_f16 v86, v78, v105, v86
	;;#ASMEND
	;;#ASMSTART
	v_dot2_f32_f16 v86, v79, v106, v86
	;;#ASMEND
	;;#ASMSTART
	v_dot2_f32_f16 v86, v80, v107, v86
	;;#ASMEND
	s_waitcnt lgkmcnt(3)
	;;#ASMSTART
	v_dot2_f32_f16 v84, v77, v112, v84
	;;#ASMEND
	;;#ASMSTART
	v_dot2_f32_f16 v84, v78, v113, v84
	;;#ASMEND
	;;#ASMSTART
	v_dot2_f32_f16 v84, v79, v114, v84
	;;#ASMEND
	;;#ASMSTART
	v_dot2_f32_f16 v84, v80, v115, v84
	;;#ASMEND
	s_waitcnt lgkmcnt(2)
	;;#ASMSTART
	v_dot2_f32_f16 v82, v77, v116, v82
	;;#ASMEND
	;;#ASMSTART
	v_dot2_f32_f16 v82, v78, v117, v82
	;;#ASMEND
	;;#ASMSTART
	v_dot2_f32_f16 v82, v79, v118, v82
	;;#ASMEND
	;;#ASMSTART
	v_dot2_f32_f16 v82, v80, v119, v82
	;;#ASMEND
	s_waitcnt lgkmcnt(1)
	;;#ASMSTART
	v_dot2_f32_f16 v81, v77, v120, v81
	;;#ASMEND
	;;#ASMSTART
	v_dot2_f32_f16 v81, v78, v121, v81
	;;#ASMEND
	;;#ASMSTART
	v_dot2_f32_f16 v81, v79, v122, v81
	;;#ASMEND
	;;#ASMSTART
	v_dot2_f32_f16 v81, v80, v123, v81
	;;#ASMEND
	s_waitcnt lgkmcnt(0)
	;;#ASMSTART
	v_dot2_f32_f16 v74, v77, v124, v74
	;;#ASMEND
	;;#ASMSTART
	v_dot2_f32_f16 v74, v78, v125, v74
	;;#ASMEND
	;;#ASMSTART
	v_dot2_f32_f16 v74, v79, v126, v74
	;;#ASMEND
	;;#ASMSTART
	v_dot2_f32_f16 v74, v80, v127, v74
	;;#ASMEND
	;;#ASMSTART
	v_dot2_f32_f16 v95, v108, v96, v95
	;;#ASMEND
	;;#ASMSTART
	v_dot2_f32_f16 v95, v109, v97, v95
	;;#ASMEND
	;; [unrolled: 3-line block ×26, first 2 shown]
	v_cndmask_b32_e64 v129, s11, v19, s6
	v_cndmask_b32_e64 v128, 0, v17, s6
	;;#ASMSTART
	v_dot2_f32_f16 v85, v110, v122, v85
	;;#ASMEND
	;;#ASMSTART
	v_dot2_f32_f16 v85, v111, v123, v85
	;;#ASMEND
	;; [unrolled: 3-line block ×6, first 2 shown]
	s_barrier
	buffer_gl0_inv
	buffer_store_dword v75, off, s[0:3], 0
	buffer_store_dword v75, off, s[0:3], 0 offset:4
	buffer_store_dword v75, off, s[0:3], 0 offset:8
	;; [unrolled: 1-line block ×3, first 2 shown]
	flat_load_dwordx4 v[13:16], v[128:129]
	v_add_co_u32 v11, s6, 0x80, v11
	v_add_co_ci_u32_e64 v12, null, 0, v12, s6
	buffer_store_dword v75, off, s[0:3], 0
	buffer_store_dword v75, off, s[0:3], 0 offset:4
	buffer_store_dword v75, off, s[0:3], 0 offset:8
	;; [unrolled: 1-line block ×3, first 2 shown]
	v_cndmask_b32_e32 v11, 0, v11, vcc_lo
	v_mad_u64_u32 v[18:19], null, v18, s19, s[8:9]
	v_cndmask_b32_e32 v12, s11, v12, vcc_lo
	v_cmp_gt_i32_e64 s6, s10, v0
	s_waitcnt vmcnt(0) lgkmcnt(0)
	ds_write_b128 v10, v[13:16] offset:16384
	flat_load_dwordx4 v[11:14], v[11:12]
	s_waitcnt vmcnt(0) lgkmcnt(0)
	ds_write_b128 v10, v[11:14] offset:20992
	s_waitcnt lgkmcnt(0)
	s_waitcnt_vscnt null, 0x0
	s_barrier
	buffer_gl0_inv
	ds_read_b128 v[10:13], v76 offset:16384
	ds_read_b128 v[14:17], v49 offset:128
	;; [unrolled: 1-line block ×10, first 2 shown]
	s_waitcnt lgkmcnt(8)
	;;#ASMSTART
	v_dot2_f32_f16 v92, v10, v14, v92
	;;#ASMEND
	;;#ASMSTART
	v_dot2_f32_f16 v92, v11, v15, v92
	;;#ASMEND
	;;#ASMSTART
	v_dot2_f32_f16 v92, v12, v16, v92
	;;#ASMEND
	;;#ASMSTART
	v_dot2_f32_f16 v92, v13, v17, v92
	;;#ASMEND
	s_waitcnt lgkmcnt(7)
	;;#ASMSTART
	v_dot2_f32_f16 v90, v10, v77, v90
	;;#ASMEND
	;;#ASMSTART
	v_dot2_f32_f16 v90, v11, v78, v90
	;;#ASMEND
	;;#ASMSTART
	v_dot2_f32_f16 v90, v12, v79, v90
	;;#ASMEND
	;;#ASMSTART
	v_dot2_f32_f16 v90, v13, v80, v90
	;;#ASMEND
	;; [unrolled: 13-line block ×8, first 2 shown]
	;;#ASMSTART
	v_dot2_f32_f16 v95, v104, v14, v95
	;;#ASMEND
	;;#ASMSTART
	v_dot2_f32_f16 v95, v105, v15, v95
	;;#ASMEND
	;; [unrolled: 3-line block ×32, first 2 shown]
	ds_read_b128 v[10:13], v76 offset:16400
	ds_read_b128 v[14:17], v49 offset:144
	;; [unrolled: 1-line block ×10, first 2 shown]
	s_waitcnt lgkmcnt(8)
	;;#ASMSTART
	v_dot2_f32_f16 v92, v10, v14, v92
	;;#ASMEND
	;;#ASMSTART
	v_dot2_f32_f16 v92, v11, v15, v92
	;;#ASMEND
	;;#ASMSTART
	v_dot2_f32_f16 v92, v12, v16, v92
	;;#ASMEND
	;;#ASMSTART
	v_dot2_f32_f16 v92, v13, v17, v92
	;;#ASMEND
	s_waitcnt lgkmcnt(7)
	;;#ASMSTART
	v_dot2_f32_f16 v90, v10, v77, v90
	;;#ASMEND
	;;#ASMSTART
	v_dot2_f32_f16 v90, v11, v78, v90
	;;#ASMEND
	;;#ASMSTART
	v_dot2_f32_f16 v90, v12, v79, v90
	;;#ASMEND
	;;#ASMSTART
	v_dot2_f32_f16 v90, v13, v80, v90
	;;#ASMEND
	;; [unrolled: 13-line block ×8, first 2 shown]
	;;#ASMSTART
	v_dot2_f32_f16 v95, v104, v14, v95
	;;#ASMEND
	;;#ASMSTART
	v_dot2_f32_f16 v95, v105, v15, v95
	;;#ASMEND
	;; [unrolled: 3-line block ×32, first 2 shown]
	ds_read_b128 v[10:13], v76 offset:16416
	ds_read_b128 v[14:17], v49 offset:160
	;; [unrolled: 1-line block ×10, first 2 shown]
	s_waitcnt lgkmcnt(8)
	;;#ASMSTART
	v_dot2_f32_f16 v92, v10, v14, v92
	;;#ASMEND
	;;#ASMSTART
	v_dot2_f32_f16 v92, v11, v15, v92
	;;#ASMEND
	;;#ASMSTART
	v_dot2_f32_f16 v92, v12, v16, v92
	;;#ASMEND
	;;#ASMSTART
	v_dot2_f32_f16 v92, v13, v17, v92
	;;#ASMEND
	s_waitcnt lgkmcnt(7)
	;;#ASMSTART
	v_dot2_f32_f16 v90, v10, v77, v90
	;;#ASMEND
	;;#ASMSTART
	v_dot2_f32_f16 v90, v11, v78, v90
	;;#ASMEND
	;;#ASMSTART
	v_dot2_f32_f16 v90, v12, v79, v90
	;;#ASMEND
	;;#ASMSTART
	v_dot2_f32_f16 v90, v13, v80, v90
	;;#ASMEND
	;; [unrolled: 13-line block ×8, first 2 shown]
	;;#ASMSTART
	v_dot2_f32_f16 v95, v104, v14, v95
	;;#ASMEND
	;;#ASMSTART
	v_dot2_f32_f16 v95, v105, v15, v95
	;;#ASMEND
	;; [unrolled: 3-line block ×32, first 2 shown]
	ds_read_b128 v[10:13], v76 offset:16432
	ds_read_b128 v[14:17], v49 offset:176
	;; [unrolled: 1-line block ×10, first 2 shown]
	s_waitcnt lgkmcnt(8)
	;;#ASMSTART
	v_dot2_f32_f16 v92, v10, v14, v92
	;;#ASMEND
	;;#ASMSTART
	v_dot2_f32_f16 v92, v11, v15, v92
	;;#ASMEND
	;;#ASMSTART
	v_dot2_f32_f16 v92, v12, v16, v92
	;;#ASMEND
	;;#ASMSTART
	v_dot2_f32_f16 v92, v13, v17, v92
	;;#ASMEND
	s_waitcnt lgkmcnt(7)
	;;#ASMSTART
	v_dot2_f32_f16 v90, v10, v77, v90
	;;#ASMEND
	;;#ASMSTART
	v_dot2_f32_f16 v90, v11, v78, v90
	;;#ASMEND
	;;#ASMSTART
	v_dot2_f32_f16 v90, v12, v79, v90
	;;#ASMEND
	;;#ASMSTART
	v_dot2_f32_f16 v90, v13, v80, v90
	;;#ASMEND
	;; [unrolled: 13-line block ×8, first 2 shown]
	;;#ASMSTART
	v_dot2_f32_f16 v95, v104, v14, v95
	;;#ASMEND
	;;#ASMSTART
	v_dot2_f32_f16 v95, v105, v15, v95
	;;#ASMEND
	;; [unrolled: 3-line block ×32, first 2 shown]
	ds_read_b128 v[10:13], v76 offset:16448
	ds_read_b128 v[14:17], v49 offset:192
	;; [unrolled: 1-line block ×10, first 2 shown]
	s_waitcnt lgkmcnt(8)
	;;#ASMSTART
	v_dot2_f32_f16 v92, v10, v14, v92
	;;#ASMEND
	;;#ASMSTART
	v_dot2_f32_f16 v92, v11, v15, v92
	;;#ASMEND
	;;#ASMSTART
	v_dot2_f32_f16 v92, v12, v16, v92
	;;#ASMEND
	;;#ASMSTART
	v_dot2_f32_f16 v92, v13, v17, v92
	;;#ASMEND
	s_waitcnt lgkmcnt(7)
	;;#ASMSTART
	v_dot2_f32_f16 v90, v10, v77, v90
	;;#ASMEND
	;;#ASMSTART
	v_dot2_f32_f16 v90, v11, v78, v90
	;;#ASMEND
	;;#ASMSTART
	v_dot2_f32_f16 v90, v12, v79, v90
	;;#ASMEND
	;;#ASMSTART
	v_dot2_f32_f16 v90, v13, v80, v90
	;;#ASMEND
	;; [unrolled: 13-line block ×8, first 2 shown]
	;;#ASMSTART
	v_dot2_f32_f16 v95, v104, v14, v95
	;;#ASMEND
	;;#ASMSTART
	v_dot2_f32_f16 v95, v105, v15, v95
	;;#ASMEND
	;; [unrolled: 3-line block ×32, first 2 shown]
	ds_read_b128 v[10:13], v76 offset:16464
	ds_read_b128 v[14:17], v49 offset:208
	;; [unrolled: 1-line block ×10, first 2 shown]
	s_waitcnt lgkmcnt(8)
	;;#ASMSTART
	v_dot2_f32_f16 v92, v10, v14, v92
	;;#ASMEND
	;;#ASMSTART
	v_dot2_f32_f16 v92, v11, v15, v92
	;;#ASMEND
	;;#ASMSTART
	v_dot2_f32_f16 v92, v12, v16, v92
	;;#ASMEND
	;;#ASMSTART
	v_dot2_f32_f16 v92, v13, v17, v92
	;;#ASMEND
	s_waitcnt lgkmcnt(7)
	;;#ASMSTART
	v_dot2_f32_f16 v90, v10, v77, v90
	;;#ASMEND
	;;#ASMSTART
	v_dot2_f32_f16 v90, v11, v78, v90
	;;#ASMEND
	;;#ASMSTART
	v_dot2_f32_f16 v90, v12, v79, v90
	;;#ASMEND
	;;#ASMSTART
	v_dot2_f32_f16 v90, v13, v80, v90
	;;#ASMEND
	;; [unrolled: 13-line block ×8, first 2 shown]
	;;#ASMSTART
	v_dot2_f32_f16 v95, v104, v14, v95
	;;#ASMEND
	;;#ASMSTART
	v_dot2_f32_f16 v95, v105, v15, v95
	;;#ASMEND
	;; [unrolled: 3-line block ×32, first 2 shown]
	ds_read_b128 v[10:13], v76 offset:16480
	ds_read_b128 v[14:17], v49 offset:224
	;; [unrolled: 1-line block ×10, first 2 shown]
	s_waitcnt lgkmcnt(8)
	;;#ASMSTART
	v_dot2_f32_f16 v92, v10, v14, v92
	;;#ASMEND
	;;#ASMSTART
	v_dot2_f32_f16 v92, v11, v15, v92
	;;#ASMEND
	;;#ASMSTART
	v_dot2_f32_f16 v92, v12, v16, v92
	;;#ASMEND
	;;#ASMSTART
	v_dot2_f32_f16 v92, v13, v17, v92
	;;#ASMEND
	s_waitcnt lgkmcnt(7)
	;;#ASMSTART
	v_dot2_f32_f16 v90, v10, v77, v90
	;;#ASMEND
	;;#ASMSTART
	v_dot2_f32_f16 v90, v11, v78, v90
	;;#ASMEND
	;;#ASMSTART
	v_dot2_f32_f16 v90, v12, v79, v90
	;;#ASMEND
	;;#ASMSTART
	v_dot2_f32_f16 v90, v13, v80, v90
	;;#ASMEND
	s_waitcnt lgkmcnt(6)
	;;#ASMSTART
	v_dot2_f32_f16 v88, v10, v96, v88
	;;#ASMEND
	;;#ASMSTART
	v_dot2_f32_f16 v88, v11, v97, v88
	;;#ASMEND
	;;#ASMSTART
	v_dot2_f32_f16 v88, v12, v98, v88
	;;#ASMEND
	;;#ASMSTART
	v_dot2_f32_f16 v88, v13, v99, v88
	;;#ASMEND
	s_waitcnt lgkmcnt(5)
	;;#ASMSTART
	v_dot2_f32_f16 v86, v10, v100, v86
	;;#ASMEND
	;;#ASMSTART
	v_dot2_f32_f16 v86, v11, v101, v86
	;;#ASMEND
	;;#ASMSTART
	v_dot2_f32_f16 v86, v12, v102, v86
	;;#ASMEND
	;;#ASMSTART
	v_dot2_f32_f16 v86, v13, v103, v86
	;;#ASMEND
	s_waitcnt lgkmcnt(3)
	;;#ASMSTART
	v_dot2_f32_f16 v84, v10, v108, v84
	;;#ASMEND
	;;#ASMSTART
	v_dot2_f32_f16 v84, v11, v109, v84
	;;#ASMEND
	;;#ASMSTART
	v_dot2_f32_f16 v84, v12, v110, v84
	;;#ASMEND
	;;#ASMSTART
	v_dot2_f32_f16 v84, v13, v111, v84
	;;#ASMEND
	s_waitcnt lgkmcnt(2)
	;;#ASMSTART
	v_dot2_f32_f16 v82, v10, v112, v82
	;;#ASMEND
	;;#ASMSTART
	v_dot2_f32_f16 v82, v11, v113, v82
	;;#ASMEND
	;;#ASMSTART
	v_dot2_f32_f16 v82, v12, v114, v82
	;;#ASMEND
	;;#ASMSTART
	v_dot2_f32_f16 v82, v13, v115, v82
	;;#ASMEND
	s_waitcnt lgkmcnt(1)
	;;#ASMSTART
	v_dot2_f32_f16 v81, v10, v116, v81
	;;#ASMEND
	;;#ASMSTART
	v_dot2_f32_f16 v81, v11, v117, v81
	;;#ASMEND
	;;#ASMSTART
	v_dot2_f32_f16 v81, v12, v118, v81
	;;#ASMEND
	;;#ASMSTART
	v_dot2_f32_f16 v81, v13, v119, v81
	;;#ASMEND
	s_waitcnt lgkmcnt(0)
	;;#ASMSTART
	v_dot2_f32_f16 v74, v10, v120, v74
	;;#ASMEND
	;;#ASMSTART
	v_dot2_f32_f16 v74, v11, v121, v74
	;;#ASMEND
	;;#ASMSTART
	v_dot2_f32_f16 v74, v12, v122, v74
	;;#ASMEND
	;;#ASMSTART
	v_dot2_f32_f16 v74, v13, v123, v74
	;;#ASMEND
	;;#ASMSTART
	v_dot2_f32_f16 v95, v104, v14, v95
	;;#ASMEND
	;;#ASMSTART
	v_dot2_f32_f16 v95, v105, v15, v95
	;;#ASMEND
	;; [unrolled: 3-line block ×32, first 2 shown]
	ds_read_b128 v[77:80], v76 offset:16496
	ds_read_b128 v[97:100], v49 offset:240
	;; [unrolled: 1-line block ×10, first 2 shown]
	s_waitcnt lgkmcnt(8)
	;;#ASMSTART
	v_dot2_f32_f16 v92, v77, v97, v92
	;;#ASMEND
	;;#ASMSTART
	v_dot2_f32_f16 v92, v78, v98, v92
	;;#ASMEND
	;;#ASMSTART
	v_dot2_f32_f16 v92, v79, v99, v92
	;;#ASMEND
	;;#ASMSTART
	v_dot2_f32_f16 v92, v80, v100, v92
	;;#ASMEND
	s_waitcnt lgkmcnt(7)
	;;#ASMSTART
	v_dot2_f32_f16 v90, v77, v101, v90
	;;#ASMEND
	;;#ASMSTART
	v_dot2_f32_f16 v90, v78, v102, v90
	;;#ASMEND
	;;#ASMSTART
	v_dot2_f32_f16 v90, v79, v103, v90
	;;#ASMEND
	;;#ASMSTART
	v_dot2_f32_f16 v90, v80, v104, v90
	;;#ASMEND
	;; [unrolled: 13-line block ×8, first 2 shown]
	;;#ASMSTART
	v_dot2_f32_f16 v95, v113, v97, v95
	;;#ASMEND
	;;#ASMSTART
	v_dot2_f32_f16 v95, v114, v98, v95
	;;#ASMEND
	;; [unrolled: 3-line block ×23, first 2 shown]
	v_mov_b32_e32 v17, v9
	;;#ASMSTART
	v_dot2_f32_f16 v87, v116, v124, v87
	;;#ASMEND
	;;#ASMSTART
	v_dot2_f32_f16 v85, v113, v125, v85
	;;#ASMEND
	v_mov_b32_e32 v16, v8
	v_mov_b32_e32 v15, v7
	;; [unrolled: 1-line block ×7, first 2 shown]
	v_cndmask_b32_e64 v96, 0, 1, s7
	;;#ASMSTART
	v_dot2_f32_f16 v85, v114, v126, v85
	;;#ASMEND
	;;#ASMSTART
	v_dot2_f32_f16 v85, v115, v127, v85
	;;#ASMEND
	;; [unrolled: 3-line block ×7, first 2 shown]
	s_and_saveexec_b32 s11, s6
	s_cbranch_execz .LBB52_52
; %bb.49:
	s_andn2_b32 vcc_lo, exec_lo, s7
	s_cbranch_vccnz .LBB52_51
; %bb.50:
	v_add_nc_u32_e32 v10, v18, v0
	v_ashrrev_i32_e32 v11, 31, v10
	v_lshlrev_b64 v[10:11], 1, v[10:11]
	v_add_co_u32 v10, vcc_lo, s46, v10
	v_add_co_ci_u32_e64 v11, null, s47, v11, vcc_lo
	global_load_ushort v10, v[10:11], off
	s_waitcnt vmcnt(0)
	v_cvt_f32_f16_e32 v10, v10
	v_mul_f32_e32 v75, v24, v10
.LBB52_51:
	v_add_f32_e32 v92, v92, v75
	v_max_f32_e32 v11, v2, v2
	v_add_f32_e32 v10, 0x40051340, v92
	v_max_f32_e32 v19, v11, v10
	v_mov_b32_e32 v17, v9
	v_mov_b32_e32 v10, v2
	v_mov_b32_e32 v16, v8
	v_mov_b32_e32 v15, v7
	v_mov_b32_e32 v14, v6
	v_mov_b32_e32 v13, v5
	v_mov_b32_e32 v12, v4
	v_mov_b32_e32 v11, v3
	v_mov_b32_e32 v10, v19
.LBB52_52:
	s_or_b32 exec_lo, exec_lo, s11
	v_add_nc_u32_e32 v49, 32, v0
	v_cmp_gt_i32_e64 s7, s10, v49
	s_and_saveexec_b32 s11, s7
	s_cbranch_execz .LBB52_57
; %bb.53:
	v_cmp_ne_u32_e32 vcc_lo, 1, v96
	s_cbranch_vccnz .LBB52_55
; %bb.54:
	v_ashrrev_i32_e32 v19, 31, v18
	v_add_co_u32 v18, vcc_lo, v18, v0
	v_add_co_ci_u32_e64 v19, null, 0, v19, vcc_lo
	v_lshlrev_b64 v[18:19], 1, v[18:19]
	v_add_co_u32 v18, vcc_lo, s46, v18
	v_add_co_ci_u32_e64 v19, null, s47, v19, vcc_lo
	global_load_ushort v18, v[18:19], off offset:64
	s_waitcnt vmcnt(0)
	v_cvt_f32_f16_e32 v18, v18
	v_mul_f32_e32 v18, v24, v18
	s_branch .LBB52_56
.LBB52_55:
	v_mov_b32_e32 v18, 0
.LBB52_56:
	v_add_f32_e32 v95, v95, v18
	v_max_f32_e32 v10, v10, v10
	v_add_f32_e32 v18, 0x40051340, v95
	v_max_f32_e32 v10, v10, v18
.LBB52_57:
	s_or_b32 exec_lo, exec_lo, s11
	v_xor_b32_e32 v80, 16, v20
	v_xor_b32_e32 v79, 8, v20
	;; [unrolled: 1-line block ×5, first 2 shown]
	v_cmp_gt_i32_e32 vcc_lo, 32, v80
	v_mul_hi_u32 v77, s28, v48
	v_cndmask_b32_e32 v18, v20, v80, vcc_lo
	v_cmp_gt_i32_e32 vcc_lo, 32, v79
	v_lshlrev_b32_e32 v97, 2, v18
	v_cndmask_b32_e32 v19, v20, v79, vcc_lo
	v_cmp_gt_i32_e32 vcc_lo, 32, v78
	ds_bpermute_b32 v18, v97, v10
	v_max_f32_e32 v10, v10, v10
	v_lshlrev_b32_e32 v98, 2, v19
	v_cndmask_b32_e32 v19, v20, v78, vcc_lo
	v_cmp_gt_i32_e32 vcc_lo, 32, v76
	v_lshlrev_b32_e32 v99, 2, v19
	v_cndmask_b32_e32 v19, v20, v76, vcc_lo
	v_cmp_gt_i32_e32 vcc_lo, 32, v75
	v_lshlrev_b32_e32 v100, 2, v19
	v_cndmask_b32_e32 v19, v20, v75, vcc_lo
	v_lshlrev_b32_e32 v101, 2, v19
	s_waitcnt lgkmcnt(0)
	v_max_f32_e32 v18, v18, v18
	v_max_f32_e32 v10, v10, v18
	ds_bpermute_b32 v18, v98, v10
	s_waitcnt lgkmcnt(0)
	v_max_f32_e32 v18, v18, v18
	v_max_f32_e32 v10, v10, v18
	ds_bpermute_b32 v18, v99, v10
	;; [unrolled: 4-line block ×3, first 2 shown]
	s_waitcnt lgkmcnt(0)
	v_max_f32_e32 v18, v18, v18
	v_max_f32_e32 v10, v10, v18
	v_add_nc_u32_e32 v18, v48, v77
	v_mov_b32_e32 v77, 32
	ds_bpermute_b32 v19, v101, v10
	v_lshrrev_b32_e32 v18, s29, v18
	v_mul_lo_u32 v18, v18, s30
	v_sub_nc_u32_e32 v18, v48, v18
	s_waitcnt lgkmcnt(0)
	v_max_f32_e32 v48, v19, v19
	v_mad_u64_u32 v[18:19], null, v18, s19, s[8:9]
	v_max_f32_e32 v10, v10, v48
	s_and_saveexec_b32 s11, s6
	s_cbranch_execz .LBB52_62
; %bb.58:
	v_cmp_ne_u32_e32 vcc_lo, 1, v96
	s_cbranch_vccnz .LBB52_60
; %bb.59:
	v_add_nc_u32_e32 v102, v18, v0
	v_ashrrev_i32_e32 v103, 31, v102
	v_lshlrev_b64 v[102:103], 1, v[102:103]
	v_add_co_u32 v102, vcc_lo, s46, v102
	v_add_co_ci_u32_e64 v103, null, s47, v103, vcc_lo
	global_load_ushort v19, v[102:103], off
	s_waitcnt vmcnt(0)
	v_cvt_f32_f16_e32 v19, v19
	v_mul_f32_e32 v19, v24, v19
	s_branch .LBB52_61
.LBB52_60:
	v_mov_b32_e32 v19, 0
.LBB52_61:
	v_add_f32_e32 v90, v90, v19
	v_max_f32_e32 v11, v11, v11
	v_add_f32_e32 v19, 0x40051340, v90
	v_max_f32_e32 v11, v11, v19
.LBB52_62:
	s_or_b32 exec_lo, exec_lo, s11
	s_and_saveexec_b32 s11, s7
	s_cbranch_execz .LBB52_67
; %bb.63:
	v_cmp_ne_u32_e32 vcc_lo, 1, v96
	s_cbranch_vccnz .LBB52_65
; %bb.64:
	v_ashrrev_i32_e32 v19, 31, v18
	v_add_co_u32 v18, vcc_lo, v18, v0
	v_add_co_ci_u32_e64 v19, null, 0, v19, vcc_lo
	v_lshlrev_b64 v[18:19], 1, v[18:19]
	v_add_co_u32 v18, vcc_lo, s46, v18
	v_add_co_ci_u32_e64 v19, null, s47, v19, vcc_lo
	global_load_ushort v18, v[18:19], off offset:64
	s_waitcnt vmcnt(0)
	v_cvt_f32_f16_e32 v18, v18
	v_mul_f32_e32 v18, v24, v18
	s_branch .LBB52_66
.LBB52_65:
	v_mov_b32_e32 v18, 0
.LBB52_66:
	v_add_f32_e32 v94, v94, v18
	v_max_f32_e32 v11, v11, v11
	v_add_f32_e32 v18, 0x40051340, v94
	v_max_f32_e32 v11, v11, v18
.LBB52_67:
	s_or_b32 exec_lo, exec_lo, s11
	ds_bpermute_b32 v18, v97, v11
	v_max_f32_e32 v11, v11, v11
	v_mul_hi_u32 v19, s28, v47
	s_waitcnt lgkmcnt(0)
	v_max_f32_e32 v18, v18, v18
	v_max_f32_e32 v11, v11, v18
	ds_bpermute_b32 v18, v98, v11
	s_waitcnt lgkmcnt(0)
	v_max_f32_e32 v18, v18, v18
	v_max_f32_e32 v11, v11, v18
	ds_bpermute_b32 v18, v99, v11
	;; [unrolled: 4-line block ×3, first 2 shown]
	s_waitcnt lgkmcnt(0)
	v_max_f32_e32 v18, v18, v18
	v_max_f32_e32 v11, v11, v18
	v_add_nc_u32_e32 v18, v47, v19
	ds_bpermute_b32 v19, v101, v11
	v_lshrrev_b32_e32 v18, s29, v18
	v_mul_lo_u32 v18, v18, s30
	v_sub_nc_u32_e32 v18, v47, v18
	s_waitcnt lgkmcnt(0)
	v_max_f32_e32 v47, v19, v19
	v_mad_u64_u32 v[18:19], null, v18, s19, s[8:9]
	v_max_f32_e32 v11, v11, v47
	s_and_saveexec_b32 s11, s6
	s_cbranch_execz .LBB52_72
; %bb.68:
	v_cmp_ne_u32_e32 vcc_lo, 1, v96
	s_cbranch_vccnz .LBB52_70
; %bb.69:
	v_add_nc_u32_e32 v47, v18, v0
	v_ashrrev_i32_e32 v48, 31, v47
	v_lshlrev_b64 v[47:48], 1, v[47:48]
	v_add_co_u32 v47, vcc_lo, s46, v47
	v_add_co_ci_u32_e64 v48, null, s47, v48, vcc_lo
	global_load_ushort v19, v[47:48], off
	s_waitcnt vmcnt(0)
	v_cvt_f32_f16_e32 v19, v19
	v_mul_f32_e32 v19, v24, v19
	s_branch .LBB52_71
.LBB52_70:
	v_mov_b32_e32 v19, 0
.LBB52_71:
	v_add_f32_e32 v88, v88, v19
	v_max_f32_e32 v12, v12, v12
	v_add_f32_e32 v19, 0x40051340, v88
	v_max_f32_e32 v12, v12, v19
.LBB52_72:
	s_or_b32 exec_lo, exec_lo, s11
	s_and_saveexec_b32 s11, s7
	s_cbranch_execz .LBB52_77
; %bb.73:
	v_cmp_ne_u32_e32 vcc_lo, 1, v96
	s_cbranch_vccnz .LBB52_75
; %bb.74:
	v_ashrrev_i32_e32 v19, 31, v18
	v_add_co_u32 v18, vcc_lo, v18, v0
	v_add_co_ci_u32_e64 v19, null, 0, v19, vcc_lo
	v_lshlrev_b64 v[18:19], 1, v[18:19]
	v_add_co_u32 v18, vcc_lo, s46, v18
	v_add_co_ci_u32_e64 v19, null, s47, v19, vcc_lo
	global_load_ushort v18, v[18:19], off offset:64
	s_waitcnt vmcnt(0)
	v_cvt_f32_f16_e32 v18, v18
	v_mul_f32_e32 v18, v24, v18
	s_branch .LBB52_76
.LBB52_75:
	v_mov_b32_e32 v18, 0
.LBB52_76:
	v_add_f32_e32 v93, v93, v18
	v_max_f32_e32 v12, v12, v12
	v_add_f32_e32 v18, 0x40051340, v93
	v_max_f32_e32 v12, v12, v18
.LBB52_77:
	s_or_b32 exec_lo, exec_lo, s11
	ds_bpermute_b32 v18, v97, v12
	v_max_f32_e32 v12, v12, v12
	v_mul_hi_u32 v19, s28, v46
	s_waitcnt lgkmcnt(0)
	v_max_f32_e32 v18, v18, v18
	v_max_f32_e32 v12, v12, v18
	ds_bpermute_b32 v18, v98, v12
	s_waitcnt lgkmcnt(0)
	v_max_f32_e32 v18, v18, v18
	v_max_f32_e32 v12, v12, v18
	ds_bpermute_b32 v18, v99, v12
	;; [unrolled: 4-line block ×3, first 2 shown]
	s_waitcnt lgkmcnt(0)
	v_max_f32_e32 v18, v18, v18
	v_max_f32_e32 v12, v12, v18
	v_add_nc_u32_e32 v18, v46, v19
	ds_bpermute_b32 v19, v101, v12
	v_lshrrev_b32_e32 v18, s29, v18
	v_mul_lo_u32 v18, v18, s30
	v_sub_nc_u32_e32 v18, v46, v18
	s_waitcnt lgkmcnt(0)
	v_max_f32_e32 v46, v19, v19
	v_mad_u64_u32 v[18:19], null, v18, s19, s[8:9]
	v_max_f32_e32 v12, v12, v46
	s_and_saveexec_b32 s11, s6
	s_cbranch_execz .LBB52_82
; %bb.78:
	v_cmp_ne_u32_e32 vcc_lo, 1, v96
	s_cbranch_vccnz .LBB52_80
; %bb.79:
	v_add_nc_u32_e32 v46, v18, v0
	v_ashrrev_i32_e32 v47, 31, v46
	v_lshlrev_b64 v[46:47], 1, v[46:47]
	v_add_co_u32 v46, vcc_lo, s46, v46
	v_add_co_ci_u32_e64 v47, null, s47, v47, vcc_lo
	global_load_ushort v19, v[46:47], off
	s_waitcnt vmcnt(0)
	v_cvt_f32_f16_e32 v19, v19
	v_mul_f32_e32 v19, v24, v19
	s_branch .LBB52_81
.LBB52_80:
	v_mov_b32_e32 v19, 0
.LBB52_81:
	v_add_f32_e32 v86, v86, v19
	v_max_f32_e32 v13, v13, v13
	v_add_f32_e32 v19, 0x40051340, v86
	v_max_f32_e32 v13, v13, v19
.LBB52_82:
	s_or_b32 exec_lo, exec_lo, s11
	s_and_saveexec_b32 s11, s7
	s_cbranch_execz .LBB52_87
; %bb.83:
	v_cmp_ne_u32_e32 vcc_lo, 1, v96
	s_cbranch_vccnz .LBB52_85
; %bb.84:
	v_ashrrev_i32_e32 v19, 31, v18
	v_add_co_u32 v18, vcc_lo, v18, v0
	v_add_co_ci_u32_e64 v19, null, 0, v19, vcc_lo
	v_lshlrev_b64 v[18:19], 1, v[18:19]
	v_add_co_u32 v18, vcc_lo, s46, v18
	v_add_co_ci_u32_e64 v19, null, s47, v19, vcc_lo
	global_load_ushort v18, v[18:19], off offset:64
	s_waitcnt vmcnt(0)
	v_cvt_f32_f16_e32 v18, v18
	v_mul_f32_e32 v18, v24, v18
	s_branch .LBB52_86
.LBB52_85:
	v_mov_b32_e32 v18, 0
.LBB52_86:
	v_add_f32_e32 v91, v91, v18
	v_max_f32_e32 v13, v13, v13
	v_add_f32_e32 v18, 0x40051340, v91
	v_max_f32_e32 v13, v13, v18
.LBB52_87:
	s_or_b32 exec_lo, exec_lo, s11
	ds_bpermute_b32 v18, v97, v13
	v_max_f32_e32 v13, v13, v13
	v_mul_hi_u32 v19, s28, v45
	s_waitcnt lgkmcnt(0)
	v_max_f32_e32 v18, v18, v18
	v_max_f32_e32 v13, v13, v18
	ds_bpermute_b32 v18, v98, v13
	s_waitcnt lgkmcnt(0)
	v_max_f32_e32 v18, v18, v18
	v_max_f32_e32 v13, v13, v18
	ds_bpermute_b32 v18, v99, v13
	;; [unrolled: 4-line block ×3, first 2 shown]
	s_waitcnt lgkmcnt(0)
	v_max_f32_e32 v18, v18, v18
	v_max_f32_e32 v13, v13, v18
	v_add_nc_u32_e32 v18, v45, v19
	ds_bpermute_b32 v19, v101, v13
	v_lshrrev_b32_e32 v18, s29, v18
	v_mul_lo_u32 v18, v18, s30
	v_sub_nc_u32_e32 v18, v45, v18
	s_waitcnt lgkmcnt(0)
	v_max_f32_e32 v45, v19, v19
	v_mad_u64_u32 v[18:19], null, v18, s19, s[8:9]
	v_max_f32_e32 v13, v13, v45
	s_and_saveexec_b32 s11, s6
	s_cbranch_execz .LBB52_92
; %bb.88:
	v_cmp_ne_u32_e32 vcc_lo, 1, v96
	s_cbranch_vccnz .LBB52_90
; %bb.89:
	v_add_nc_u32_e32 v45, v18, v0
	v_ashrrev_i32_e32 v46, 31, v45
	v_lshlrev_b64 v[45:46], 1, v[45:46]
	v_add_co_u32 v45, vcc_lo, s46, v45
	v_add_co_ci_u32_e64 v46, null, s47, v46, vcc_lo
	global_load_ushort v19, v[45:46], off
	s_waitcnt vmcnt(0)
	v_cvt_f32_f16_e32 v19, v19
	v_mul_f32_e32 v19, v24, v19
	s_branch .LBB52_91
.LBB52_90:
	v_mov_b32_e32 v19, 0
.LBB52_91:
	v_add_f32_e32 v84, v84, v19
	v_max_f32_e32 v14, v14, v14
	v_add_f32_e32 v19, 0x40051340, v84
	v_max_f32_e32 v14, v14, v19
.LBB52_92:
	s_or_b32 exec_lo, exec_lo, s11
	s_and_saveexec_b32 s11, s7
	s_cbranch_execz .LBB52_97
; %bb.93:
	v_cmp_ne_u32_e32 vcc_lo, 1, v96
	s_cbranch_vccnz .LBB52_95
; %bb.94:
	v_ashrrev_i32_e32 v19, 31, v18
	v_add_co_u32 v18, vcc_lo, v18, v0
	v_add_co_ci_u32_e64 v19, null, 0, v19, vcc_lo
	v_lshlrev_b64 v[18:19], 1, v[18:19]
	v_add_co_u32 v18, vcc_lo, s46, v18
	v_add_co_ci_u32_e64 v19, null, s47, v19, vcc_lo
	global_load_ushort v18, v[18:19], off offset:64
	s_waitcnt vmcnt(0)
	v_cvt_f32_f16_e32 v18, v18
	v_mul_f32_e32 v18, v24, v18
	s_branch .LBB52_96
.LBB52_95:
	v_mov_b32_e32 v18, 0
.LBB52_96:
	v_add_f32_e32 v89, v89, v18
	v_max_f32_e32 v14, v14, v14
	v_add_f32_e32 v18, 0x40051340, v89
	v_max_f32_e32 v14, v14, v18
.LBB52_97:
	s_or_b32 exec_lo, exec_lo, s11
	ds_bpermute_b32 v18, v97, v14
	v_max_f32_e32 v14, v14, v14
	v_mul_hi_u32 v19, s28, v44
	s_waitcnt lgkmcnt(0)
	v_max_f32_e32 v18, v18, v18
	v_max_f32_e32 v14, v14, v18
	ds_bpermute_b32 v18, v98, v14
	s_waitcnt lgkmcnt(0)
	v_max_f32_e32 v18, v18, v18
	v_max_f32_e32 v14, v14, v18
	ds_bpermute_b32 v18, v99, v14
	;; [unrolled: 4-line block ×3, first 2 shown]
	s_waitcnt lgkmcnt(0)
	v_max_f32_e32 v18, v18, v18
	v_max_f32_e32 v14, v14, v18
	v_add_nc_u32_e32 v18, v44, v19
	ds_bpermute_b32 v19, v101, v14
	v_lshrrev_b32_e32 v18, s29, v18
	v_mul_lo_u32 v18, v18, s30
	v_sub_nc_u32_e32 v18, v44, v18
	s_waitcnt lgkmcnt(0)
	v_max_f32_e32 v44, v19, v19
	v_mad_u64_u32 v[18:19], null, v18, s19, s[8:9]
	v_max_f32_e32 v14, v14, v44
	s_and_saveexec_b32 s11, s6
	s_cbranch_execz .LBB52_102
; %bb.98:
	v_cmp_ne_u32_e32 vcc_lo, 1, v96
	s_cbranch_vccnz .LBB52_100
; %bb.99:
	v_add_nc_u32_e32 v44, v18, v0
	v_ashrrev_i32_e32 v45, 31, v44
	v_lshlrev_b64 v[44:45], 1, v[44:45]
	v_add_co_u32 v44, vcc_lo, s46, v44
	v_add_co_ci_u32_e64 v45, null, s47, v45, vcc_lo
	global_load_ushort v19, v[44:45], off
	s_waitcnt vmcnt(0)
	v_cvt_f32_f16_e32 v19, v19
	v_mul_f32_e32 v19, v24, v19
	s_branch .LBB52_101
.LBB52_100:
	v_mov_b32_e32 v19, 0
.LBB52_101:
	v_add_f32_e32 v82, v82, v19
	v_max_f32_e32 v15, v15, v15
	v_add_f32_e32 v19, 0x40051340, v82
	v_max_f32_e32 v15, v15, v19
.LBB52_102:
	s_or_b32 exec_lo, exec_lo, s11
	s_and_saveexec_b32 s11, s7
	s_cbranch_execz .LBB52_107
; %bb.103:
	v_cmp_ne_u32_e32 vcc_lo, 1, v96
	s_cbranch_vccnz .LBB52_105
; %bb.104:
	v_ashrrev_i32_e32 v19, 31, v18
	v_add_co_u32 v18, vcc_lo, v18, v0
	v_add_co_ci_u32_e64 v19, null, 0, v19, vcc_lo
	v_lshlrev_b64 v[18:19], 1, v[18:19]
	v_add_co_u32 v18, vcc_lo, s46, v18
	v_add_co_ci_u32_e64 v19, null, s47, v19, vcc_lo
	global_load_ushort v18, v[18:19], off offset:64
	s_waitcnt vmcnt(0)
	v_cvt_f32_f16_e32 v18, v18
	v_mul_f32_e32 v18, v24, v18
	s_branch .LBB52_106
.LBB52_105:
	v_mov_b32_e32 v18, 0
.LBB52_106:
	v_add_f32_e32 v87, v87, v18
	v_max_f32_e32 v15, v15, v15
	v_add_f32_e32 v18, 0x40051340, v87
	v_max_f32_e32 v15, v15, v18
.LBB52_107:
	s_or_b32 exec_lo, exec_lo, s11
	ds_bpermute_b32 v18, v97, v15
	v_max_f32_e32 v15, v15, v15
	v_mul_hi_u32 v19, s28, v43
	s_waitcnt lgkmcnt(0)
	v_max_f32_e32 v18, v18, v18
	v_max_f32_e32 v15, v15, v18
	ds_bpermute_b32 v18, v98, v15
	s_waitcnt lgkmcnt(0)
	v_max_f32_e32 v18, v18, v18
	v_max_f32_e32 v15, v15, v18
	ds_bpermute_b32 v18, v99, v15
	;; [unrolled: 4-line block ×3, first 2 shown]
	s_waitcnt lgkmcnt(0)
	v_max_f32_e32 v18, v18, v18
	v_max_f32_e32 v15, v15, v18
	v_add_nc_u32_e32 v18, v43, v19
	ds_bpermute_b32 v19, v101, v15
	v_lshrrev_b32_e32 v18, s29, v18
	v_mul_lo_u32 v18, v18, s30
	v_sub_nc_u32_e32 v18, v43, v18
	s_waitcnt lgkmcnt(0)
	v_max_f32_e32 v43, v19, v19
	v_mad_u64_u32 v[18:19], null, v18, s19, s[8:9]
	v_max_f32_e32 v15, v15, v43
	s_and_saveexec_b32 s11, s6
	s_cbranch_execz .LBB52_112
; %bb.108:
	v_cmp_ne_u32_e32 vcc_lo, 1, v96
	s_cbranch_vccnz .LBB52_110
; %bb.109:
	v_add_nc_u32_e32 v43, v18, v0
	v_ashrrev_i32_e32 v44, 31, v43
	v_lshlrev_b64 v[43:44], 1, v[43:44]
	v_add_co_u32 v43, vcc_lo, s46, v43
	v_add_co_ci_u32_e64 v44, null, s47, v44, vcc_lo
	global_load_ushort v19, v[43:44], off
	s_waitcnt vmcnt(0)
	v_cvt_f32_f16_e32 v19, v19
	v_mul_f32_e32 v19, v24, v19
	s_branch .LBB52_111
.LBB52_110:
	v_mov_b32_e32 v19, 0
.LBB52_111:
	v_add_f32_e32 v81, v81, v19
	v_max_f32_e32 v16, v16, v16
	v_add_f32_e32 v19, 0x40051340, v81
	v_max_f32_e32 v16, v16, v19
.LBB52_112:
	s_or_b32 exec_lo, exec_lo, s11
	s_and_saveexec_b32 s11, s7
	s_cbranch_execz .LBB52_117
; %bb.113:
	v_cmp_ne_u32_e32 vcc_lo, 1, v96
	s_cbranch_vccnz .LBB52_115
; %bb.114:
	v_ashrrev_i32_e32 v19, 31, v18
	v_add_co_u32 v18, vcc_lo, v18, v0
	v_add_co_ci_u32_e64 v19, null, 0, v19, vcc_lo
	v_lshlrev_b64 v[18:19], 1, v[18:19]
	v_add_co_u32 v18, vcc_lo, s46, v18
	v_add_co_ci_u32_e64 v19, null, s47, v19, vcc_lo
	global_load_ushort v18, v[18:19], off offset:64
	s_waitcnt vmcnt(0)
	v_cvt_f32_f16_e32 v18, v18
	v_mul_f32_e32 v18, v24, v18
	s_branch .LBB52_116
.LBB52_115:
	v_mov_b32_e32 v18, 0
.LBB52_116:
	v_add_f32_e32 v85, v85, v18
	v_max_f32_e32 v16, v16, v16
	v_add_f32_e32 v18, 0x40051340, v85
	v_max_f32_e32 v16, v16, v18
.LBB52_117:
	s_or_b32 exec_lo, exec_lo, s11
	ds_bpermute_b32 v18, v97, v16
	v_max_f32_e32 v16, v16, v16
	v_mul_hi_u32 v19, s28, v25
	s_waitcnt lgkmcnt(0)
	v_max_f32_e32 v18, v18, v18
	v_max_f32_e32 v16, v16, v18
	ds_bpermute_b32 v18, v98, v16
	s_waitcnt lgkmcnt(0)
	v_max_f32_e32 v18, v18, v18
	v_max_f32_e32 v16, v16, v18
	ds_bpermute_b32 v18, v99, v16
	;; [unrolled: 4-line block ×3, first 2 shown]
	s_waitcnt lgkmcnt(0)
	v_max_f32_e32 v18, v18, v18
	v_max_f32_e32 v16, v16, v18
	v_add_nc_u32_e32 v18, v25, v19
	ds_bpermute_b32 v19, v101, v16
	v_lshrrev_b32_e32 v18, s29, v18
	v_mul_lo_u32 v18, v18, s30
	v_sub_nc_u32_e32 v18, v25, v18
	s_waitcnt lgkmcnt(0)
	v_max_f32_e32 v25, v19, v19
	v_mad_u64_u32 v[18:19], null, v18, s19, s[8:9]
	v_max_f32_e32 v16, v16, v25
	s_and_saveexec_b32 s11, s6
	s_cbranch_execz .LBB52_122
; %bb.118:
	v_cmp_ne_u32_e32 vcc_lo, 1, v96
	s_cbranch_vccnz .LBB52_120
; %bb.119:
	v_add_nc_u32_e32 v43, v18, v0
	v_ashrrev_i32_e32 v44, 31, v43
	v_lshlrev_b64 v[43:44], 1, v[43:44]
	v_add_co_u32 v43, vcc_lo, s46, v43
	v_add_co_ci_u32_e64 v44, null, s47, v44, vcc_lo
	global_load_ushort v19, v[43:44], off
	s_waitcnt vmcnt(0)
	v_cvt_f32_f16_e32 v19, v19
	v_mul_f32_e32 v19, v24, v19
	s_branch .LBB52_121
.LBB52_120:
	v_mov_b32_e32 v19, 0
.LBB52_121:
	v_add_f32_e32 v74, v74, v19
	v_max_f32_e32 v17, v17, v17
	v_add_f32_e32 v19, 0x40051340, v74
	v_max_f32_e32 v17, v17, v19
.LBB52_122:
	s_or_b32 exec_lo, exec_lo, s11
	s_and_saveexec_b32 s6, s7
	s_cbranch_execz .LBB52_127
; %bb.123:
	v_cmp_ne_u32_e32 vcc_lo, 1, v96
	s_cbranch_vccnz .LBB52_125
; %bb.124:
	v_ashrrev_i32_e32 v19, 31, v18
	v_add_co_u32 v18, vcc_lo, v18, v0
	v_add_co_ci_u32_e64 v19, null, 0, v19, vcc_lo
	v_lshlrev_b64 v[18:19], 1, v[18:19]
	v_add_co_u32 v18, vcc_lo, s46, v18
	v_add_co_ci_u32_e64 v19, null, s47, v19, vcc_lo
	global_load_ushort v18, v[18:19], off offset:64
	s_waitcnt vmcnt(0)
	v_cvt_f32_f16_e32 v18, v18
	v_mul_f32_e32 v18, v24, v18
	s_branch .LBB52_126
.LBB52_125:
	v_mov_b32_e32 v18, 0
.LBB52_126:
	v_add_f32_e32 v83, v83, v18
	v_max_f32_e32 v17, v17, v17
	v_add_f32_e32 v18, 0x40051340, v83
	v_max_f32_e32 v17, v17, v18
.LBB52_127:
	s_or_b32 exec_lo, exec_lo, s6
	ds_bpermute_b32 v18, v97, v17
	v_max_f32_e32 v17, v17, v17
	v_cmp_gt_u32_e32 vcc_lo, s10, v0
	v_sub_f32_e32 v2, v2, v10
	v_lshlrev_b32_e32 v19, 10, v1
	s_waitcnt lgkmcnt(0)
	s_barrier
	buffer_gl0_inv
	s_mul_hi_i32 s15, s8, s12
	s_mul_i32 s14, s8, s12
	s_lshl_b64 s[14:15], s[14:15], 2
	s_add_u32 s11, s9, s14
	s_addc_u32 s14, s13, s15
	v_max_f32_e32 v18, v18, v18
	v_max_f32_e32 v17, v17, v18
	ds_bpermute_b32 v18, v98, v17
	s_waitcnt lgkmcnt(0)
	v_max_f32_e32 v18, v18, v18
	v_max_f32_e32 v17, v17, v18
	ds_bpermute_b32 v18, v99, v17
	s_waitcnt lgkmcnt(0)
	;; [unrolled: 4-line block ×4, first 2 shown]
	v_max_f32_e32 v18, v18, v18
	v_max_f32_e32 v17, v17, v18
	v_sub_f32_e32 v18, v92, v10
	v_mul_f32_e32 v24, 0x3fb8aa3b, v18
	v_cmp_ngt_f32_e64 s6, 0xc2ce8ed0, v18
	v_fma_f32 v25, 0x3fb8aa3b, v18, -v24
	v_rndne_f32_e32 v43, v24
	v_fmac_f32_e32 v25, 0x32a5705f, v18
	v_sub_f32_e32 v24, v24, v43
	v_add_f32_e32 v24, v24, v25
	v_cvt_i32_f32_e32 v25, v43
	v_exp_f32_e32 v24, v24
	v_ldexp_f32 v24, v24, v25
	v_cndmask_b32_e64 v24, 0, v24, s6
	v_cmp_nlt_f32_e64 s6, 0x42b17218, v18
	v_cndmask_b32_e64 v18, 0x7f800000, v24, s6
	v_sub_f32_e32 v24, v95, v10
	v_cmp_gt_u32_e64 s6, s10, v49
	v_cndmask_b32_e32 v18, 0, v18, vcc_lo
	v_mul_f32_e32 v25, 0x3fb8aa3b, v24
	v_cmp_ngt_f32_e64 s7, 0xc2ce8ed0, v24
	v_cvt_f16_f32_e32 v44, v18
	v_fma_f32 v43, 0x3fb8aa3b, v24, -v25
	v_rndne_f32_e32 v45, v25
	v_fmac_f32_e32 v43, 0x32a5705f, v24
	v_sub_f32_e32 v25, v25, v45
	v_add_f32_e32 v25, v25, v43
	v_cvt_i32_f32_e32 v43, v45
	v_exp_f32_e32 v25, v25
	v_ldexp_f32 v25, v25, v43
	v_cndmask_b32_e64 v25, 0, v25, s7
	v_cmp_nlt_f32_e64 s7, 0x42b17218, v24
	v_cndmask_b32_e64 v24, 0x7f800000, v25, s7
	v_cmp_ngt_f32_e64 s7, 0xc2ce8ed0, v2
	v_cndmask_b32_e64 v24, 0, v24, s6
	v_add_f32_e32 v18, v18, v24
	v_cvt_f16_f32_e32 v48, v24
	v_mul_f32_e32 v24, 0x3fb8aa3b, v2
	v_fma_f32 v25, 0x3fb8aa3b, v2, -v24
	v_rndne_f32_e32 v43, v24
	v_fmac_f32_e32 v25, 0x32a5705f, v2
	v_sub_f32_e32 v24, v24, v43
	v_add_f32_e32 v24, v24, v25
	v_cvt_i32_f32_e32 v25, v43
	v_exp_f32_e32 v24, v24
	v_ldexp_f32 v24, v24, v25
	v_cndmask_b32_e64 v24, 0, v24, s7
	v_cmp_nlt_f32_e64 s7, 0x42b17218, v2
	v_cndmask_b32_e64 v2, 0x7f800000, v24, s7
	v_mov_b32_e32 v24, 0x10001
	v_fmac_f32_e32 v18, v73, v2
	v_cvt_f16_f32_e32 v2, v2
	v_mul_u32_u24_sdwa v2, v2, v24 dst_sel:DWORD dst_unused:UNUSED_PAD src0_sel:WORD_0 src1_sel:DWORD
	v_pk_mul_f16 v73, v64, v2
	v_pk_mul_f16 v64, v65, v2
	v_sub_f32_e32 v2, v3, v11
	v_sub_f32_e32 v3, v90, v11
	v_mul_f32_e32 v25, 0x3fb8aa3b, v3
	v_cmp_ngt_f32_e64 s7, 0xc2ce8ed0, v3
	v_fma_f32 v43, 0x3fb8aa3b, v3, -v25
	v_rndne_f32_e32 v45, v25
	v_fmac_f32_e32 v43, 0x32a5705f, v3
	v_sub_f32_e32 v25, v25, v45
	v_add_f32_e32 v25, v25, v43
	v_cvt_i32_f32_e32 v43, v45
	v_exp_f32_e32 v25, v25
	v_ldexp_f32 v25, v25, v43
	v_cndmask_b32_e64 v25, 0, v25, s7
	v_cmp_nlt_f32_e64 s7, 0x42b17218, v3
	v_cndmask_b32_e64 v3, 0x7f800000, v25, s7
	v_sub_f32_e32 v25, v94, v11
	v_cndmask_b32_e32 v3, 0, v3, vcc_lo
	v_mul_f32_e32 v43, 0x3fb8aa3b, v25
	v_cmp_ngt_f32_e64 s7, 0xc2ce8ed0, v25
	v_cvt_f16_f32_e32 v90, v3
	v_fma_f32 v45, 0x3fb8aa3b, v25, -v43
	v_rndne_f32_e32 v46, v43
	v_pack_b32_f16 v44, v44, v90
	v_fmac_f32_e32 v45, 0x32a5705f, v25
	v_sub_f32_e32 v43, v43, v46
	v_add_f32_e32 v43, v43, v45
	v_cvt_i32_f32_e32 v45, v46
	v_exp_f32_e32 v43, v43
	v_ldexp_f32 v43, v43, v45
	v_cndmask_b32_e64 v43, 0, v43, s7
	v_cmp_nlt_f32_e64 s7, 0x42b17218, v25
	v_cndmask_b32_e64 v25, 0x7f800000, v43, s7
	v_cmp_ngt_f32_e64 s7, 0xc2ce8ed0, v2
	v_cndmask_b32_e64 v43, 0, v25, s6
	v_add_f32_e32 v25, v3, v43
	v_cvt_f16_f32_e32 v3, v43
	v_mul_f32_e32 v43, 0x3fb8aa3b, v2
	v_fma_f32 v45, 0x3fb8aa3b, v2, -v43
	v_rndne_f32_e32 v46, v43
	v_fmac_f32_e32 v45, 0x32a5705f, v2
	v_sub_f32_e32 v43, v43, v46
	v_add_f32_e32 v43, v43, v45
	v_cvt_i32_f32_e32 v45, v46
	v_exp_f32_e32 v43, v43
	v_ldexp_f32 v43, v43, v45
	v_cndmask_b32_e64 v43, 0, v43, s7
	v_cmp_nlt_f32_e64 s7, 0x42b17218, v2
	v_cndmask_b32_e64 v2, 0x7f800000, v43, s7
	v_fmac_f32_e32 v25, v72, v2
	v_cvt_f16_f32_e32 v2, v2
	v_mul_u32_u24_sdwa v2, v2, v24 dst_sel:DWORD dst_unused:UNUSED_PAD src0_sel:WORD_0 src1_sel:DWORD
	v_pk_mul_f16 v65, v62, v2
	v_pk_mul_f16 v62, v63, v2
	v_sub_f32_e32 v2, v4, v12
	v_sub_f32_e32 v4, v88, v12
	v_mul_f32_e32 v43, 0x3fb8aa3b, v4
	v_cmp_ngt_f32_e64 s7, 0xc2ce8ed0, v4
	v_fma_f32 v45, 0x3fb8aa3b, v4, -v43
	v_rndne_f32_e32 v46, v43
	v_fmac_f32_e32 v45, 0x32a5705f, v4
	v_sub_f32_e32 v43, v43, v46
	v_add_f32_e32 v43, v43, v45
	v_cvt_i32_f32_e32 v45, v46
	v_exp_f32_e32 v43, v43
	v_ldexp_f32 v43, v43, v45
	v_cndmask_b32_e64 v43, 0, v43, s7
	v_cmp_nlt_f32_e64 s7, 0x42b17218, v4
	v_cndmask_b32_e64 v4, 0x7f800000, v43, s7
	v_sub_f32_e32 v43, v93, v12
	v_cndmask_b32_e32 v4, 0, v4, vcc_lo
	v_mul_f32_e32 v46, 0x3fb8aa3b, v43
	v_cmp_ngt_f32_e64 s7, 0xc2ce8ed0, v43
	v_cvt_f16_f32_e32 v45, v4
	v_fma_f32 v47, 0x3fb8aa3b, v43, -v46
	v_rndne_f32_e32 v63, v46
	v_fmac_f32_e32 v47, 0x32a5705f, v43
	v_sub_f32_e32 v46, v46, v63
	v_add_f32_e32 v46, v46, v47
	v_cvt_i32_f32_e32 v47, v63
	v_exp_f32_e32 v46, v46
	v_ldexp_f32 v46, v46, v47
	v_cndmask_b32_e64 v46, 0, v46, s7
	v_cmp_nlt_f32_e64 s7, 0x42b17218, v43
	v_cndmask_b32_e64 v43, 0x7f800000, v46, s7
	v_cmp_ngt_f32_e64 s7, 0xc2ce8ed0, v2
	v_cndmask_b32_e64 v46, 0, v43, s6
	v_add_f32_e32 v43, v4, v46
	v_cvt_f16_f32_e32 v4, v46
	v_mul_f32_e32 v46, 0x3fb8aa3b, v2
	v_fma_f32 v47, 0x3fb8aa3b, v2, -v46
	v_rndne_f32_e32 v63, v46
	v_fmac_f32_e32 v47, 0x32a5705f, v2
	v_sub_f32_e32 v46, v46, v63
	v_add_f32_e32 v46, v46, v47
	v_cvt_i32_f32_e32 v47, v63
	v_exp_f32_e32 v46, v46
	v_ldexp_f32 v46, v46, v47
	v_cndmask_b32_e64 v46, 0, v46, s7
	v_cmp_nlt_f32_e64 s7, 0x42b17218, v2
	v_cndmask_b32_e64 v2, 0x7f800000, v46, s7
	v_fmac_f32_e32 v43, v71, v2
	v_cvt_f16_f32_e32 v2, v2
	v_mul_u32_u24_sdwa v2, v2, v24 dst_sel:DWORD dst_unused:UNUSED_PAD src0_sel:WORD_0 src1_sel:DWORD
	v_pk_mul_f16 v63, v60, v2
	v_pk_mul_f16 v60, v61, v2
	v_sub_f32_e32 v2, v5, v13
	v_sub_f32_e32 v5, v86, v13
	v_mul_f32_e32 v46, 0x3fb8aa3b, v5
	v_cmp_ngt_f32_e64 s7, 0xc2ce8ed0, v5
	v_fma_f32 v47, 0x3fb8aa3b, v5, -v46
	v_rndne_f32_e32 v61, v46
	v_fmac_f32_e32 v47, 0x32a5705f, v5
	v_sub_f32_e32 v46, v46, v61
	v_add_f32_e32 v46, v46, v47
	v_cvt_i32_f32_e32 v47, v61
	v_exp_f32_e32 v46, v46
	v_ldexp_f32 v46, v46, v47
	v_cndmask_b32_e64 v46, 0, v46, s7
	v_cmp_nlt_f32_e64 s7, 0x42b17218, v5
	v_cndmask_b32_e64 v5, 0x7f800000, v46, s7
	v_sub_f32_e32 v46, v91, v13
	v_cndmask_b32_e32 v5, 0, v5, vcc_lo
	v_mul_f32_e32 v47, 0x3fb8aa3b, v46
	v_cmp_ngt_f32_e64 s7, 0xc2ce8ed0, v46
	v_cvt_f16_f32_e32 v71, v5
	v_fma_f32 v61, 0x3fb8aa3b, v46, -v47
	v_rndne_f32_e32 v72, v47
	v_pack_b32_f16 v45, v45, v71
	v_fmac_f32_e32 v61, 0x32a5705f, v46
	v_sub_f32_e32 v47, v47, v72
	v_add_f32_e32 v47, v47, v61
	v_cvt_i32_f32_e32 v61, v72
	v_exp_f32_e32 v47, v47
	v_ldexp_f32 v47, v47, v61
	v_cndmask_b32_e64 v47, 0, v47, s7
	v_cmp_nlt_f32_e64 s7, 0x42b17218, v46
	v_cndmask_b32_e64 v46, 0x7f800000, v47, s7
	v_cmp_ngt_f32_e64 s7, 0xc2ce8ed0, v2
	v_cndmask_b32_e64 v46, 0, v46, s6
	v_add_f32_e32 v5, v5, v46
	v_cvt_f16_f32_e32 v72, v46
	v_mul_f32_e32 v46, 0x3fb8aa3b, v2
	v_fma_f32 v47, 0x3fb8aa3b, v2, -v46
	v_rndne_f32_e32 v61, v46
	v_fmac_f32_e32 v47, 0x32a5705f, v2
	v_sub_f32_e32 v46, v46, v61
	v_add_f32_e32 v46, v46, v47
	v_cvt_i32_f32_e32 v47, v61
	v_exp_f32_e32 v46, v46
	v_ldexp_f32 v46, v46, v47
	v_cndmask_b32_e64 v46, 0, v46, s7
	v_cmp_nlt_f32_e64 s7, 0x42b17218, v2
	v_cndmask_b32_e64 v2, 0x7f800000, v46, s7
	v_fmac_f32_e32 v5, v70, v2
	v_cvt_f16_f32_e32 v2, v2
	v_mul_u32_u24_sdwa v2, v2, v24 dst_sel:DWORD dst_unused:UNUSED_PAD src0_sel:WORD_0 src1_sel:DWORD
	v_pk_mul_f16 v61, v58, v2
	v_pk_mul_f16 v58, v59, v2
	v_sub_f32_e32 v2, v6, v14
	v_sub_f32_e32 v6, v84, v14
	v_mul_f32_e32 v46, 0x3fb8aa3b, v6
	v_cmp_ngt_f32_e64 s7, 0xc2ce8ed0, v6
	v_fma_f32 v47, 0x3fb8aa3b, v6, -v46
	v_rndne_f32_e32 v59, v46
	v_fmac_f32_e32 v47, 0x32a5705f, v6
	v_sub_f32_e32 v46, v46, v59
	v_add_f32_e32 v46, v46, v47
	v_cvt_i32_f32_e32 v47, v59
	v_exp_f32_e32 v46, v46
	v_ldexp_f32 v46, v46, v47
	v_sub_f32_e32 v47, v89, v14
	v_cndmask_b32_e64 v46, 0, v46, s7
	v_mul_f32_e32 v59, 0x3fb8aa3b, v47
	v_cmp_nlt_f32_e64 s7, 0x42b17218, v6
	v_fma_f32 v70, 0x3fb8aa3b, v47, -v59
	v_rndne_f32_e32 v84, v59
	v_cndmask_b32_e64 v6, 0x7f800000, v46, s7
	v_cmp_ngt_f32_e64 s7, 0xc2ce8ed0, v47
	v_fmac_f32_e32 v70, 0x32a5705f, v47
	v_sub_f32_e32 v59, v59, v84
	v_cndmask_b32_e32 v6, 0, v6, vcc_lo
	v_add_f32_e32 v59, v59, v70
	v_cvt_i32_f32_e32 v70, v84
	v_cvt_f16_f32_e32 v46, v6
	v_exp_f32_e32 v59, v59
	v_ldexp_f32 v59, v59, v70
	v_cndmask_b32_e64 v59, 0, v59, s7
	v_cmp_nlt_f32_e64 s7, 0x42b17218, v47
	v_cndmask_b32_e64 v47, 0x7f800000, v59, s7
	v_cmp_ngt_f32_e64 s7, 0xc2ce8ed0, v2
	v_cndmask_b32_e64 v47, 0, v47, s6
	v_add_f32_e32 v6, v6, v47
	v_cvt_f16_f32_e32 v70, v47
	v_mul_f32_e32 v47, 0x3fb8aa3b, v2
	v_fma_f32 v59, 0x3fb8aa3b, v2, -v47
	v_rndne_f32_e32 v84, v47
	v_fmac_f32_e32 v59, 0x32a5705f, v2
	v_sub_f32_e32 v47, v47, v84
	v_add_f32_e32 v47, v47, v59
	v_cvt_i32_f32_e32 v59, v84
	v_exp_f32_e32 v47, v47
	v_ldexp_f32 v47, v47, v59
	v_cndmask_b32_e64 v47, 0, v47, s7
	v_cmp_nlt_f32_e64 s7, 0x42b17218, v2
	v_cndmask_b32_e64 v2, 0x7f800000, v47, s7
	v_fmac_f32_e32 v6, v69, v2
	v_cvt_f16_f32_e32 v2, v2
	v_mul_u32_u24_sdwa v2, v2, v24 dst_sel:DWORD dst_unused:UNUSED_PAD src0_sel:WORD_0 src1_sel:DWORD
	v_pk_mul_f16 v59, v56, v2
	v_pk_mul_f16 v56, v57, v2
	v_sub_f32_e32 v2, v7, v15
	v_sub_f32_e32 v7, v82, v15
	v_mul_f32_e32 v47, 0x3fb8aa3b, v7
	v_cmp_ngt_f32_e64 s7, 0xc2ce8ed0, v7
	v_fma_f32 v57, 0x3fb8aa3b, v7, -v47
	v_rndne_f32_e32 v69, v47
	v_fmac_f32_e32 v57, 0x32a5705f, v7
	v_sub_f32_e32 v47, v47, v69
	v_add_f32_e32 v47, v47, v57
	v_cvt_i32_f32_e32 v57, v69
	v_exp_f32_e32 v47, v47
	v_ldexp_f32 v47, v47, v57
	v_cndmask_b32_e64 v47, 0, v47, s7
	v_cmp_nlt_f32_e64 s7, 0x42b17218, v7
	v_cndmask_b32_e64 v7, 0x7f800000, v47, s7
	v_sub_f32_e32 v47, v87, v15
	v_cndmask_b32_e32 v7, 0, v7, vcc_lo
	v_mul_f32_e32 v57, 0x3fb8aa3b, v47
	v_cmp_ngt_f32_e64 s7, 0xc2ce8ed0, v47
	v_cvt_f16_f32_e32 v69, v7
	v_fma_f32 v82, 0x3fb8aa3b, v47, -v57
	v_rndne_f32_e32 v84, v57
	v_pack_b32_f16 v46, v46, v69
	v_fmac_f32_e32 v82, 0x32a5705f, v47
	v_sub_f32_e32 v57, v57, v84
	v_add_f32_e32 v57, v57, v82
	v_cvt_i32_f32_e32 v82, v84
	v_exp_f32_e32 v57, v57
	v_ldexp_f32 v57, v57, v82
	v_cndmask_b32_e64 v57, 0, v57, s7
	v_cmp_nlt_f32_e64 s7, 0x42b17218, v47
	v_cndmask_b32_e64 v47, 0x7f800000, v57, s7
	v_cmp_ngt_f32_e64 s7, 0xc2ce8ed0, v2
	v_cndmask_b32_e64 v47, 0, v47, s6
	v_add_f32_e32 v7, v7, v47
	v_cvt_f16_f32_e32 v82, v47
	v_mul_f32_e32 v47, 0x3fb8aa3b, v2
	v_fma_f32 v57, 0x3fb8aa3b, v2, -v47
	v_rndne_f32_e32 v84, v47
	v_fmac_f32_e32 v57, 0x32a5705f, v2
	v_sub_f32_e32 v47, v47, v84
	v_add_f32_e32 v47, v47, v57
	v_cvt_i32_f32_e32 v57, v84
	v_exp_f32_e32 v47, v47
	v_ldexp_f32 v47, v47, v57
	v_cndmask_b32_e64 v47, 0, v47, s7
	v_cmp_nlt_f32_e64 s7, 0x42b17218, v2
	v_cndmask_b32_e64 v2, 0x7f800000, v47, s7
	v_fmac_f32_e32 v7, v68, v2
	v_cvt_f16_f32_e32 v2, v2
	v_mul_u32_u24_sdwa v2, v2, v24 dst_sel:DWORD dst_unused:UNUSED_PAD src0_sel:WORD_0 src1_sel:DWORD
	v_pk_mul_f16 v57, v54, v2
	v_pk_mul_f16 v54, v55, v2
	v_sub_f32_e32 v2, v8, v16
	v_sub_f32_e32 v8, v81, v16
	v_mul_f32_e32 v47, 0x3fb8aa3b, v8
	v_cmp_ngt_f32_e64 s7, 0xc2ce8ed0, v8
	v_fma_f32 v55, 0x3fb8aa3b, v8, -v47
	v_rndne_f32_e32 v68, v47
	v_fmac_f32_e32 v55, 0x32a5705f, v8
	v_sub_f32_e32 v47, v47, v68
	v_add_f32_e32 v47, v47, v55
	v_cvt_i32_f32_e32 v55, v68
	v_exp_f32_e32 v47, v47
	v_ldexp_f32 v47, v47, v55
	v_sub_f32_e32 v55, v85, v16
	v_cndmask_b32_e64 v47, 0, v47, s7
	v_mul_f32_e32 v68, 0x3fb8aa3b, v55
	v_cmp_nlt_f32_e64 s7, 0x42b17218, v8
	v_fma_f32 v81, 0x3fb8aa3b, v55, -v68
	v_rndne_f32_e32 v84, v68
	v_cndmask_b32_e64 v8, 0x7f800000, v47, s7
	v_cmp_ngt_f32_e64 s7, 0xc2ce8ed0, v55
	v_fmac_f32_e32 v81, 0x32a5705f, v55
	v_sub_f32_e32 v68, v68, v84
	v_cndmask_b32_e32 v8, 0, v8, vcc_lo
	v_add_f32_e32 v68, v68, v81
	v_cvt_i32_f32_e32 v81, v84
	v_cvt_f16_f32_e32 v47, v8
	v_exp_f32_e32 v68, v68
	v_ldexp_f32 v68, v68, v81
	v_cndmask_b32_e64 v68, 0, v68, s7
	v_cmp_nlt_f32_e64 s7, 0x42b17218, v55
	v_cndmask_b32_e64 v55, 0x7f800000, v68, s7
	v_cmp_ngt_f32_e64 s7, 0xc2ce8ed0, v2
	v_cndmask_b32_e64 v55, 0, v55, s6
	v_add_f32_e32 v8, v8, v55
	v_cvt_f16_f32_e32 v68, v55
	v_mul_f32_e32 v55, 0x3fb8aa3b, v2
	v_fma_f32 v81, 0x3fb8aa3b, v2, -v55
	v_rndne_f32_e32 v84, v55
	v_fmac_f32_e32 v81, 0x32a5705f, v2
	v_sub_f32_e32 v55, v55, v84
	v_add_f32_e32 v55, v55, v81
	v_cvt_i32_f32_e32 v81, v84
	v_exp_f32_e32 v55, v55
	v_ldexp_f32 v55, v55, v81
	v_cndmask_b32_e64 v55, 0, v55, s7
	v_cmp_nlt_f32_e64 s7, 0x42b17218, v2
	v_cndmask_b32_e64 v2, 0x7f800000, v55, s7
	v_fmac_f32_e32 v8, v67, v2
	v_cvt_f16_f32_e32 v2, v2
	v_mul_u32_u24_sdwa v2, v2, v24 dst_sel:DWORD dst_unused:UNUSED_PAD src0_sel:WORD_0 src1_sel:DWORD
	v_pk_mul_f16 v55, v52, v2
	v_pk_mul_f16 v52, v53, v2
	v_sub_f32_e32 v2, v9, v17
	v_sub_f32_e32 v9, v74, v17
	v_mul_f32_e32 v53, 0x3fb8aa3b, v9
	v_cmp_ngt_f32_e64 s7, 0xc2ce8ed0, v9
	v_fma_f32 v67, 0x3fb8aa3b, v9, -v53
	v_rndne_f32_e32 v74, v53
	v_fmac_f32_e32 v67, 0x32a5705f, v9
	v_sub_f32_e32 v53, v53, v74
	v_add_f32_e32 v53, v53, v67
	v_cvt_i32_f32_e32 v67, v74
	v_exp_f32_e32 v53, v53
	v_ldexp_f32 v53, v53, v67
	v_cndmask_b32_e64 v53, 0, v53, s7
	v_cmp_nlt_f32_e64 s7, 0x42b17218, v9
	v_cndmask_b32_e64 v9, 0x7f800000, v53, s7
	v_sub_f32_e32 v53, v83, v17
	v_cndmask_b32_e32 v9, 0, v9, vcc_lo
	v_mul_f32_e32 v74, 0x3fb8aa3b, v53
	v_cmp_ngt_f32_e32 vcc_lo, 0xc2ce8ed0, v53
	v_cvt_f16_f32_e32 v67, v9
	v_fma_f32 v81, 0x3fb8aa3b, v53, -v74
	v_rndne_f32_e32 v83, v74
	v_pack_b32_f16 v47, v47, v67
	v_fmac_f32_e32 v81, 0x32a5705f, v53
	v_sub_f32_e32 v74, v74, v83
	v_add_f32_e32 v74, v74, v81
	v_cvt_i32_f32_e32 v81, v83
	v_exp_f32_e32 v74, v74
	v_ldexp_f32 v74, v74, v81
	v_cndmask_b32_e32 v74, 0, v74, vcc_lo
	v_cmp_nlt_f32_e32 vcc_lo, 0x42b17218, v53
	v_cndmask_b32_e32 v53, 0x7f800000, v74, vcc_lo
	v_cmp_ngt_f32_e32 vcc_lo, 0xc2ce8ed0, v2
	v_cndmask_b32_e64 v53, 0, v53, s6
	s_mov_b64 s[6:7], src_private_base
	v_add_f32_e32 v9, v9, v53
	v_cvt_f16_f32_e32 v74, v53
	v_mul_f32_e32 v53, 0x3fb8aa3b, v2
	v_fma_f32 v81, 0x3fb8aa3b, v2, -v53
	v_rndne_f32_e32 v83, v53
	v_fmac_f32_e32 v81, 0x32a5705f, v2
	v_sub_f32_e32 v53, v53, v83
	v_add_f32_e32 v53, v53, v81
	v_cvt_i32_f32_e32 v81, v83
	v_exp_f32_e32 v53, v53
	v_ldexp_f32 v53, v53, v81
	v_cndmask_b32_e32 v53, 0, v53, vcc_lo
	v_cmp_nlt_f32_e32 vcc_lo, 0x42b17218, v2
	v_cndmask_b32_e32 v2, 0x7f800000, v53, vcc_lo
	v_fmac_f32_e32 v9, v66, v2
	v_cvt_f16_f32_e32 v2, v2
	v_mul_u32_u24_sdwa v2, v2, v24 dst_sel:DWORD dst_unused:UNUSED_PAD src0_sel:WORD_0 src1_sel:DWORD
	v_pk_mul_f16 v53, v51, v2
	v_pk_mul_f16 v51, v50, v2
	v_add_nc_u32_e32 v2, 0x6400, v19
	v_lshl_add_u32 v50, v0, 4, v2
	v_lshl_add_u32 v2, v49, 4, v2
	;; [unrolled: 1-line block ×3, first 2 shown]
	ds_write_b128 v50, v[44:47]
	v_pack_b32_f16 v47, v68, v74
	v_mul_lo_u32 v1, s12, v49
	v_pack_b32_f16 v46, v70, v82
	v_pack_b32_f16 v45, v4, v72
	v_pack_b32_f16 v44, v48, v3
	v_cmp_gt_i32_e32 vcc_lo, s10, v49
	v_mov_b32_e32 v50, 0
	v_add_nc_u32_e32 v48, 16, v49
	ds_write_b128 v2, v[44:47]
	v_ashrrev_i32_e32 v2, 31, v1
	v_lshlrev_b32_e32 v46, 2, v23
	v_lshl_add_u32 v22, s12, 4, v1
	buffer_store_dword v50, off, s[0:3], 0
	buffer_store_dword v50, off, s[0:3], 0 offset:4
	buffer_store_dword v50, off, s[0:3], 0 offset:8
	;; [unrolled: 1-line block ×3, first 2 shown]
	v_add_nc_u32_e32 v44, 0x4000, v21
	v_lshlrev_b64 v[3:4], 2, v[1:2]
	v_lshl_or_b32 v47, v49, 8, v46
	v_ashrrev_i32_e32 v23, 31, v22
	v_lshl_or_b32 v45, v48, 8, v46
	v_add_co_u32 v1, s6, s11, v3
	v_add_co_ci_u32_e64 v2, null, s14, v4, s6
	v_add_co_u32 v1, s6, v1, v46
	v_add_co_ci_u32_e64 v2, null, 0, v2, s6
	v_cndmask_b32_e32 v1, 0, v1, vcc_lo
	v_cndmask_b32_e32 v2, s7, v2, vcc_lo
	v_cmp_gt_i32_e32 vcc_lo, s10, v48
	flat_load_dwordx4 v[66:69], v[1:2]
	v_lshlrev_b64 v[1:2], 2, v[22:23]
	v_add_co_u32 v22, s6, s11, v1
	v_add_co_ci_u32_e64 v23, null, s14, v2, s6
	v_add_co_u32 v22, s6, v22, v46
	v_add_co_ci_u32_e64 v23, null, 0, v23, s6
	s_or_b32 s6, s8, 32
	v_cndmask_b32_e32 v22, 0, v22, vcc_lo
	s_mul_hi_i32 s15, s6, s12
	v_cndmask_b32_e32 v23, s7, v23, vcc_lo
	s_mul_i32 s14, s6, s12
	s_lshl_b64 s[14:15], s[14:15], 2
	s_add_u32 s8, s9, s14
	s_addc_u32 s9, s13, s15
	v_add_co_u32 v3, s6, s8, v3
	v_add_co_ci_u32_e64 v4, null, s9, v4, s6
	s_sub_i32 s10, s10, 32
	v_add_co_u32 v3, s6, v3, v46
	v_cmp_gt_i32_e32 vcc_lo, s10, v49
	v_add_co_ci_u32_e64 v4, null, 0, v4, s6
	v_add_co_u32 v1, s6, s8, v1
	v_cndmask_b32_e32 v3, 0, v3, vcc_lo
	v_cndmask_b32_e32 v4, s7, v4, vcc_lo
	v_add_co_ci_u32_e64 v2, null, s9, v2, s6
	v_add_co_u32 v1, s6, v1, v46
	v_cmp_gt_i32_e32 vcc_lo, s10, v48
	v_add_co_ci_u32_e64 v2, null, 0, v2, s6
	v_cndmask_b32_e32 v1, 0, v1, vcc_lo
	v_cndmask_b32_e32 v2, s7, v2, vcc_lo
	s_waitcnt vmcnt(0) lgkmcnt(0)
	ds_write_b128 v47, v[66:69] offset:16384
	buffer_store_dword v50, off, s[0:3], 0
	buffer_store_dword v50, off, s[0:3], 0 offset:4
	buffer_store_dword v50, off, s[0:3], 0 offset:8
	;; [unrolled: 1-line block ×3, first 2 shown]
	flat_load_dwordx4 v[66:69], v[22:23]
	s_waitcnt vmcnt(0) lgkmcnt(0)
	ds_write_b128 v45, v[66:69] offset:16384
	s_waitcnt lgkmcnt(0)
	s_waitcnt_vscnt null, 0x0
	s_barrier
	buffer_gl0_inv
	ds_read2_b64 v[66:69], v44 offset1:32
	ds_read_b128 v[81:84], v19 offset:25600
	ds_read_b128 v[85:88], v19 offset:25616
	;; [unrolled: 1-line block ×4, first 2 shown]
	s_waitcnt lgkmcnt(3)
	v_mul_u32_u24_sdwa v22, v81, v24 dst_sel:DWORD dst_unused:UNUSED_PAD src0_sel:WORD_0 src1_sel:DWORD
	v_mul_u32_u24_sdwa v23, v81, v24 dst_sel:DWORD dst_unused:UNUSED_PAD src0_sel:WORD_1 src1_sel:DWORD
	v_mul_u32_u24_sdwa v70, v82, v24 dst_sel:DWORD dst_unused:UNUSED_PAD src0_sel:WORD_0 src1_sel:DWORD
	v_mul_u32_u24_sdwa v71, v82, v24 dst_sel:DWORD dst_unused:UNUSED_PAD src0_sel:WORD_1 src1_sel:DWORD
	;; [unrolled: 2-line block ×4, first 2 shown]
	v_pk_fma_f16 v73, v66, v22, v73
	v_pk_fma_f16 v65, v66, v23, v65
	;; [unrolled: 1-line block ×16, first 2 shown]
	s_waitcnt lgkmcnt(2)
	v_mul_u32_u24_sdwa v62, v85, v24 dst_sel:DWORD dst_unused:UNUSED_PAD src0_sel:WORD_0 src1_sel:DWORD
	v_mul_u32_u24_sdwa v64, v85, v24 dst_sel:DWORD dst_unused:UNUSED_PAD src0_sel:WORD_1 src1_sel:DWORD
	v_mul_u32_u24_sdwa v66, v86, v24 dst_sel:DWORD dst_unused:UNUSED_PAD src0_sel:WORD_0 src1_sel:DWORD
	v_mul_u32_u24_sdwa v67, v86, v24 dst_sel:DWORD dst_unused:UNUSED_PAD src0_sel:WORD_1 src1_sel:DWORD
	;; [unrolled: 2-line block ×4, first 2 shown]
	v_pk_fma_f16 v73, v68, v62, v73
	v_pk_fma_f16 v65, v68, v64, v65
	;; [unrolled: 1-line block ×14, first 2 shown]
	ds_read2_b64 v[51:54], v44 offset0:64 offset1:96
	v_pk_fma_f16 v58, v69, v67, v58
	v_pk_fma_f16 v56, v69, v70, v56
	s_waitcnt lgkmcnt(2)
	v_mul_u32_u24_sdwa v67, v89, v24 dst_sel:DWORD dst_unused:UNUSED_PAD src0_sel:WORD_0 src1_sel:DWORD
	v_mul_u32_u24_sdwa v69, v89, v24 dst_sel:DWORD dst_unused:UNUSED_PAD src0_sel:WORD_1 src1_sel:DWORD
	v_mul_u32_u24_sdwa v70, v90, v24 dst_sel:DWORD dst_unused:UNUSED_PAD src0_sel:WORD_0 src1_sel:DWORD
	v_mul_u32_u24_sdwa v71, v90, v24 dst_sel:DWORD dst_unused:UNUSED_PAD src0_sel:WORD_1 src1_sel:DWORD
	;; [unrolled: 2-line block ×4, first 2 shown]
	s_waitcnt lgkmcnt(0)
	v_pk_fma_f16 v73, v51, v67, v73
	v_pk_fma_f16 v65, v51, v69, v65
	;; [unrolled: 1-line block ×16, first 2 shown]
	v_mul_u32_u24_sdwa v66, v93, v24 dst_sel:DWORD dst_unused:UNUSED_PAD src0_sel:WORD_0 src1_sel:DWORD
	v_mul_u32_u24_sdwa v67, v93, v24 dst_sel:DWORD dst_unused:UNUSED_PAD src0_sel:WORD_1 src1_sel:DWORD
	v_mul_u32_u24_sdwa v68, v94, v24 dst_sel:DWORD dst_unused:UNUSED_PAD src0_sel:WORD_0 src1_sel:DWORD
	v_mul_u32_u24_sdwa v69, v94, v24 dst_sel:DWORD dst_unused:UNUSED_PAD src0_sel:WORD_1 src1_sel:DWORD
	;; [unrolled: 2-line block ×4, first 2 shown]
	v_pk_fma_f16 v73, v53, v66, v73
	v_pk_fma_f16 v65, v53, v67, v65
	;; [unrolled: 1-line block ×16, first 2 shown]
	ds_read2_b64 v[51:54], v44 offset0:128 offset1:160
	ds_read_b128 v[55:58], v19 offset:25664
	s_waitcnt lgkmcnt(0)
	v_mul_u32_u24_sdwa v69, v55, v24 dst_sel:DWORD dst_unused:UNUSED_PAD src0_sel:WORD_0 src1_sel:DWORD
	v_mul_u32_u24_sdwa v55, v55, v24 dst_sel:DWORD dst_unused:UNUSED_PAD src0_sel:WORD_1 src1_sel:DWORD
	v_mul_u32_u24_sdwa v70, v56, v24 dst_sel:DWORD dst_unused:UNUSED_PAD src0_sel:WORD_0 src1_sel:DWORD
	v_mul_u32_u24_sdwa v56, v56, v24 dst_sel:DWORD dst_unused:UNUSED_PAD src0_sel:WORD_1 src1_sel:DWORD
	;; [unrolled: 2-line block ×4, first 2 shown]
	v_pk_fma_f16 v73, v51, v69, v73
	v_pk_fma_f16 v65, v51, v55, v65
	;; [unrolled: 1-line block ×16, first 2 shown]
	ds_read_b128 v[55:58], v19 offset:25680
	s_waitcnt lgkmcnt(0)
	v_mul_u32_u24_sdwa v68, v55, v24 dst_sel:DWORD dst_unused:UNUSED_PAD src0_sel:WORD_0 src1_sel:DWORD
	v_mul_u32_u24_sdwa v55, v55, v24 dst_sel:DWORD dst_unused:UNUSED_PAD src0_sel:WORD_1 src1_sel:DWORD
	v_mul_u32_u24_sdwa v69, v56, v24 dst_sel:DWORD dst_unused:UNUSED_PAD src0_sel:WORD_0 src1_sel:DWORD
	v_mul_u32_u24_sdwa v56, v56, v24 dst_sel:DWORD dst_unused:UNUSED_PAD src0_sel:WORD_1 src1_sel:DWORD
	;; [unrolled: 2-line block ×4, first 2 shown]
	v_pk_fma_f16 v72, v53, v68, v73
	v_pk_fma_f16 v65, v53, v55, v65
	;; [unrolled: 1-line block ×16, first 2 shown]
	ds_read2_b64 v[51:54], v44 offset0:192 offset1:224
	ds_read_b128 v[55:58], v19 offset:25696
	s_waitcnt lgkmcnt(0)
	v_mul_u32_u24_sdwa v69, v55, v24 dst_sel:DWORD dst_unused:UNUSED_PAD src0_sel:WORD_0 src1_sel:DWORD
	v_mul_u32_u24_sdwa v55, v55, v24 dst_sel:DWORD dst_unused:UNUSED_PAD src0_sel:WORD_1 src1_sel:DWORD
	v_mul_u32_u24_sdwa v70, v56, v24 dst_sel:DWORD dst_unused:UNUSED_PAD src0_sel:WORD_0 src1_sel:DWORD
	v_mul_u32_u24_sdwa v56, v56, v24 dst_sel:DWORD dst_unused:UNUSED_PAD src0_sel:WORD_1 src1_sel:DWORD
	;; [unrolled: 2-line block ×4, first 2 shown]
	v_pk_fma_f16 v72, v51, v69, v72
	v_pk_fma_f16 v65, v51, v55, v65
	;; [unrolled: 1-line block ×16, first 2 shown]
	ds_read_b128 v[55:58], v19 offset:25712
	s_waitcnt lgkmcnt(0)
	v_mul_u32_u24_sdwa v68, v55, v24 dst_sel:DWORD dst_unused:UNUSED_PAD src0_sel:WORD_0 src1_sel:DWORD
	v_mul_u32_u24_sdwa v55, v55, v24 dst_sel:DWORD dst_unused:UNUSED_PAD src0_sel:WORD_1 src1_sel:DWORD
	v_mul_u32_u24_sdwa v69, v56, v24 dst_sel:DWORD dst_unused:UNUSED_PAD src0_sel:WORD_0 src1_sel:DWORD
	v_mul_u32_u24_sdwa v56, v56, v24 dst_sel:DWORD dst_unused:UNUSED_PAD src0_sel:WORD_1 src1_sel:DWORD
	;; [unrolled: 2-line block ×4, first 2 shown]
	v_pk_fma_f16 v72, v53, v68, v72
	v_pk_fma_f16 v68, v54, v68, v22
	v_add_nc_u32_e32 v22, 0x4800, v21
	v_pk_fma_f16 v65, v53, v55, v65
	v_pk_fma_f16 v63, v53, v69, v63
	;; [unrolled: 1-line block ×14, first 2 shown]
	ds_read2_b64 v[51:54], v22 offset1:32
	ds_read_b128 v[55:58], v19 offset:25728
	s_waitcnt lgkmcnt(0)
	v_mul_u32_u24_sdwa v70, v55, v24 dst_sel:DWORD dst_unused:UNUSED_PAD src0_sel:WORD_0 src1_sel:DWORD
	v_mul_u32_u24_sdwa v55, v55, v24 dst_sel:DWORD dst_unused:UNUSED_PAD src0_sel:WORD_1 src1_sel:DWORD
	v_mul_u32_u24_sdwa v71, v56, v24 dst_sel:DWORD dst_unused:UNUSED_PAD src0_sel:WORD_0 src1_sel:DWORD
	v_mul_u32_u24_sdwa v56, v56, v24 dst_sel:DWORD dst_unused:UNUSED_PAD src0_sel:WORD_1 src1_sel:DWORD
	v_mul_u32_u24_sdwa v82, v57, v24 dst_sel:DWORD dst_unused:UNUSED_PAD src0_sel:WORD_0 src1_sel:DWORD
	v_mul_u32_u24_sdwa v57, v57, v24 dst_sel:DWORD dst_unused:UNUSED_PAD src0_sel:WORD_1 src1_sel:DWORD
	v_mul_u32_u24_sdwa v83, v58, v24 dst_sel:DWORD dst_unused:UNUSED_PAD src0_sel:WORD_0 src1_sel:DWORD
	v_mul_u32_u24_sdwa v58, v58, v24 dst_sel:DWORD dst_unused:UNUSED_PAD src0_sel:WORD_1 src1_sel:DWORD
	v_pk_fma_f16 v72, v51, v70, v72
	v_pk_fma_f16 v65, v51, v55, v65
	v_pk_fma_f16 v63, v51, v71, v63
	v_pk_fma_f16 v61, v51, v56, v61
	v_pk_fma_f16 v59, v51, v82, v59
	v_pk_fma_f16 v73, v51, v57, v73
	v_pk_fma_f16 v74, v51, v83, v74
	v_pk_fma_f16 v51, v51, v58, v81
	v_pk_fma_f16 v68, v52, v70, v68
	v_pk_fma_f16 v23, v52, v55, v23
	v_pk_fma_f16 v60, v52, v71, v60
	v_pk_fma_f16 v66, v52, v56, v66
	v_pk_fma_f16 v67, v52, v82, v67
	v_pk_fma_f16 v62, v52, v57, v62
	v_pk_fma_f16 v64, v52, v83, v64
	v_pk_fma_f16 v52, v52, v58, v69
	ds_read_b128 v[55:58], v19 offset:25744
	s_waitcnt lgkmcnt(0)
	v_mul_u32_u24_sdwa v69, v55, v24 dst_sel:DWORD dst_unused:UNUSED_PAD src0_sel:WORD_0 src1_sel:DWORD
	v_mul_u32_u24_sdwa v55, v55, v24 dst_sel:DWORD dst_unused:UNUSED_PAD src0_sel:WORD_1 src1_sel:DWORD
	v_mul_u32_u24_sdwa v70, v56, v24 dst_sel:DWORD dst_unused:UNUSED_PAD src0_sel:WORD_0 src1_sel:DWORD
	v_mul_u32_u24_sdwa v56, v56, v24 dst_sel:DWORD dst_unused:UNUSED_PAD src0_sel:WORD_1 src1_sel:DWORD
	v_mul_u32_u24_sdwa v71, v57, v24 dst_sel:DWORD dst_unused:UNUSED_PAD src0_sel:WORD_0 src1_sel:DWORD
	v_mul_u32_u24_sdwa v57, v57, v24 dst_sel:DWORD dst_unused:UNUSED_PAD src0_sel:WORD_1 src1_sel:DWORD
	v_mul_u32_u24_sdwa v81, v58, v24 dst_sel:DWORD dst_unused:UNUSED_PAD src0_sel:WORD_0 src1_sel:DWORD
	v_mul_u32_u24_sdwa v58, v58, v24 dst_sel:DWORD dst_unused:UNUSED_PAD src0_sel:WORD_1 src1_sel:DWORD
	v_pk_fma_f16 v72, v53, v69, v72
	v_pk_fma_f16 v65, v53, v55, v65
	v_pk_fma_f16 v63, v53, v70, v63
	v_pk_fma_f16 v61, v53, v56, v61
	v_pk_fma_f16 v59, v53, v71, v59
	v_pk_fma_f16 v73, v53, v57, v73
	v_pk_fma_f16 v74, v53, v81, v74
	v_pk_fma_f16 v82, v53, v58, v51
	v_pk_fma_f16 v68, v54, v69, v68
	v_pk_fma_f16 v23, v54, v55, v23
	v_pk_fma_f16 v60, v54, v70, v60
	v_pk_fma_f16 v66, v54, v56, v66
	v_pk_fma_f16 v67, v54, v71, v67
	v_pk_fma_f16 v62, v54, v57, v62
	v_pk_fma_f16 v64, v54, v81, v64
	v_pk_fma_f16 v69, v54, v58, v52
	ds_read2_b64 v[51:54], v22 offset0:64 offset1:96
	ds_read_b128 v[55:58], v19 offset:25760
	s_waitcnt lgkmcnt(0)
	v_mul_u32_u24_sdwa v70, v55, v24 dst_sel:DWORD dst_unused:UNUSED_PAD src0_sel:WORD_0 src1_sel:DWORD
	v_mul_u32_u24_sdwa v55, v55, v24 dst_sel:DWORD dst_unused:UNUSED_PAD src0_sel:WORD_1 src1_sel:DWORD
	v_mul_u32_u24_sdwa v71, v56, v24 dst_sel:DWORD dst_unused:UNUSED_PAD src0_sel:WORD_0 src1_sel:DWORD
	v_mul_u32_u24_sdwa v56, v56, v24 dst_sel:DWORD dst_unused:UNUSED_PAD src0_sel:WORD_1 src1_sel:DWORD
	v_mul_u32_u24_sdwa v81, v57, v24 dst_sel:DWORD dst_unused:UNUSED_PAD src0_sel:WORD_0 src1_sel:DWORD
	v_mul_u32_u24_sdwa v57, v57, v24 dst_sel:DWORD dst_unused:UNUSED_PAD src0_sel:WORD_1 src1_sel:DWORD
	v_mul_u32_u24_sdwa v83, v58, v24 dst_sel:DWORD dst_unused:UNUSED_PAD src0_sel:WORD_0 src1_sel:DWORD
	v_mul_u32_u24_sdwa v58, v58, v24 dst_sel:DWORD dst_unused:UNUSED_PAD src0_sel:WORD_1 src1_sel:DWORD
	v_pk_fma_f16 v72, v51, v70, v72
	v_pk_fma_f16 v65, v51, v55, v65
	v_pk_fma_f16 v63, v51, v71, v63
	v_pk_fma_f16 v61, v51, v56, v61
	v_pk_fma_f16 v59, v51, v81, v59
	v_pk_fma_f16 v73, v51, v57, v73
	v_pk_fma_f16 v74, v51, v83, v74
	v_pk_fma_f16 v51, v51, v58, v82
	v_pk_fma_f16 v68, v52, v70, v68
	v_pk_fma_f16 v23, v52, v55, v23
	v_pk_fma_f16 v60, v52, v71, v60
	v_pk_fma_f16 v66, v52, v56, v66
	v_pk_fma_f16 v67, v52, v81, v67
	v_pk_fma_f16 v62, v52, v57, v62
	v_pk_fma_f16 v64, v52, v83, v64
	v_pk_fma_f16 v52, v52, v58, v69
	ds_read_b128 v[55:58], v19 offset:25776
	s_waitcnt lgkmcnt(0)
	v_mul_u32_u24_sdwa v69, v55, v24 dst_sel:DWORD dst_unused:UNUSED_PAD src0_sel:WORD_0 src1_sel:DWORD
	v_mul_u32_u24_sdwa v55, v55, v24 dst_sel:DWORD dst_unused:UNUSED_PAD src0_sel:WORD_1 src1_sel:DWORD
	v_mul_u32_u24_sdwa v70, v56, v24 dst_sel:DWORD dst_unused:UNUSED_PAD src0_sel:WORD_0 src1_sel:DWORD
	v_mul_u32_u24_sdwa v56, v56, v24 dst_sel:DWORD dst_unused:UNUSED_PAD src0_sel:WORD_1 src1_sel:DWORD
	v_mul_u32_u24_sdwa v71, v57, v24 dst_sel:DWORD dst_unused:UNUSED_PAD src0_sel:WORD_0 src1_sel:DWORD
	v_mul_u32_u24_sdwa v57, v57, v24 dst_sel:DWORD dst_unused:UNUSED_PAD src0_sel:WORD_1 src1_sel:DWORD
	v_mul_u32_u24_sdwa v81, v58, v24 dst_sel:DWORD dst_unused:UNUSED_PAD src0_sel:WORD_0 src1_sel:DWORD
	v_mul_u32_u24_sdwa v58, v58, v24 dst_sel:DWORD dst_unused:UNUSED_PAD src0_sel:WORD_1 src1_sel:DWORD
	v_pk_fma_f16 v72, v53, v69, v72
	v_pk_fma_f16 v65, v53, v55, v65
	v_pk_fma_f16 v63, v53, v70, v63
	v_pk_fma_f16 v61, v53, v56, v61
	v_pk_fma_f16 v59, v53, v71, v59
	v_pk_fma_f16 v73, v53, v57, v73
	v_pk_fma_f16 v74, v53, v81, v74
	v_pk_fma_f16 v82, v53, v58, v51
	v_pk_fma_f16 v68, v54, v69, v68
	v_pk_fma_f16 v23, v54, v55, v23
	v_pk_fma_f16 v60, v54, v70, v60
	v_pk_fma_f16 v66, v54, v56, v66
	v_pk_fma_f16 v67, v54, v71, v67
	v_pk_fma_f16 v62, v54, v57, v62
	v_pk_fma_f16 v64, v54, v81, v64
	v_pk_fma_f16 v69, v54, v58, v52
	ds_read2_b64 v[51:54], v22 offset0:128 offset1:160
	;; [unrolled: 53-line block ×3, first 2 shown]
	ds_read_b128 v[55:58], v19 offset:25824
	s_waitcnt lgkmcnt(0)
	v_mul_u32_u24_sdwa v70, v55, v24 dst_sel:DWORD dst_unused:UNUSED_PAD src0_sel:WORD_0 src1_sel:DWORD
	v_mul_u32_u24_sdwa v55, v55, v24 dst_sel:DWORD dst_unused:UNUSED_PAD src0_sel:WORD_1 src1_sel:DWORD
	v_mul_u32_u24_sdwa v71, v56, v24 dst_sel:DWORD dst_unused:UNUSED_PAD src0_sel:WORD_0 src1_sel:DWORD
	v_mul_u32_u24_sdwa v56, v56, v24 dst_sel:DWORD dst_unused:UNUSED_PAD src0_sel:WORD_1 src1_sel:DWORD
	;; [unrolled: 2-line block ×4, first 2 shown]
	v_pk_fma_f16 v72, v51, v70, v72
	v_pk_fma_f16 v65, v51, v55, v65
	;; [unrolled: 1-line block ×16, first 2 shown]
	ds_read_b128 v[55:58], v19 offset:25840
	s_waitcnt lgkmcnt(0)
	v_mul_u32_u24_sdwa v69, v55, v24 dst_sel:DWORD dst_unused:UNUSED_PAD src0_sel:WORD_0 src1_sel:DWORD
	v_mul_u32_u24_sdwa v55, v55, v24 dst_sel:DWORD dst_unused:UNUSED_PAD src0_sel:WORD_1 src1_sel:DWORD
	v_mul_u32_u24_sdwa v70, v56, v24 dst_sel:DWORD dst_unused:UNUSED_PAD src0_sel:WORD_0 src1_sel:DWORD
	v_mul_u32_u24_sdwa v56, v56, v24 dst_sel:DWORD dst_unused:UNUSED_PAD src0_sel:WORD_1 src1_sel:DWORD
	;; [unrolled: 2-line block ×4, first 2 shown]
	v_pk_fma_f16 v72, v53, v69, v72
	v_pk_fma_f16 v68, v54, v69, v68
	v_pk_fma_f16 v69, v54, v55, v23
	v_add_nc_u32_e32 v23, 0x5000, v21
	v_pk_fma_f16 v65, v53, v55, v65
	v_pk_fma_f16 v63, v53, v70, v63
	;; [unrolled: 1-line block ×13, first 2 shown]
	ds_read2_b64 v[51:54], v23 offset1:32
	ds_read_b128 v[55:58], v19 offset:25856
	v_add_nc_u32_e32 v21, 0x5800, v21
	s_waitcnt lgkmcnt(0)
	v_mul_u32_u24_sdwa v71, v55, v24 dst_sel:DWORD dst_unused:UNUSED_PAD src0_sel:WORD_0 src1_sel:DWORD
	v_mul_u32_u24_sdwa v55, v55, v24 dst_sel:DWORD dst_unused:UNUSED_PAD src0_sel:WORD_1 src1_sel:DWORD
	v_mul_u32_u24_sdwa v81, v56, v24 dst_sel:DWORD dst_unused:UNUSED_PAD src0_sel:WORD_0 src1_sel:DWORD
	v_mul_u32_u24_sdwa v56, v56, v24 dst_sel:DWORD dst_unused:UNUSED_PAD src0_sel:WORD_1 src1_sel:DWORD
	v_mul_u32_u24_sdwa v83, v57, v24 dst_sel:DWORD dst_unused:UNUSED_PAD src0_sel:WORD_0 src1_sel:DWORD
	v_mul_u32_u24_sdwa v57, v57, v24 dst_sel:DWORD dst_unused:UNUSED_PAD src0_sel:WORD_1 src1_sel:DWORD
	v_mul_u32_u24_sdwa v84, v58, v24 dst_sel:DWORD dst_unused:UNUSED_PAD src0_sel:WORD_0 src1_sel:DWORD
	v_mul_u32_u24_sdwa v58, v58, v24 dst_sel:DWORD dst_unused:UNUSED_PAD src0_sel:WORD_1 src1_sel:DWORD
	v_pk_fma_f16 v72, v51, v71, v72
	v_pk_fma_f16 v65, v51, v55, v65
	v_pk_fma_f16 v63, v51, v81, v63
	v_pk_fma_f16 v61, v51, v56, v61
	v_pk_fma_f16 v59, v51, v83, v59
	v_pk_fma_f16 v73, v51, v57, v73
	v_pk_fma_f16 v74, v51, v84, v74
	v_pk_fma_f16 v51, v51, v58, v82
	v_pk_fma_f16 v68, v52, v71, v68
	v_pk_fma_f16 v69, v52, v55, v69
	v_pk_fma_f16 v60, v52, v81, v60
	v_pk_fma_f16 v66, v52, v56, v66
	v_pk_fma_f16 v67, v52, v83, v67
	v_pk_fma_f16 v62, v52, v57, v62
	v_pk_fma_f16 v64, v52, v84, v64
	v_pk_fma_f16 v52, v52, v58, v70
	ds_read_b128 v[55:58], v19 offset:25872
	s_waitcnt lgkmcnt(0)
	v_mul_u32_u24_sdwa v70, v55, v24 dst_sel:DWORD dst_unused:UNUSED_PAD src0_sel:WORD_0 src1_sel:DWORD
	v_mul_u32_u24_sdwa v55, v55, v24 dst_sel:DWORD dst_unused:UNUSED_PAD src0_sel:WORD_1 src1_sel:DWORD
	v_mul_u32_u24_sdwa v71, v56, v24 dst_sel:DWORD dst_unused:UNUSED_PAD src0_sel:WORD_0 src1_sel:DWORD
	v_mul_u32_u24_sdwa v56, v56, v24 dst_sel:DWORD dst_unused:UNUSED_PAD src0_sel:WORD_1 src1_sel:DWORD
	v_mul_u32_u24_sdwa v81, v57, v24 dst_sel:DWORD dst_unused:UNUSED_PAD src0_sel:WORD_0 src1_sel:DWORD
	v_mul_u32_u24_sdwa v57, v57, v24 dst_sel:DWORD dst_unused:UNUSED_PAD src0_sel:WORD_1 src1_sel:DWORD
	v_mul_u32_u24_sdwa v82, v58, v24 dst_sel:DWORD dst_unused:UNUSED_PAD src0_sel:WORD_0 src1_sel:DWORD
	v_mul_u32_u24_sdwa v58, v58, v24 dst_sel:DWORD dst_unused:UNUSED_PAD src0_sel:WORD_1 src1_sel:DWORD
	v_pk_fma_f16 v72, v53, v70, v72
	v_pk_fma_f16 v65, v53, v55, v65
	v_pk_fma_f16 v63, v53, v71, v63
	v_pk_fma_f16 v61, v53, v56, v61
	v_pk_fma_f16 v59, v53, v81, v59
	v_pk_fma_f16 v73, v53, v57, v73
	v_pk_fma_f16 v74, v53, v82, v74
	v_pk_fma_f16 v83, v53, v58, v51
	v_pk_fma_f16 v68, v54, v70, v68
	v_pk_fma_f16 v69, v54, v55, v69
	v_pk_fma_f16 v60, v54, v71, v60
	v_pk_fma_f16 v66, v54, v56, v66
	v_pk_fma_f16 v67, v54, v81, v67
	v_pk_fma_f16 v62, v54, v57, v62
	v_pk_fma_f16 v64, v54, v82, v64
	v_pk_fma_f16 v70, v54, v58, v52
	ds_read2_b64 v[51:54], v23 offset0:64 offset1:96
	ds_read_b128 v[55:58], v19 offset:25888
	s_waitcnt lgkmcnt(0)
	v_mul_u32_u24_sdwa v71, v55, v24 dst_sel:DWORD dst_unused:UNUSED_PAD src0_sel:WORD_0 src1_sel:DWORD
	v_mul_u32_u24_sdwa v55, v55, v24 dst_sel:DWORD dst_unused:UNUSED_PAD src0_sel:WORD_1 src1_sel:DWORD
	v_mul_u32_u24_sdwa v81, v56, v24 dst_sel:DWORD dst_unused:UNUSED_PAD src0_sel:WORD_0 src1_sel:DWORD
	v_mul_u32_u24_sdwa v56, v56, v24 dst_sel:DWORD dst_unused:UNUSED_PAD src0_sel:WORD_1 src1_sel:DWORD
	v_mul_u32_u24_sdwa v82, v57, v24 dst_sel:DWORD dst_unused:UNUSED_PAD src0_sel:WORD_0 src1_sel:DWORD
	v_mul_u32_u24_sdwa v57, v57, v24 dst_sel:DWORD dst_unused:UNUSED_PAD src0_sel:WORD_1 src1_sel:DWORD
	v_mul_u32_u24_sdwa v84, v58, v24 dst_sel:DWORD dst_unused:UNUSED_PAD src0_sel:WORD_0 src1_sel:DWORD
	v_mul_u32_u24_sdwa v58, v58, v24 dst_sel:DWORD dst_unused:UNUSED_PAD src0_sel:WORD_1 src1_sel:DWORD
	v_pk_fma_f16 v72, v51, v71, v72
	v_pk_fma_f16 v65, v51, v55, v65
	v_pk_fma_f16 v63, v51, v81, v63
	v_pk_fma_f16 v61, v51, v56, v61
	v_pk_fma_f16 v59, v51, v82, v59
	v_pk_fma_f16 v73, v51, v57, v73
	v_pk_fma_f16 v74, v51, v84, v74
	v_pk_fma_f16 v51, v51, v58, v83
	v_pk_fma_f16 v68, v52, v71, v68
	v_pk_fma_f16 v69, v52, v55, v69
	v_pk_fma_f16 v60, v52, v81, v60
	v_pk_fma_f16 v66, v52, v56, v66
	v_pk_fma_f16 v67, v52, v82, v67
	v_pk_fma_f16 v62, v52, v57, v62
	v_pk_fma_f16 v64, v52, v84, v64
	v_pk_fma_f16 v52, v52, v58, v70
	ds_read_b128 v[55:58], v19 offset:25904
	s_waitcnt lgkmcnt(0)
	v_mul_u32_u24_sdwa v70, v55, v24 dst_sel:DWORD dst_unused:UNUSED_PAD src0_sel:WORD_0 src1_sel:DWORD
	v_mul_u32_u24_sdwa v55, v55, v24 dst_sel:DWORD dst_unused:UNUSED_PAD src0_sel:WORD_1 src1_sel:DWORD
	v_mul_u32_u24_sdwa v71, v56, v24 dst_sel:DWORD dst_unused:UNUSED_PAD src0_sel:WORD_0 src1_sel:DWORD
	v_mul_u32_u24_sdwa v56, v56, v24 dst_sel:DWORD dst_unused:UNUSED_PAD src0_sel:WORD_1 src1_sel:DWORD
	v_mul_u32_u24_sdwa v81, v57, v24 dst_sel:DWORD dst_unused:UNUSED_PAD src0_sel:WORD_0 src1_sel:DWORD
	v_mul_u32_u24_sdwa v57, v57, v24 dst_sel:DWORD dst_unused:UNUSED_PAD src0_sel:WORD_1 src1_sel:DWORD
	v_mul_u32_u24_sdwa v82, v58, v24 dst_sel:DWORD dst_unused:UNUSED_PAD src0_sel:WORD_0 src1_sel:DWORD
	v_mul_u32_u24_sdwa v58, v58, v24 dst_sel:DWORD dst_unused:UNUSED_PAD src0_sel:WORD_1 src1_sel:DWORD
	v_pk_fma_f16 v72, v53, v70, v72
	v_pk_fma_f16 v65, v53, v55, v65
	v_pk_fma_f16 v63, v53, v71, v63
	v_pk_fma_f16 v61, v53, v56, v61
	v_pk_fma_f16 v59, v53, v81, v59
	v_pk_fma_f16 v73, v53, v57, v73
	v_pk_fma_f16 v74, v53, v82, v74
	v_pk_fma_f16 v83, v53, v58, v51
	v_pk_fma_f16 v68, v54, v70, v68
	v_pk_fma_f16 v69, v54, v55, v69
	v_pk_fma_f16 v60, v54, v71, v60
	v_pk_fma_f16 v66, v54, v56, v66
	v_pk_fma_f16 v67, v54, v81, v67
	v_pk_fma_f16 v62, v54, v57, v62
	v_pk_fma_f16 v64, v54, v82, v64
	v_pk_fma_f16 v70, v54, v58, v52
	ds_read2_b64 v[51:54], v23 offset0:128 offset1:160
	ds_read_b128 v[55:58], v19 offset:25920
	;; [unrolled: 53-line block ×3, first 2 shown]
	s_waitcnt lgkmcnt(0)
	v_mul_u32_u24_sdwa v71, v55, v24 dst_sel:DWORD dst_unused:UNUSED_PAD src0_sel:WORD_0 src1_sel:DWORD
	v_mul_u32_u24_sdwa v55, v55, v24 dst_sel:DWORD dst_unused:UNUSED_PAD src0_sel:WORD_1 src1_sel:DWORD
	v_mul_u32_u24_sdwa v81, v56, v24 dst_sel:DWORD dst_unused:UNUSED_PAD src0_sel:WORD_0 src1_sel:DWORD
	v_mul_u32_u24_sdwa v56, v56, v24 dst_sel:DWORD dst_unused:UNUSED_PAD src0_sel:WORD_1 src1_sel:DWORD
	;; [unrolled: 2-line block ×4, first 2 shown]
	v_pk_fma_f16 v72, v51, v71, v72
	v_pk_fma_f16 v65, v51, v55, v65
	;; [unrolled: 1-line block ×16, first 2 shown]
	ds_read_b128 v[55:58], v19 offset:25968
	s_waitcnt lgkmcnt(0)
	v_mul_u32_u24_sdwa v70, v55, v24 dst_sel:DWORD dst_unused:UNUSED_PAD src0_sel:WORD_0 src1_sel:DWORD
	v_mul_u32_u24_sdwa v55, v55, v24 dst_sel:DWORD dst_unused:UNUSED_PAD src0_sel:WORD_1 src1_sel:DWORD
	v_mul_u32_u24_sdwa v71, v56, v24 dst_sel:DWORD dst_unused:UNUSED_PAD src0_sel:WORD_0 src1_sel:DWORD
	v_mul_u32_u24_sdwa v56, v56, v24 dst_sel:DWORD dst_unused:UNUSED_PAD src0_sel:WORD_1 src1_sel:DWORD
	;; [unrolled: 2-line block ×4, first 2 shown]
	v_pk_fma_f16 v72, v53, v70, v72
	v_pk_fma_f16 v65, v53, v55, v65
	v_pk_fma_f16 v63, v53, v71, v63
	v_pk_fma_f16 v61, v53, v56, v61
	v_pk_fma_f16 v59, v53, v81, v59
	v_pk_fma_f16 v73, v53, v57, v73
	v_pk_fma_f16 v74, v53, v82, v74
	v_pk_fma_f16 v83, v53, v58, v51
	v_pk_fma_f16 v68, v54, v70, v68
	v_pk_fma_f16 v69, v54, v55, v69
	v_pk_fma_f16 v60, v54, v71, v60
	v_pk_fma_f16 v66, v54, v56, v66
	v_pk_fma_f16 v67, v54, v81, v67
	v_pk_fma_f16 v62, v54, v57, v62
	v_pk_fma_f16 v64, v54, v82, v64
	v_pk_fma_f16 v70, v54, v58, v52
	ds_read2_b64 v[51:54], v21 offset1:32
	ds_read_b128 v[55:58], v19 offset:25984
	s_waitcnt lgkmcnt(0)
	v_mul_u32_u24_sdwa v71, v55, v24 dst_sel:DWORD dst_unused:UNUSED_PAD src0_sel:WORD_0 src1_sel:DWORD
	v_mul_u32_u24_sdwa v55, v55, v24 dst_sel:DWORD dst_unused:UNUSED_PAD src0_sel:WORD_1 src1_sel:DWORD
	v_mul_u32_u24_sdwa v81, v56, v24 dst_sel:DWORD dst_unused:UNUSED_PAD src0_sel:WORD_0 src1_sel:DWORD
	v_mul_u32_u24_sdwa v56, v56, v24 dst_sel:DWORD dst_unused:UNUSED_PAD src0_sel:WORD_1 src1_sel:DWORD
	v_mul_u32_u24_sdwa v82, v57, v24 dst_sel:DWORD dst_unused:UNUSED_PAD src0_sel:WORD_0 src1_sel:DWORD
	v_mul_u32_u24_sdwa v57, v57, v24 dst_sel:DWORD dst_unused:UNUSED_PAD src0_sel:WORD_1 src1_sel:DWORD
	v_mul_u32_u24_sdwa v84, v58, v24 dst_sel:DWORD dst_unused:UNUSED_PAD src0_sel:WORD_0 src1_sel:DWORD
	v_mul_u32_u24_sdwa v58, v58, v24 dst_sel:DWORD dst_unused:UNUSED_PAD src0_sel:WORD_1 src1_sel:DWORD
	v_pk_fma_f16 v72, v51, v71, v72
	v_pk_fma_f16 v65, v51, v55, v65
	v_pk_fma_f16 v63, v51, v81, v63
	v_pk_fma_f16 v61, v51, v56, v61
	v_pk_fma_f16 v59, v51, v82, v59
	v_pk_fma_f16 v73, v51, v57, v73
	v_pk_fma_f16 v74, v51, v84, v74
	v_pk_fma_f16 v51, v51, v58, v83
	v_pk_fma_f16 v68, v52, v71, v68
	v_pk_fma_f16 v69, v52, v55, v69
	v_pk_fma_f16 v60, v52, v81, v60
	v_pk_fma_f16 v66, v52, v56, v66
	v_pk_fma_f16 v67, v52, v82, v67
	v_pk_fma_f16 v62, v52, v57, v62
	v_pk_fma_f16 v64, v52, v84, v64
	v_pk_fma_f16 v52, v52, v58, v70
	ds_read_b128 v[55:58], v19 offset:26000
	s_waitcnt lgkmcnt(0)
	v_mul_u32_u24_sdwa v70, v55, v24 dst_sel:DWORD dst_unused:UNUSED_PAD src0_sel:WORD_0 src1_sel:DWORD
	v_mul_u32_u24_sdwa v55, v55, v24 dst_sel:DWORD dst_unused:UNUSED_PAD src0_sel:WORD_1 src1_sel:DWORD
	v_mul_u32_u24_sdwa v71, v56, v24 dst_sel:DWORD dst_unused:UNUSED_PAD src0_sel:WORD_0 src1_sel:DWORD
	v_mul_u32_u24_sdwa v56, v56, v24 dst_sel:DWORD dst_unused:UNUSED_PAD src0_sel:WORD_1 src1_sel:DWORD
	v_mul_u32_u24_sdwa v81, v57, v24 dst_sel:DWORD dst_unused:UNUSED_PAD src0_sel:WORD_0 src1_sel:DWORD
	v_mul_u32_u24_sdwa v57, v57, v24 dst_sel:DWORD dst_unused:UNUSED_PAD src0_sel:WORD_1 src1_sel:DWORD
	v_mul_u32_u24_sdwa v82, v58, v24 dst_sel:DWORD dst_unused:UNUSED_PAD src0_sel:WORD_0 src1_sel:DWORD
	v_mul_u32_u24_sdwa v58, v58, v24 dst_sel:DWORD dst_unused:UNUSED_PAD src0_sel:WORD_1 src1_sel:DWORD
	v_pk_fma_f16 v72, v53, v70, v72
	v_pk_fma_f16 v65, v53, v55, v65
	v_pk_fma_f16 v63, v53, v71, v63
	v_pk_fma_f16 v61, v53, v56, v61
	v_pk_fma_f16 v59, v53, v81, v59
	v_pk_fma_f16 v73, v53, v57, v73
	v_pk_fma_f16 v74, v53, v82, v74
	v_pk_fma_f16 v83, v53, v58, v51
	v_pk_fma_f16 v68, v54, v70, v68
	v_pk_fma_f16 v69, v54, v55, v69
	v_pk_fma_f16 v60, v54, v71, v60
	v_pk_fma_f16 v66, v54, v56, v66
	v_pk_fma_f16 v67, v54, v81, v67
	v_pk_fma_f16 v62, v54, v57, v62
	v_pk_fma_f16 v64, v54, v82, v64
	v_pk_fma_f16 v70, v54, v58, v52
	ds_read2_b64 v[51:54], v21 offset0:64 offset1:96
	ds_read_b128 v[55:58], v19 offset:26016
	s_waitcnt lgkmcnt(0)
	v_mul_u32_u24_sdwa v71, v55, v24 dst_sel:DWORD dst_unused:UNUSED_PAD src0_sel:WORD_0 src1_sel:DWORD
	v_mul_u32_u24_sdwa v55, v55, v24 dst_sel:DWORD dst_unused:UNUSED_PAD src0_sel:WORD_1 src1_sel:DWORD
	v_mul_u32_u24_sdwa v81, v56, v24 dst_sel:DWORD dst_unused:UNUSED_PAD src0_sel:WORD_0 src1_sel:DWORD
	v_mul_u32_u24_sdwa v56, v56, v24 dst_sel:DWORD dst_unused:UNUSED_PAD src0_sel:WORD_1 src1_sel:DWORD
	v_mul_u32_u24_sdwa v82, v57, v24 dst_sel:DWORD dst_unused:UNUSED_PAD src0_sel:WORD_0 src1_sel:DWORD
	v_mul_u32_u24_sdwa v57, v57, v24 dst_sel:DWORD dst_unused:UNUSED_PAD src0_sel:WORD_1 src1_sel:DWORD
	v_mul_u32_u24_sdwa v84, v58, v24 dst_sel:DWORD dst_unused:UNUSED_PAD src0_sel:WORD_0 src1_sel:DWORD
	v_mul_u32_u24_sdwa v58, v58, v24 dst_sel:DWORD dst_unused:UNUSED_PAD src0_sel:WORD_1 src1_sel:DWORD
	v_pk_fma_f16 v72, v51, v71, v72
	v_pk_fma_f16 v65, v51, v55, v65
	v_pk_fma_f16 v63, v51, v81, v63
	v_pk_fma_f16 v61, v51, v56, v61
	v_pk_fma_f16 v59, v51, v82, v59
	v_pk_fma_f16 v73, v51, v57, v73
	v_pk_fma_f16 v74, v51, v84, v74
	v_pk_fma_f16 v51, v51, v58, v83
	v_pk_fma_f16 v68, v52, v71, v68
	v_pk_fma_f16 v69, v52, v55, v69
	v_pk_fma_f16 v60, v52, v81, v60
	v_pk_fma_f16 v66, v52, v56, v66
	v_pk_fma_f16 v67, v52, v82, v67
	v_pk_fma_f16 v62, v52, v57, v62
	v_pk_fma_f16 v64, v52, v84, v64
	v_pk_fma_f16 v52, v52, v58, v70
	ds_read_b128 v[55:58], v19 offset:26032
	s_waitcnt lgkmcnt(0)
	v_mul_u32_u24_sdwa v70, v55, v24 dst_sel:DWORD dst_unused:UNUSED_PAD src0_sel:WORD_0 src1_sel:DWORD
	v_mul_u32_u24_sdwa v55, v55, v24 dst_sel:DWORD dst_unused:UNUSED_PAD src0_sel:WORD_1 src1_sel:DWORD
	v_mul_u32_u24_sdwa v71, v56, v24 dst_sel:DWORD dst_unused:UNUSED_PAD src0_sel:WORD_0 src1_sel:DWORD
	v_mul_u32_u24_sdwa v56, v56, v24 dst_sel:DWORD dst_unused:UNUSED_PAD src0_sel:WORD_1 src1_sel:DWORD
	v_mul_u32_u24_sdwa v81, v57, v24 dst_sel:DWORD dst_unused:UNUSED_PAD src0_sel:WORD_0 src1_sel:DWORD
	v_mul_u32_u24_sdwa v57, v57, v24 dst_sel:DWORD dst_unused:UNUSED_PAD src0_sel:WORD_1 src1_sel:DWORD
	v_mul_u32_u24_sdwa v82, v58, v24 dst_sel:DWORD dst_unused:UNUSED_PAD src0_sel:WORD_0 src1_sel:DWORD
	v_mul_u32_u24_sdwa v58, v58, v24 dst_sel:DWORD dst_unused:UNUSED_PAD src0_sel:WORD_1 src1_sel:DWORD
	v_pk_fma_f16 v72, v53, v70, v72
	v_pk_fma_f16 v65, v53, v55, v65
	v_pk_fma_f16 v63, v53, v71, v63
	v_pk_fma_f16 v61, v53, v56, v61
	v_pk_fma_f16 v59, v53, v81, v59
	v_pk_fma_f16 v73, v53, v57, v73
	v_pk_fma_f16 v74, v53, v82, v74
	v_pk_fma_f16 v83, v53, v58, v51
	v_pk_fma_f16 v68, v54, v70, v68
	v_pk_fma_f16 v69, v54, v55, v69
	v_pk_fma_f16 v60, v54, v71, v60
	v_pk_fma_f16 v66, v54, v56, v66
	v_pk_fma_f16 v67, v54, v81, v67
	v_pk_fma_f16 v62, v54, v57, v62
	v_pk_fma_f16 v64, v54, v82, v64
	v_pk_fma_f16 v70, v54, v58, v52
	ds_read2_b64 v[51:54], v21 offset0:128 offset1:160
	;; [unrolled: 53-line block ×3, first 2 shown]
	ds_read_b128 v[55:58], v19 offset:26080
	s_waitcnt lgkmcnt(0)
	v_mul_u32_u24_sdwa v71, v55, v24 dst_sel:DWORD dst_unused:UNUSED_PAD src0_sel:WORD_0 src1_sel:DWORD
	v_mul_u32_u24_sdwa v55, v55, v24 dst_sel:DWORD dst_unused:UNUSED_PAD src0_sel:WORD_1 src1_sel:DWORD
	v_mul_u32_u24_sdwa v81, v56, v24 dst_sel:DWORD dst_unused:UNUSED_PAD src0_sel:WORD_0 src1_sel:DWORD
	v_mul_u32_u24_sdwa v56, v56, v24 dst_sel:DWORD dst_unused:UNUSED_PAD src0_sel:WORD_1 src1_sel:DWORD
	;; [unrolled: 2-line block ×4, first 2 shown]
	v_pk_fma_f16 v72, v51, v71, v72
	v_pk_fma_f16 v65, v51, v55, v65
	;; [unrolled: 1-line block ×16, first 2 shown]
	ds_read_b128 v[55:58], v19 offset:26096
	s_waitcnt lgkmcnt(0)
	s_barrier
	buffer_gl0_inv
	buffer_store_dword v50, off, s[0:3], 0
	buffer_store_dword v50, off, s[0:3], 0 offset:4
	buffer_store_dword v50, off, s[0:3], 0 offset:8
	;; [unrolled: 1-line block ×3, first 2 shown]
	v_mul_u32_u24_sdwa v70, v55, v24 dst_sel:DWORD dst_unused:UNUSED_PAD src0_sel:WORD_0 src1_sel:DWORD
	v_mul_u32_u24_sdwa v55, v55, v24 dst_sel:DWORD dst_unused:UNUSED_PAD src0_sel:WORD_1 src1_sel:DWORD
	v_mul_u32_u24_sdwa v71, v56, v24 dst_sel:DWORD dst_unused:UNUSED_PAD src0_sel:WORD_0 src1_sel:DWORD
	v_mul_u32_u24_sdwa v56, v56, v24 dst_sel:DWORD dst_unused:UNUSED_PAD src0_sel:WORD_1 src1_sel:DWORD
	;; [unrolled: 2-line block ×4, first 2 shown]
	v_pk_fma_f16 v72, v53, v70, v72
	v_pk_fma_f16 v65, v53, v55, v65
	;; [unrolled: 1-line block ×16, first 2 shown]
	flat_load_dwordx4 v[51:54], v[3:4]
	s_waitcnt vmcnt(0) lgkmcnt(0)
	ds_write_b128 v47, v[51:54] offset:16384
	buffer_store_dword v50, off, s[0:3], 0
	buffer_store_dword v50, off, s[0:3], 0 offset:4
	buffer_store_dword v50, off, s[0:3], 0 offset:8
	buffer_store_dword v50, off, s[0:3], 0 offset:12
	flat_load_dwordx4 v[1:4], v[1:2]
	s_waitcnt vmcnt(0) lgkmcnt(0)
	ds_write_b128 v45, v[1:4] offset:16384
	s_waitcnt lgkmcnt(0)
	s_waitcnt_vscnt null, 0x0
	s_barrier
	buffer_gl0_inv
	ds_read2_b64 v[1:4], v44 offset1:32
	ds_read_b128 v[45:48], v19 offset:26112
	ds_read_b128 v[49:52], v19 offset:26128
	ds_read_b128 v[53:56], v19 offset:26144
	ds_read_b128 v[57:60], v19 offset:26160
	s_waitcnt lgkmcnt(3)
	v_mul_u32_u24_sdwa v81, v45, v24 dst_sel:DWORD dst_unused:UNUSED_PAD src0_sel:WORD_0 src1_sel:DWORD
	v_mul_u32_u24_sdwa v45, v45, v24 dst_sel:DWORD dst_unused:UNUSED_PAD src0_sel:WORD_1 src1_sel:DWORD
	v_mul_u32_u24_sdwa v82, v46, v24 dst_sel:DWORD dst_unused:UNUSED_PAD src0_sel:WORD_0 src1_sel:DWORD
	v_mul_u32_u24_sdwa v46, v46, v24 dst_sel:DWORD dst_unused:UNUSED_PAD src0_sel:WORD_1 src1_sel:DWORD
	;; [unrolled: 2-line block ×4, first 2 shown]
	v_pk_fma_f16 v72, v1, v81, v72
	v_pk_fma_f16 v65, v1, v45, v65
	;; [unrolled: 1-line block ×16, first 2 shown]
	s_waitcnt lgkmcnt(2)
	v_mul_u32_u24_sdwa v48, v49, v24 dst_sel:DWORD dst_unused:UNUSED_PAD src0_sel:WORD_0 src1_sel:DWORD
	v_mul_u32_u24_sdwa v49, v49, v24 dst_sel:DWORD dst_unused:UNUSED_PAD src0_sel:WORD_1 src1_sel:DWORD
	v_mul_u32_u24_sdwa v64, v50, v24 dst_sel:DWORD dst_unused:UNUSED_PAD src0_sel:WORD_0 src1_sel:DWORD
	v_mul_u32_u24_sdwa v50, v50, v24 dst_sel:DWORD dst_unused:UNUSED_PAD src0_sel:WORD_1 src1_sel:DWORD
	v_mul_u32_u24_sdwa v67, v51, v24 dst_sel:DWORD dst_unused:UNUSED_PAD src0_sel:WORD_0 src1_sel:DWORD
	v_mul_u32_u24_sdwa v51, v51, v24 dst_sel:DWORD dst_unused:UNUSED_PAD src0_sel:WORD_1 src1_sel:DWORD
	v_mul_u32_u24_sdwa v70, v52, v24 dst_sel:DWORD dst_unused:UNUSED_PAD src0_sel:WORD_0 src1_sel:DWORD
	v_mul_u32_u24_sdwa v52, v52, v24 dst_sel:DWORD dst_unused:UNUSED_PAD src0_sel:WORD_1 src1_sel:DWORD
	v_pk_fma_f16 v71, v3, v48, v72
	v_pk_fma_f16 v65, v3, v49, v65
	;; [unrolled: 1-line block ×16, first 2 shown]
	ds_read2_b64 v[1:4], v44 offset0:64 offset1:96
	s_waitcnt lgkmcnt(2)
	v_mul_u32_u24_sdwa v62, v53, v24 dst_sel:DWORD dst_unused:UNUSED_PAD src0_sel:WORD_0 src1_sel:DWORD
	v_mul_u32_u24_sdwa v53, v53, v24 dst_sel:DWORD dst_unused:UNUSED_PAD src0_sel:WORD_1 src1_sel:DWORD
	v_mul_u32_u24_sdwa v64, v54, v24 dst_sel:DWORD dst_unused:UNUSED_PAD src0_sel:WORD_0 src1_sel:DWORD
	v_mul_u32_u24_sdwa v54, v54, v24 dst_sel:DWORD dst_unused:UNUSED_PAD src0_sel:WORD_1 src1_sel:DWORD
	;; [unrolled: 2-line block ×4, first 2 shown]
	s_waitcnt lgkmcnt(0)
	v_pk_fma_f16 v68, v1, v62, v71
	v_pk_fma_f16 v65, v1, v53, v65
	;; [unrolled: 1-line block ×16, first 2 shown]
	v_mul_u32_u24_sdwa v52, v57, v24 dst_sel:DWORD dst_unused:UNUSED_PAD src0_sel:WORD_0 src1_sel:DWORD
	v_mul_u32_u24_sdwa v53, v57, v24 dst_sel:DWORD dst_unused:UNUSED_PAD src0_sel:WORD_1 src1_sel:DWORD
	v_mul_u32_u24_sdwa v54, v58, v24 dst_sel:DWORD dst_unused:UNUSED_PAD src0_sel:WORD_0 src1_sel:DWORD
	v_mul_u32_u24_sdwa v55, v58, v24 dst_sel:DWORD dst_unused:UNUSED_PAD src0_sel:WORD_1 src1_sel:DWORD
	;; [unrolled: 2-line block ×4, first 2 shown]
	v_pk_fma_f16 v60, v3, v52, v68
	v_pk_fma_f16 v62, v3, v53, v65
	;; [unrolled: 1-line block ×16, first 2 shown]
	ds_read2_b64 v[1:4], v44 offset0:128 offset1:160
	ds_read_b128 v[45:48], v19 offset:26176
	v_mov_b32_e32 v69, v6
	v_mov_b32_e32 v70, v5
	;; [unrolled: 1-line block ×5, first 2 shown]
	s_waitcnt lgkmcnt(0)
	v_mul_u32_u24_sdwa v57, v45, v24 dst_sel:DWORD dst_unused:UNUSED_PAD src0_sel:WORD_0 src1_sel:DWORD
	v_mul_u32_u24_sdwa v45, v45, v24 dst_sel:DWORD dst_unused:UNUSED_PAD src0_sel:WORD_1 src1_sel:DWORD
	v_mul_u32_u24_sdwa v58, v46, v24 dst_sel:DWORD dst_unused:UNUSED_PAD src0_sel:WORD_0 src1_sel:DWORD
	v_mul_u32_u24_sdwa v46, v46, v24 dst_sel:DWORD dst_unused:UNUSED_PAD src0_sel:WORD_1 src1_sel:DWORD
	;; [unrolled: 2-line block ×4, first 2 shown]
	v_pk_fma_f16 v60, v1, v57, v60
	v_pk_fma_f16 v62, v1, v45, v62
	v_pk_fma_f16 v63, v1, v58, v63
	v_pk_fma_f16 v61, v1, v46, v61
	v_pk_fma_f16 v64, v1, v59, v64
	v_pk_fma_f16 v65, v1, v47, v65
	v_pk_fma_f16 v66, v1, v68, v66
	v_pk_fma_f16 v1, v1, v48, v67
	v_pk_fma_f16 v52, v2, v57, v52
	v_pk_fma_f16 v53, v2, v45, v53
	v_pk_fma_f16 v49, v2, v58, v49
	v_pk_fma_f16 v54, v2, v46, v54
	v_pk_fma_f16 v50, v2, v59, v50
	v_pk_fma_f16 v55, v2, v47, v55
	v_pk_fma_f16 v51, v2, v68, v51
	v_pk_fma_f16 v2, v2, v48, v56
	ds_read_b128 v[45:48], v19 offset:26192
	s_waitcnt lgkmcnt(0)
	v_mul_u32_u24_sdwa v56, v45, v24 dst_sel:DWORD dst_unused:UNUSED_PAD src0_sel:WORD_0 src1_sel:DWORD
	v_mul_u32_u24_sdwa v45, v45, v24 dst_sel:DWORD dst_unused:UNUSED_PAD src0_sel:WORD_1 src1_sel:DWORD
	v_mul_u32_u24_sdwa v57, v46, v24 dst_sel:DWORD dst_unused:UNUSED_PAD src0_sel:WORD_0 src1_sel:DWORD
	v_mul_u32_u24_sdwa v46, v46, v24 dst_sel:DWORD dst_unused:UNUSED_PAD src0_sel:WORD_1 src1_sel:DWORD
	;; [unrolled: 2-line block ×4, first 2 shown]
	v_pk_fma_f16 v60, v3, v56, v60
	v_pk_fma_f16 v62, v3, v45, v62
	;; [unrolled: 1-line block ×16, first 2 shown]
	ds_read2_b64 v[1:4], v44 offset0:192 offset1:224
	ds_read_b128 v[44:47], v19 offset:26208
	s_waitcnt lgkmcnt(0)
	v_mul_u32_u24_sdwa v56, v44, v24 dst_sel:DWORD dst_unused:UNUSED_PAD src0_sel:WORD_0 src1_sel:DWORD
	v_mul_u32_u24_sdwa v44, v44, v24 dst_sel:DWORD dst_unused:UNUSED_PAD src0_sel:WORD_1 src1_sel:DWORD
	v_mul_u32_u24_sdwa v57, v45, v24 dst_sel:DWORD dst_unused:UNUSED_PAD src0_sel:WORD_0 src1_sel:DWORD
	v_mul_u32_u24_sdwa v45, v45, v24 dst_sel:DWORD dst_unused:UNUSED_PAD src0_sel:WORD_1 src1_sel:DWORD
	;; [unrolled: 2-line block ×4, first 2 shown]
	v_pk_fma_f16 v60, v1, v56, v60
	v_pk_fma_f16 v62, v1, v44, v62
	;; [unrolled: 1-line block ×16, first 2 shown]
	ds_read_b128 v[44:47], v19 offset:26224
	s_waitcnt lgkmcnt(0)
	v_mul_u32_u24_sdwa v48, v44, v24 dst_sel:DWORD dst_unused:UNUSED_PAD src0_sel:WORD_0 src1_sel:DWORD
	v_mul_u32_u24_sdwa v44, v44, v24 dst_sel:DWORD dst_unused:UNUSED_PAD src0_sel:WORD_1 src1_sel:DWORD
	v_mul_u32_u24_sdwa v56, v45, v24 dst_sel:DWORD dst_unused:UNUSED_PAD src0_sel:WORD_0 src1_sel:DWORD
	v_mul_u32_u24_sdwa v45, v45, v24 dst_sel:DWORD dst_unused:UNUSED_PAD src0_sel:WORD_1 src1_sel:DWORD
	;; [unrolled: 2-line block ×4, first 2 shown]
	v_pk_fma_f16 v59, v3, v48, v60
	v_pk_fma_f16 v60, v3, v44, v62
	;; [unrolled: 1-line block ×16, first 2 shown]
	ds_read2_b64 v[1:4], v22 offset1:32
	ds_read_b128 v[44:47], v19 offset:26240
	s_waitcnt lgkmcnt(0)
	v_mul_u32_u24_sdwa v56, v44, v24 dst_sel:DWORD dst_unused:UNUSED_PAD src0_sel:WORD_0 src1_sel:DWORD
	v_mul_u32_u24_sdwa v44, v44, v24 dst_sel:DWORD dst_unused:UNUSED_PAD src0_sel:WORD_1 src1_sel:DWORD
	v_mul_u32_u24_sdwa v57, v45, v24 dst_sel:DWORD dst_unused:UNUSED_PAD src0_sel:WORD_0 src1_sel:DWORD
	v_mul_u32_u24_sdwa v45, v45, v24 dst_sel:DWORD dst_unused:UNUSED_PAD src0_sel:WORD_1 src1_sel:DWORD
	v_mul_u32_u24_sdwa v58, v46, v24 dst_sel:DWORD dst_unused:UNUSED_PAD src0_sel:WORD_0 src1_sel:DWORD
	v_mul_u32_u24_sdwa v46, v46, v24 dst_sel:DWORD dst_unused:UNUSED_PAD src0_sel:WORD_1 src1_sel:DWORD
	v_mul_u32_u24_sdwa v67, v47, v24 dst_sel:DWORD dst_unused:UNUSED_PAD src0_sel:WORD_0 src1_sel:DWORD
	v_mul_u32_u24_sdwa v47, v47, v24 dst_sel:DWORD dst_unused:UNUSED_PAD src0_sel:WORD_1 src1_sel:DWORD
	v_pk_fma_f16 v59, v1, v56, v59
	v_pk_fma_f16 v60, v1, v44, v60
	v_pk_fma_f16 v62, v1, v57, v62
	v_pk_fma_f16 v61, v1, v45, v61
	v_pk_fma_f16 v63, v1, v58, v63
	v_pk_fma_f16 v64, v1, v46, v64
	v_pk_fma_f16 v65, v1, v67, v65
	v_pk_fma_f16 v1, v1, v47, v66
	v_pk_fma_f16 v48, v2, v56, v48
	v_pk_fma_f16 v52, v2, v44, v52
	v_pk_fma_f16 v49, v2, v57, v49
	v_pk_fma_f16 v53, v2, v45, v53
	v_pk_fma_f16 v50, v2, v58, v50
	v_pk_fma_f16 v54, v2, v46, v54
	v_pk_fma_f16 v51, v2, v67, v51
	v_pk_fma_f16 v2, v2, v47, v55
	ds_read_b128 v[44:47], v19 offset:26256
	s_waitcnt lgkmcnt(0)
	v_mul_u32_u24_sdwa v55, v44, v24 dst_sel:DWORD dst_unused:UNUSED_PAD src0_sel:WORD_0 src1_sel:DWORD
	v_mul_u32_u24_sdwa v44, v44, v24 dst_sel:DWORD dst_unused:UNUSED_PAD src0_sel:WORD_1 src1_sel:DWORD
	v_mul_u32_u24_sdwa v56, v45, v24 dst_sel:DWORD dst_unused:UNUSED_PAD src0_sel:WORD_0 src1_sel:DWORD
	v_mul_u32_u24_sdwa v45, v45, v24 dst_sel:DWORD dst_unused:UNUSED_PAD src0_sel:WORD_1 src1_sel:DWORD
	v_mul_u32_u24_sdwa v57, v46, v24 dst_sel:DWORD dst_unused:UNUSED_PAD src0_sel:WORD_0 src1_sel:DWORD
	v_mul_u32_u24_sdwa v46, v46, v24 dst_sel:DWORD dst_unused:UNUSED_PAD src0_sel:WORD_1 src1_sel:DWORD
	v_mul_u32_u24_sdwa v58, v47, v24 dst_sel:DWORD dst_unused:UNUSED_PAD src0_sel:WORD_0 src1_sel:DWORD
	v_mul_u32_u24_sdwa v47, v47, v24 dst_sel:DWORD dst_unused:UNUSED_PAD src0_sel:WORD_1 src1_sel:DWORD
	v_pk_fma_f16 v59, v3, v55, v59
	v_pk_fma_f16 v60, v3, v44, v60
	v_pk_fma_f16 v62, v3, v56, v62
	v_pk_fma_f16 v61, v3, v45, v61
	v_pk_fma_f16 v63, v3, v57, v63
	v_pk_fma_f16 v64, v3, v46, v64
	v_pk_fma_f16 v65, v3, v58, v65
	v_pk_fma_f16 v66, v3, v47, v1
	v_pk_fma_f16 v48, v4, v55, v48
	v_pk_fma_f16 v52, v4, v44, v52
	v_pk_fma_f16 v49, v4, v56, v49
	v_pk_fma_f16 v53, v4, v45, v53
	v_pk_fma_f16 v50, v4, v57, v50
	v_pk_fma_f16 v54, v4, v46, v54
	v_pk_fma_f16 v51, v4, v58, v51
	v_pk_fma_f16 v55, v4, v47, v2
	ds_read2_b64 v[1:4], v22 offset0:64 offset1:96
	ds_read_b128 v[44:47], v19 offset:26272
	s_waitcnt lgkmcnt(0)
	v_mul_u32_u24_sdwa v56, v44, v24 dst_sel:DWORD dst_unused:UNUSED_PAD src0_sel:WORD_0 src1_sel:DWORD
	v_mul_u32_u24_sdwa v44, v44, v24 dst_sel:DWORD dst_unused:UNUSED_PAD src0_sel:WORD_1 src1_sel:DWORD
	v_mul_u32_u24_sdwa v57, v45, v24 dst_sel:DWORD dst_unused:UNUSED_PAD src0_sel:WORD_0 src1_sel:DWORD
	v_mul_u32_u24_sdwa v45, v45, v24 dst_sel:DWORD dst_unused:UNUSED_PAD src0_sel:WORD_1 src1_sel:DWORD
	v_mul_u32_u24_sdwa v58, v46, v24 dst_sel:DWORD dst_unused:UNUSED_PAD src0_sel:WORD_0 src1_sel:DWORD
	v_mul_u32_u24_sdwa v46, v46, v24 dst_sel:DWORD dst_unused:UNUSED_PAD src0_sel:WORD_1 src1_sel:DWORD
	v_mul_u32_u24_sdwa v67, v47, v24 dst_sel:DWORD dst_unused:UNUSED_PAD src0_sel:WORD_0 src1_sel:DWORD
	v_mul_u32_u24_sdwa v47, v47, v24 dst_sel:DWORD dst_unused:UNUSED_PAD src0_sel:WORD_1 src1_sel:DWORD
	v_pk_fma_f16 v59, v1, v56, v59
	v_pk_fma_f16 v60, v1, v44, v60
	v_pk_fma_f16 v62, v1, v57, v62
	v_pk_fma_f16 v61, v1, v45, v61
	v_pk_fma_f16 v63, v1, v58, v63
	v_pk_fma_f16 v64, v1, v46, v64
	v_pk_fma_f16 v65, v1, v67, v65
	v_pk_fma_f16 v1, v1, v47, v66
	v_pk_fma_f16 v48, v2, v56, v48
	v_pk_fma_f16 v52, v2, v44, v52
	v_pk_fma_f16 v49, v2, v57, v49
	v_pk_fma_f16 v53, v2, v45, v53
	v_pk_fma_f16 v50, v2, v58, v50
	v_pk_fma_f16 v54, v2, v46, v54
	v_pk_fma_f16 v51, v2, v67, v51
	v_pk_fma_f16 v2, v2, v47, v55
	ds_read_b128 v[44:47], v19 offset:26288
	s_waitcnt lgkmcnt(0)
	v_mul_u32_u24_sdwa v55, v44, v24 dst_sel:DWORD dst_unused:UNUSED_PAD src0_sel:WORD_0 src1_sel:DWORD
	v_mul_u32_u24_sdwa v44, v44, v24 dst_sel:DWORD dst_unused:UNUSED_PAD src0_sel:WORD_1 src1_sel:DWORD
	v_mul_u32_u24_sdwa v56, v45, v24 dst_sel:DWORD dst_unused:UNUSED_PAD src0_sel:WORD_0 src1_sel:DWORD
	v_mul_u32_u24_sdwa v45, v45, v24 dst_sel:DWORD dst_unused:UNUSED_PAD src0_sel:WORD_1 src1_sel:DWORD
	v_mul_u32_u24_sdwa v57, v46, v24 dst_sel:DWORD dst_unused:UNUSED_PAD src0_sel:WORD_0 src1_sel:DWORD
	v_mul_u32_u24_sdwa v46, v46, v24 dst_sel:DWORD dst_unused:UNUSED_PAD src0_sel:WORD_1 src1_sel:DWORD
	v_mul_u32_u24_sdwa v58, v47, v24 dst_sel:DWORD dst_unused:UNUSED_PAD src0_sel:WORD_0 src1_sel:DWORD
	v_mul_u32_u24_sdwa v47, v47, v24 dst_sel:DWORD dst_unused:UNUSED_PAD src0_sel:WORD_1 src1_sel:DWORD
	v_pk_fma_f16 v59, v3, v55, v59
	v_pk_fma_f16 v60, v3, v44, v60
	v_pk_fma_f16 v62, v3, v56, v62
	v_pk_fma_f16 v61, v3, v45, v61
	v_pk_fma_f16 v63, v3, v57, v63
	v_pk_fma_f16 v64, v3, v46, v64
	v_pk_fma_f16 v65, v3, v58, v65
	v_pk_fma_f16 v66, v3, v47, v1
	v_pk_fma_f16 v48, v4, v55, v48
	v_pk_fma_f16 v52, v4, v44, v52
	v_pk_fma_f16 v49, v4, v56, v49
	v_pk_fma_f16 v53, v4, v45, v53
	v_pk_fma_f16 v50, v4, v57, v50
	v_pk_fma_f16 v54, v4, v46, v54
	v_pk_fma_f16 v51, v4, v58, v51
	v_pk_fma_f16 v55, v4, v47, v2
	ds_read2_b64 v[1:4], v22 offset0:128 offset1:160
	;; [unrolled: 53-line block ×3, first 2 shown]
	ds_read_b128 v[44:47], v19 offset:26336
	s_waitcnt lgkmcnt(0)
	v_mul_u32_u24_sdwa v22, v44, v24 dst_sel:DWORD dst_unused:UNUSED_PAD src0_sel:WORD_0 src1_sel:DWORD
	v_mul_u32_u24_sdwa v44, v44, v24 dst_sel:DWORD dst_unused:UNUSED_PAD src0_sel:WORD_1 src1_sel:DWORD
	v_mul_u32_u24_sdwa v56, v45, v24 dst_sel:DWORD dst_unused:UNUSED_PAD src0_sel:WORD_0 src1_sel:DWORD
	v_mul_u32_u24_sdwa v45, v45, v24 dst_sel:DWORD dst_unused:UNUSED_PAD src0_sel:WORD_1 src1_sel:DWORD
	;; [unrolled: 2-line block ×4, first 2 shown]
	v_pk_fma_f16 v59, v1, v22, v59
	v_pk_fma_f16 v60, v1, v44, v60
	;; [unrolled: 1-line block ×16, first 2 shown]
	ds_read_b128 v[44:47], v19 offset:26352
	s_waitcnt lgkmcnt(0)
	v_mul_u32_u24_sdwa v54, v44, v24 dst_sel:DWORD dst_unused:UNUSED_PAD src0_sel:WORD_0 src1_sel:DWORD
	v_mul_u32_u24_sdwa v44, v44, v24 dst_sel:DWORD dst_unused:UNUSED_PAD src0_sel:WORD_1 src1_sel:DWORD
	v_mul_u32_u24_sdwa v55, v45, v24 dst_sel:DWORD dst_unused:UNUSED_PAD src0_sel:WORD_0 src1_sel:DWORD
	v_mul_u32_u24_sdwa v45, v45, v24 dst_sel:DWORD dst_unused:UNUSED_PAD src0_sel:WORD_1 src1_sel:DWORD
	;; [unrolled: 2-line block ×4, first 2 shown]
	v_pk_fma_f16 v58, v3, v54, v59
	v_pk_fma_f16 v59, v3, v44, v60
	;; [unrolled: 1-line block ×16, first 2 shown]
	ds_read2_b64 v[1:4], v23 offset1:32
	ds_read_b128 v[44:47], v19 offset:26368
	s_waitcnt lgkmcnt(0)
	v_mul_u32_u24_sdwa v55, v44, v24 dst_sel:DWORD dst_unused:UNUSED_PAD src0_sel:WORD_0 src1_sel:DWORD
	v_mul_u32_u24_sdwa v44, v44, v24 dst_sel:DWORD dst_unused:UNUSED_PAD src0_sel:WORD_1 src1_sel:DWORD
	v_mul_u32_u24_sdwa v56, v45, v24 dst_sel:DWORD dst_unused:UNUSED_PAD src0_sel:WORD_0 src1_sel:DWORD
	v_mul_u32_u24_sdwa v45, v45, v24 dst_sel:DWORD dst_unused:UNUSED_PAD src0_sel:WORD_1 src1_sel:DWORD
	v_mul_u32_u24_sdwa v57, v46, v24 dst_sel:DWORD dst_unused:UNUSED_PAD src0_sel:WORD_0 src1_sel:DWORD
	v_mul_u32_u24_sdwa v46, v46, v24 dst_sel:DWORD dst_unused:UNUSED_PAD src0_sel:WORD_1 src1_sel:DWORD
	v_mul_u32_u24_sdwa v66, v47, v24 dst_sel:DWORD dst_unused:UNUSED_PAD src0_sel:WORD_0 src1_sel:DWORD
	v_mul_u32_u24_sdwa v47, v47, v24 dst_sel:DWORD dst_unused:UNUSED_PAD src0_sel:WORD_1 src1_sel:DWORD
	v_pk_fma_f16 v58, v1, v55, v58
	v_pk_fma_f16 v59, v1, v44, v59
	v_pk_fma_f16 v60, v1, v56, v60
	v_pk_fma_f16 v61, v1, v45, v61
	v_pk_fma_f16 v62, v1, v57, v62
	v_pk_fma_f16 v63, v1, v46, v63
	v_pk_fma_f16 v64, v1, v66, v64
	v_pk_fma_f16 v1, v1, v47, v65
	v_pk_fma_f16 v22, v2, v55, v22
	v_pk_fma_f16 v48, v2, v44, v48
	v_pk_fma_f16 v49, v2, v56, v49
	v_pk_fma_f16 v52, v2, v45, v52
	v_pk_fma_f16 v50, v2, v57, v50
	v_pk_fma_f16 v53, v2, v46, v53
	v_pk_fma_f16 v51, v2, v66, v51
	v_pk_fma_f16 v2, v2, v47, v54
	ds_read_b128 v[44:47], v19 offset:26384
	s_waitcnt lgkmcnt(0)
	v_mul_u32_u24_sdwa v54, v44, v24 dst_sel:DWORD dst_unused:UNUSED_PAD src0_sel:WORD_0 src1_sel:DWORD
	v_mul_u32_u24_sdwa v44, v44, v24 dst_sel:DWORD dst_unused:UNUSED_PAD src0_sel:WORD_1 src1_sel:DWORD
	v_mul_u32_u24_sdwa v55, v45, v24 dst_sel:DWORD dst_unused:UNUSED_PAD src0_sel:WORD_0 src1_sel:DWORD
	v_mul_u32_u24_sdwa v45, v45, v24 dst_sel:DWORD dst_unused:UNUSED_PAD src0_sel:WORD_1 src1_sel:DWORD
	v_mul_u32_u24_sdwa v56, v46, v24 dst_sel:DWORD dst_unused:UNUSED_PAD src0_sel:WORD_0 src1_sel:DWORD
	v_mul_u32_u24_sdwa v46, v46, v24 dst_sel:DWORD dst_unused:UNUSED_PAD src0_sel:WORD_1 src1_sel:DWORD
	v_mul_u32_u24_sdwa v57, v47, v24 dst_sel:DWORD dst_unused:UNUSED_PAD src0_sel:WORD_0 src1_sel:DWORD
	v_mul_u32_u24_sdwa v47, v47, v24 dst_sel:DWORD dst_unused:UNUSED_PAD src0_sel:WORD_1 src1_sel:DWORD
	v_pk_fma_f16 v58, v3, v54, v58
	v_pk_fma_f16 v59, v3, v44, v59
	v_pk_fma_f16 v60, v3, v55, v60
	v_pk_fma_f16 v61, v3, v45, v61
	v_pk_fma_f16 v62, v3, v56, v62
	v_pk_fma_f16 v63, v3, v46, v63
	v_pk_fma_f16 v64, v3, v57, v64
	v_pk_fma_f16 v65, v3, v47, v1
	v_pk_fma_f16 v22, v4, v54, v22
	v_pk_fma_f16 v48, v4, v44, v48
	v_pk_fma_f16 v49, v4, v55, v49
	v_pk_fma_f16 v52, v4, v45, v52
	v_pk_fma_f16 v50, v4, v56, v50
	v_pk_fma_f16 v53, v4, v46, v53
	v_pk_fma_f16 v51, v4, v57, v51
	v_pk_fma_f16 v54, v4, v47, v2
	ds_read2_b64 v[1:4], v23 offset0:64 offset1:96
	ds_read_b128 v[44:47], v19 offset:26400
	s_waitcnt lgkmcnt(0)
	v_mul_u32_u24_sdwa v55, v44, v24 dst_sel:DWORD dst_unused:UNUSED_PAD src0_sel:WORD_0 src1_sel:DWORD
	v_mul_u32_u24_sdwa v44, v44, v24 dst_sel:DWORD dst_unused:UNUSED_PAD src0_sel:WORD_1 src1_sel:DWORD
	v_mul_u32_u24_sdwa v56, v45, v24 dst_sel:DWORD dst_unused:UNUSED_PAD src0_sel:WORD_0 src1_sel:DWORD
	v_mul_u32_u24_sdwa v45, v45, v24 dst_sel:DWORD dst_unused:UNUSED_PAD src0_sel:WORD_1 src1_sel:DWORD
	v_mul_u32_u24_sdwa v57, v46, v24 dst_sel:DWORD dst_unused:UNUSED_PAD src0_sel:WORD_0 src1_sel:DWORD
	v_mul_u32_u24_sdwa v46, v46, v24 dst_sel:DWORD dst_unused:UNUSED_PAD src0_sel:WORD_1 src1_sel:DWORD
	v_mul_u32_u24_sdwa v66, v47, v24 dst_sel:DWORD dst_unused:UNUSED_PAD src0_sel:WORD_0 src1_sel:DWORD
	v_mul_u32_u24_sdwa v47, v47, v24 dst_sel:DWORD dst_unused:UNUSED_PAD src0_sel:WORD_1 src1_sel:DWORD
	v_pk_fma_f16 v58, v1, v55, v58
	v_pk_fma_f16 v59, v1, v44, v59
	v_pk_fma_f16 v60, v1, v56, v60
	v_pk_fma_f16 v61, v1, v45, v61
	v_pk_fma_f16 v62, v1, v57, v62
	v_pk_fma_f16 v63, v1, v46, v63
	v_pk_fma_f16 v64, v1, v66, v64
	v_pk_fma_f16 v1, v1, v47, v65
	v_pk_fma_f16 v22, v2, v55, v22
	v_pk_fma_f16 v48, v2, v44, v48
	v_pk_fma_f16 v49, v2, v56, v49
	v_pk_fma_f16 v52, v2, v45, v52
	v_pk_fma_f16 v50, v2, v57, v50
	v_pk_fma_f16 v53, v2, v46, v53
	v_pk_fma_f16 v51, v2, v66, v51
	v_pk_fma_f16 v2, v2, v47, v54
	ds_read_b128 v[44:47], v19 offset:26416
	s_waitcnt lgkmcnt(0)
	v_mul_u32_u24_sdwa v54, v44, v24 dst_sel:DWORD dst_unused:UNUSED_PAD src0_sel:WORD_0 src1_sel:DWORD
	v_mul_u32_u24_sdwa v44, v44, v24 dst_sel:DWORD dst_unused:UNUSED_PAD src0_sel:WORD_1 src1_sel:DWORD
	v_mul_u32_u24_sdwa v55, v45, v24 dst_sel:DWORD dst_unused:UNUSED_PAD src0_sel:WORD_0 src1_sel:DWORD
	v_mul_u32_u24_sdwa v45, v45, v24 dst_sel:DWORD dst_unused:UNUSED_PAD src0_sel:WORD_1 src1_sel:DWORD
	v_mul_u32_u24_sdwa v56, v46, v24 dst_sel:DWORD dst_unused:UNUSED_PAD src0_sel:WORD_0 src1_sel:DWORD
	v_mul_u32_u24_sdwa v46, v46, v24 dst_sel:DWORD dst_unused:UNUSED_PAD src0_sel:WORD_1 src1_sel:DWORD
	v_mul_u32_u24_sdwa v57, v47, v24 dst_sel:DWORD dst_unused:UNUSED_PAD src0_sel:WORD_0 src1_sel:DWORD
	v_mul_u32_u24_sdwa v47, v47, v24 dst_sel:DWORD dst_unused:UNUSED_PAD src0_sel:WORD_1 src1_sel:DWORD
	v_pk_fma_f16 v58, v3, v54, v58
	v_pk_fma_f16 v59, v3, v44, v59
	v_pk_fma_f16 v60, v3, v55, v60
	v_pk_fma_f16 v61, v3, v45, v61
	v_pk_fma_f16 v62, v3, v56, v62
	v_pk_fma_f16 v63, v3, v46, v63
	v_pk_fma_f16 v64, v3, v57, v64
	v_pk_fma_f16 v65, v3, v47, v1
	v_pk_fma_f16 v22, v4, v54, v22
	v_pk_fma_f16 v48, v4, v44, v48
	v_pk_fma_f16 v49, v4, v55, v49
	v_pk_fma_f16 v52, v4, v45, v52
	v_pk_fma_f16 v50, v4, v56, v50
	v_pk_fma_f16 v53, v4, v46, v53
	v_pk_fma_f16 v51, v4, v57, v51
	v_pk_fma_f16 v54, v4, v47, v2
	ds_read2_b64 v[1:4], v23 offset0:128 offset1:160
	;; [unrolled: 53-line block ×3, first 2 shown]
	ds_read_b128 v[44:47], v19 offset:26464
	s_waitcnt lgkmcnt(0)
	v_mul_u32_u24_sdwa v23, v44, v24 dst_sel:DWORD dst_unused:UNUSED_PAD src0_sel:WORD_0 src1_sel:DWORD
	v_mul_u32_u24_sdwa v44, v44, v24 dst_sel:DWORD dst_unused:UNUSED_PAD src0_sel:WORD_1 src1_sel:DWORD
	v_mul_u32_u24_sdwa v55, v45, v24 dst_sel:DWORD dst_unused:UNUSED_PAD src0_sel:WORD_0 src1_sel:DWORD
	v_mul_u32_u24_sdwa v45, v45, v24 dst_sel:DWORD dst_unused:UNUSED_PAD src0_sel:WORD_1 src1_sel:DWORD
	;; [unrolled: 2-line block ×4, first 2 shown]
	v_pk_fma_f16 v58, v1, v23, v58
	v_pk_fma_f16 v59, v1, v44, v59
	v_pk_fma_f16 v60, v1, v55, v60
	v_pk_fma_f16 v61, v1, v45, v61
	v_pk_fma_f16 v62, v1, v56, v62
	v_pk_fma_f16 v63, v1, v46, v63
	v_pk_fma_f16 v64, v1, v57, v64
	v_pk_fma_f16 v1, v1, v47, v65
	v_pk_fma_f16 v22, v2, v23, v22
	v_pk_fma_f16 v23, v2, v44, v48
	v_pk_fma_f16 v48, v2, v55, v49
	v_pk_fma_f16 v49, v2, v45, v52
	v_pk_fma_f16 v50, v2, v56, v50
	v_pk_fma_f16 v52, v2, v46, v53
	v_pk_fma_f16 v51, v2, v57, v51
	v_pk_fma_f16 v2, v2, v47, v54
	ds_read_b128 v[44:47], v19 offset:26480
	s_waitcnt lgkmcnt(0)
	v_mul_u32_u24_sdwa v53, v44, v24 dst_sel:DWORD dst_unused:UNUSED_PAD src0_sel:WORD_0 src1_sel:DWORD
	v_mul_u32_u24_sdwa v44, v44, v24 dst_sel:DWORD dst_unused:UNUSED_PAD src0_sel:WORD_1 src1_sel:DWORD
	v_mul_u32_u24_sdwa v54, v45, v24 dst_sel:DWORD dst_unused:UNUSED_PAD src0_sel:WORD_0 src1_sel:DWORD
	v_mul_u32_u24_sdwa v45, v45, v24 dst_sel:DWORD dst_unused:UNUSED_PAD src0_sel:WORD_1 src1_sel:DWORD
	;; [unrolled: 2-line block ×4, first 2 shown]
	v_pk_fma_f16 v57, v3, v53, v58
	v_pk_fma_f16 v58, v3, v44, v59
	;; [unrolled: 1-line block ×16, first 2 shown]
	ds_read2_b64 v[1:4], v21 offset1:32
	ds_read_b128 v[44:47], v19 offset:26496
	s_waitcnt lgkmcnt(0)
	v_mul_u32_u24_sdwa v54, v44, v24 dst_sel:DWORD dst_unused:UNUSED_PAD src0_sel:WORD_0 src1_sel:DWORD
	v_mul_u32_u24_sdwa v44, v44, v24 dst_sel:DWORD dst_unused:UNUSED_PAD src0_sel:WORD_1 src1_sel:DWORD
	v_mul_u32_u24_sdwa v55, v45, v24 dst_sel:DWORD dst_unused:UNUSED_PAD src0_sel:WORD_0 src1_sel:DWORD
	v_mul_u32_u24_sdwa v45, v45, v24 dst_sel:DWORD dst_unused:UNUSED_PAD src0_sel:WORD_1 src1_sel:DWORD
	v_mul_u32_u24_sdwa v56, v46, v24 dst_sel:DWORD dst_unused:UNUSED_PAD src0_sel:WORD_0 src1_sel:DWORD
	v_mul_u32_u24_sdwa v46, v46, v24 dst_sel:DWORD dst_unused:UNUSED_PAD src0_sel:WORD_1 src1_sel:DWORD
	v_mul_u32_u24_sdwa v65, v47, v24 dst_sel:DWORD dst_unused:UNUSED_PAD src0_sel:WORD_0 src1_sel:DWORD
	v_mul_u32_u24_sdwa v47, v47, v24 dst_sel:DWORD dst_unused:UNUSED_PAD src0_sel:WORD_1 src1_sel:DWORD
	v_pk_fma_f16 v57, v1, v54, v57
	v_pk_fma_f16 v58, v1, v44, v58
	v_pk_fma_f16 v59, v1, v55, v59
	v_pk_fma_f16 v60, v1, v45, v60
	v_pk_fma_f16 v61, v1, v56, v61
	v_pk_fma_f16 v62, v1, v46, v62
	v_pk_fma_f16 v63, v1, v65, v63
	v_pk_fma_f16 v1, v1, v47, v64
	v_pk_fma_f16 v22, v2, v54, v22
	v_pk_fma_f16 v23, v2, v44, v23
	v_pk_fma_f16 v48, v2, v55, v48
	v_pk_fma_f16 v49, v2, v45, v49
	v_pk_fma_f16 v50, v2, v56, v50
	v_pk_fma_f16 v52, v2, v46, v52
	v_pk_fma_f16 v51, v2, v65, v51
	v_pk_fma_f16 v2, v2, v47, v53
	ds_read_b128 v[44:47], v19 offset:26512
	s_waitcnt lgkmcnt(0)
	v_mul_u32_u24_sdwa v53, v44, v24 dst_sel:DWORD dst_unused:UNUSED_PAD src0_sel:WORD_0 src1_sel:DWORD
	v_mul_u32_u24_sdwa v44, v44, v24 dst_sel:DWORD dst_unused:UNUSED_PAD src0_sel:WORD_1 src1_sel:DWORD
	v_mul_u32_u24_sdwa v54, v45, v24 dst_sel:DWORD dst_unused:UNUSED_PAD src0_sel:WORD_0 src1_sel:DWORD
	v_mul_u32_u24_sdwa v45, v45, v24 dst_sel:DWORD dst_unused:UNUSED_PAD src0_sel:WORD_1 src1_sel:DWORD
	v_mul_u32_u24_sdwa v55, v46, v24 dst_sel:DWORD dst_unused:UNUSED_PAD src0_sel:WORD_0 src1_sel:DWORD
	v_mul_u32_u24_sdwa v46, v46, v24 dst_sel:DWORD dst_unused:UNUSED_PAD src0_sel:WORD_1 src1_sel:DWORD
	v_mul_u32_u24_sdwa v56, v47, v24 dst_sel:DWORD dst_unused:UNUSED_PAD src0_sel:WORD_0 src1_sel:DWORD
	v_mul_u32_u24_sdwa v47, v47, v24 dst_sel:DWORD dst_unused:UNUSED_PAD src0_sel:WORD_1 src1_sel:DWORD
	v_pk_fma_f16 v57, v3, v53, v57
	v_pk_fma_f16 v58, v3, v44, v58
	v_pk_fma_f16 v59, v3, v54, v59
	v_pk_fma_f16 v60, v3, v45, v60
	v_pk_fma_f16 v61, v3, v55, v61
	v_pk_fma_f16 v62, v3, v46, v62
	v_pk_fma_f16 v63, v3, v56, v63
	v_pk_fma_f16 v64, v3, v47, v1
	v_pk_fma_f16 v22, v4, v53, v22
	v_pk_fma_f16 v23, v4, v44, v23
	v_pk_fma_f16 v48, v4, v54, v48
	v_pk_fma_f16 v49, v4, v45, v49
	v_pk_fma_f16 v50, v4, v55, v50
	v_pk_fma_f16 v52, v4, v46, v52
	v_pk_fma_f16 v51, v4, v56, v51
	v_pk_fma_f16 v53, v4, v47, v2
	ds_read2_b64 v[1:4], v21 offset0:64 offset1:96
	ds_read_b128 v[44:47], v19 offset:26528
	s_waitcnt lgkmcnt(0)
	v_mul_u32_u24_sdwa v54, v44, v24 dst_sel:DWORD dst_unused:UNUSED_PAD src0_sel:WORD_0 src1_sel:DWORD
	v_mul_u32_u24_sdwa v44, v44, v24 dst_sel:DWORD dst_unused:UNUSED_PAD src0_sel:WORD_1 src1_sel:DWORD
	v_mul_u32_u24_sdwa v55, v45, v24 dst_sel:DWORD dst_unused:UNUSED_PAD src0_sel:WORD_0 src1_sel:DWORD
	v_mul_u32_u24_sdwa v45, v45, v24 dst_sel:DWORD dst_unused:UNUSED_PAD src0_sel:WORD_1 src1_sel:DWORD
	v_mul_u32_u24_sdwa v56, v46, v24 dst_sel:DWORD dst_unused:UNUSED_PAD src0_sel:WORD_0 src1_sel:DWORD
	v_mul_u32_u24_sdwa v46, v46, v24 dst_sel:DWORD dst_unused:UNUSED_PAD src0_sel:WORD_1 src1_sel:DWORD
	v_mul_u32_u24_sdwa v65, v47, v24 dst_sel:DWORD dst_unused:UNUSED_PAD src0_sel:WORD_0 src1_sel:DWORD
	v_mul_u32_u24_sdwa v47, v47, v24 dst_sel:DWORD dst_unused:UNUSED_PAD src0_sel:WORD_1 src1_sel:DWORD
	v_pk_fma_f16 v57, v1, v54, v57
	v_pk_fma_f16 v58, v1, v44, v58
	v_pk_fma_f16 v59, v1, v55, v59
	v_pk_fma_f16 v60, v1, v45, v60
	v_pk_fma_f16 v61, v1, v56, v61
	v_pk_fma_f16 v62, v1, v46, v62
	v_pk_fma_f16 v63, v1, v65, v63
	v_pk_fma_f16 v1, v1, v47, v64
	v_pk_fma_f16 v22, v2, v54, v22
	v_pk_fma_f16 v23, v2, v44, v23
	v_pk_fma_f16 v48, v2, v55, v48
	v_pk_fma_f16 v49, v2, v45, v49
	v_pk_fma_f16 v50, v2, v56, v50
	v_pk_fma_f16 v52, v2, v46, v52
	v_pk_fma_f16 v51, v2, v65, v51
	v_pk_fma_f16 v2, v2, v47, v53
	ds_read_b128 v[44:47], v19 offset:26544
	s_waitcnt lgkmcnt(0)
	v_mul_u32_u24_sdwa v53, v44, v24 dst_sel:DWORD dst_unused:UNUSED_PAD src0_sel:WORD_0 src1_sel:DWORD
	v_mul_u32_u24_sdwa v44, v44, v24 dst_sel:DWORD dst_unused:UNUSED_PAD src0_sel:WORD_1 src1_sel:DWORD
	v_mul_u32_u24_sdwa v54, v45, v24 dst_sel:DWORD dst_unused:UNUSED_PAD src0_sel:WORD_0 src1_sel:DWORD
	v_mul_u32_u24_sdwa v45, v45, v24 dst_sel:DWORD dst_unused:UNUSED_PAD src0_sel:WORD_1 src1_sel:DWORD
	v_mul_u32_u24_sdwa v55, v46, v24 dst_sel:DWORD dst_unused:UNUSED_PAD src0_sel:WORD_0 src1_sel:DWORD
	v_mul_u32_u24_sdwa v46, v46, v24 dst_sel:DWORD dst_unused:UNUSED_PAD src0_sel:WORD_1 src1_sel:DWORD
	v_mul_u32_u24_sdwa v56, v47, v24 dst_sel:DWORD dst_unused:UNUSED_PAD src0_sel:WORD_0 src1_sel:DWORD
	v_mul_u32_u24_sdwa v47, v47, v24 dst_sel:DWORD dst_unused:UNUSED_PAD src0_sel:WORD_1 src1_sel:DWORD
	v_pk_fma_f16 v57, v3, v53, v57
	v_pk_fma_f16 v58, v3, v44, v58
	v_pk_fma_f16 v59, v3, v54, v59
	v_pk_fma_f16 v60, v3, v45, v60
	v_pk_fma_f16 v61, v3, v55, v61
	v_pk_fma_f16 v62, v3, v46, v62
	v_pk_fma_f16 v63, v3, v56, v63
	v_pk_fma_f16 v64, v3, v47, v1
	v_pk_fma_f16 v22, v4, v53, v22
	v_pk_fma_f16 v23, v4, v44, v23
	v_pk_fma_f16 v48, v4, v54, v48
	v_pk_fma_f16 v49, v4, v45, v49
	v_pk_fma_f16 v50, v4, v55, v50
	v_pk_fma_f16 v52, v4, v46, v52
	v_pk_fma_f16 v51, v4, v56, v51
	v_pk_fma_f16 v53, v4, v47, v2
	ds_read2_b64 v[1:4], v21 offset0:128 offset1:160
	;; [unrolled: 53-line block ×3, first 2 shown]
	ds_read_b128 v[44:47], v19 offset:26592
	s_waitcnt lgkmcnt(0)
	v_mul_u32_u24_sdwa v21, v44, v24 dst_sel:DWORD dst_unused:UNUSED_PAD src0_sel:WORD_0 src1_sel:DWORD
	v_mul_u32_u24_sdwa v44, v44, v24 dst_sel:DWORD dst_unused:UNUSED_PAD src0_sel:WORD_1 src1_sel:DWORD
	v_mul_u32_u24_sdwa v54, v45, v24 dst_sel:DWORD dst_unused:UNUSED_PAD src0_sel:WORD_0 src1_sel:DWORD
	v_mul_u32_u24_sdwa v45, v45, v24 dst_sel:DWORD dst_unused:UNUSED_PAD src0_sel:WORD_1 src1_sel:DWORD
	;; [unrolled: 2-line block ×4, first 2 shown]
	v_pk_fma_f16 v57, v1, v21, v57
	v_pk_fma_f16 v58, v1, v44, v58
	v_pk_fma_f16 v59, v1, v54, v59
	v_pk_fma_f16 v65, v1, v45, v60
	v_pk_fma_f16 v61, v1, v55, v61
	v_pk_fma_f16 v66, v1, v46, v62
	v_pk_fma_f16 v63, v1, v56, v63
	v_pk_fma_f16 v1, v1, v47, v64
	v_pk_fma_f16 v21, v2, v21, v22
	v_pk_fma_f16 v22, v2, v44, v23
	v_pk_fma_f16 v23, v2, v54, v48
	v_pk_fma_f16 v48, v2, v45, v49
	v_pk_fma_f16 v49, v2, v55, v50
	v_pk_fma_f16 v50, v2, v46, v52
	v_pk_fma_f16 v67, v2, v56, v51
	v_pk_fma_f16 v2, v2, v47, v53
	ds_read_b128 v[44:47], v19 offset:26608
	s_waitcnt lgkmcnt(0)
	s_barrier
	buffer_gl0_inv
	v_mul_u32_u24_sdwa v19, v44, v24 dst_sel:DWORD dst_unused:UNUSED_PAD src0_sel:WORD_0 src1_sel:DWORD
	v_mul_u32_u24_sdwa v44, v44, v24 dst_sel:DWORD dst_unused:UNUSED_PAD src0_sel:WORD_1 src1_sel:DWORD
	v_mul_u32_u24_sdwa v53, v45, v24 dst_sel:DWORD dst_unused:UNUSED_PAD src0_sel:WORD_0 src1_sel:DWORD
	v_mul_u32_u24_sdwa v45, v45, v24 dst_sel:DWORD dst_unused:UNUSED_PAD src0_sel:WORD_1 src1_sel:DWORD
	;; [unrolled: 2-line block ×4, first 2 shown]
	v_pk_fma_f16 v64, v3, v19, v57
	v_pk_fma_f16 v62, v3, v44, v58
	;; [unrolled: 1-line block ×16, first 2 shown]
	v_mov_b32_e32 v66, v9
	v_mov_b32_e32 v67, v8
	;; [unrolled: 1-line block ×11, first 2 shown]
.LBB52_128:
	v_cmp_lt_i32_e32 vcc_lo, v80, v77
	s_cmp_eq_u64 s[20:21], 0
	s_cselect_b32 s6, -1, 0
	s_cmp_lg_u32 s34, 0
	v_cndmask_b32_e32 v1, v20, v80, vcc_lo
	v_cmp_lt_i32_e32 vcc_lo, v79, v77
	s_cselect_b32 s7, -1, 0
	s_or_b32 s6, s7, s6
	v_lshlrev_b32_e32 v1, 2, v1
	v_cndmask_b32_e32 v17, v20, v79, vcc_lo
	v_cmp_lt_i32_e32 vcc_lo, v78, v77
	ds_bpermute_b32 v10, v1, v73
	ds_bpermute_b32 v11, v1, v72
	;; [unrolled: 1-line block ×8, first 2 shown]
	v_lshlrev_b32_e32 v17, 2, v17
	v_cndmask_b32_e32 v43, v20, v78, vcc_lo
	v_cmp_lt_i32_e32 vcc_lo, v76, v77
	v_lshlrev_b32_e32 v43, 2, v43
	s_waitcnt lgkmcnt(7)
	v_add_f32_e32 v10, v73, v10
	s_waitcnt lgkmcnt(6)
	v_add_f32_e32 v11, v72, v11
	;; [unrolled: 2-line block ×8, first 2 shown]
	ds_bpermute_b32 v18, v17, v10
	ds_bpermute_b32 v19, v17, v11
	ds_bpermute_b32 v21, v17, v12
	ds_bpermute_b32 v22, v17, v13
	ds_bpermute_b32 v23, v17, v14
	ds_bpermute_b32 v24, v17, v15
	ds_bpermute_b32 v25, v17, v16
	ds_bpermute_b32 v17, v17, v1
	s_waitcnt lgkmcnt(7)
	v_add_f32_e32 v10, v10, v18
	s_waitcnt lgkmcnt(6)
	v_add_f32_e32 v11, v11, v19
	;; [unrolled: 2-line block ×8, first 2 shown]
	ds_bpermute_b32 v17, v43, v10
	ds_bpermute_b32 v18, v43, v11
	;; [unrolled: 1-line block ×8, first 2 shown]
	v_cndmask_b32_e32 v43, v20, v76, vcc_lo
	v_cmp_lt_i32_e32 vcc_lo, v75, v77
	v_lshlrev_b32_e32 v43, 2, v43
	v_cndmask_b32_e32 v20, v20, v75, vcc_lo
	s_and_b32 vcc_lo, exec_lo, s6
	v_lshlrev_b32_e32 v20, 2, v20
	s_waitcnt lgkmcnt(7)
	v_add_f32_e32 v10, v10, v17
	s_waitcnt lgkmcnt(6)
	v_add_f32_e32 v11, v11, v18
	s_waitcnt lgkmcnt(5)
	v_add_f32_e32 v12, v12, v19
	s_waitcnt lgkmcnt(4)
	v_add_f32_e32 v13, v13, v21
	s_waitcnt lgkmcnt(3)
	v_add_f32_e32 v14, v14, v22
	s_waitcnt lgkmcnt(2)
	v_add_f32_e32 v15, v15, v23
	s_waitcnt lgkmcnt(1)
	v_add_f32_e32 v16, v16, v24
	s_waitcnt lgkmcnt(0)
	v_add_f32_e32 v1, v1, v25
	ds_bpermute_b32 v17, v43, v10
	ds_bpermute_b32 v18, v43, v11
	;; [unrolled: 1-line block ×8, first 2 shown]
	s_waitcnt lgkmcnt(7)
	v_add_f32_e32 v10, v10, v17
	s_waitcnt lgkmcnt(6)
	v_add_f32_e32 v11, v11, v18
	s_waitcnt lgkmcnt(5)
	v_add_f32_e32 v12, v12, v19
	s_waitcnt lgkmcnt(4)
	v_add_f32_e32 v13, v13, v21
	s_waitcnt lgkmcnt(3)
	v_add_f32_e32 v14, v14, v22
	s_waitcnt lgkmcnt(2)
	v_add_f32_e32 v15, v15, v23
	s_waitcnt lgkmcnt(1)
	v_add_f32_e32 v16, v16, v24
	s_waitcnt lgkmcnt(0)
	v_add_f32_e32 v1, v1, v25
	ds_bpermute_b32 v17, v20, v10
	ds_bpermute_b32 v18, v20, v11
	;; [unrolled: 1-line block ×8, first 2 shown]
	s_waitcnt lgkmcnt(7)
	v_add_f32_e32 v10, v10, v17
	s_waitcnt lgkmcnt(6)
	v_add_f32_e32 v11, v11, v18
	;; [unrolled: 2-line block ×8, first 2 shown]
	s_cbranch_vccnz .LBB52_131
; %bb.129:
	s_lshl_b64 s[6:7], s[44:45], 2
	v_mov_b32_e32 v1, 0
	s_add_u32 s6, s20, s6
	s_addc_u32 s7, s21, s7
	v_max_f32_e32 v18, v2, v2
	v_max_f32_e32 v19, v3, v3
	global_load_dword v1, v1, s[6:7]
	v_max_f32_e32 v25, v8, v8
	v_max_f32_e32 v44, v9, v9
	;; [unrolled: 1-line block ×6, first 2 shown]
	v_mov_b32_e32 v43, 0x10001
	s_waitcnt vmcnt(0)
	v_max_f32_e32 v22, v1, v1
	v_max_f32_e32 v66, v18, v22
	;; [unrolled: 1-line block ×6, first 2 shown]
	v_sub_f32_e32 v2, v2, v66
	v_sub_f32_e32 v18, v1, v66
	v_sub_f32_e32 v3, v3, v67
	v_sub_f32_e32 v19, v1, v67
	v_sub_f32_e32 v4, v4, v68
	v_mul_f32_e32 v25, 0x3fb8aa3b, v2
	v_mul_f32_e32 v44, 0x3fb8aa3b, v18
	;; [unrolled: 1-line block ×4, first 2 shown]
	v_max_f32_e32 v69, v21, v22
	v_fma_f32 v83, 0x3fb8aa3b, v2, -v25
	v_rndne_f32_e32 v84, v25
	v_fma_f32 v85, 0x3fb8aa3b, v18, -v44
	v_rndne_f32_e32 v86, v44
	v_fma_f32 v87, 0x3fb8aa3b, v3, -v45
	v_fmac_f32_e32 v83, 0x32a5705f, v2
	v_sub_f32_e32 v25, v25, v84
	v_rndne_f32_e32 v88, v45
	v_fmac_f32_e32 v85, 0x32a5705f, v18
	v_sub_f32_e32 v44, v44, v86
	v_sub_f32_e32 v20, v1, v68
	v_add_f32_e32 v25, v25, v83
	v_mul_f32_e32 v47, 0x3fb8aa3b, v4
	v_fma_f32 v89, 0x3fb8aa3b, v19, -v46
	v_rndne_f32_e32 v90, v46
	v_fmac_f32_e32 v87, 0x32a5705f, v3
	v_sub_f32_e32 v45, v45, v88
	v_add_f32_e32 v44, v44, v85
	v_exp_f32_e32 v25, v25
	v_sub_f32_e32 v5, v5, v69
	v_mul_f32_e32 v48, 0x3fb8aa3b, v20
	v_fma_f32 v91, 0x3fb8aa3b, v4, -v47
	v_rndne_f32_e32 v92, v47
	v_cvt_i32_f32_e32 v84, v84
	v_fmac_f32_e32 v89, 0x32a5705f, v19
	v_sub_f32_e32 v46, v46, v90
	v_add_f32_e32 v45, v45, v87
	v_exp_f32_e32 v44, v44
	v_max_f32_e32 v70, v23, v22
	v_sub_f32_e32 v21, v1, v69
	v_mul_f32_e32 v49, 0x3fb8aa3b, v5
	v_fma_f32 v93, 0x3fb8aa3b, v20, -v48
	v_rndne_f32_e32 v94, v48
	v_cvt_i32_f32_e32 v86, v86
	v_fmac_f32_e32 v91, 0x32a5705f, v4
	v_sub_f32_e32 v47, v47, v92
	v_add_f32_e32 v46, v46, v89
	v_exp_f32_e32 v45, v45
	v_ldexp_f32 v25, v25, v84
	v_cmp_ngt_f32_e32 vcc_lo, 0xc2ce8ed0, v2
	v_sub_f32_e32 v6, v6, v70
	v_mul_f32_e32 v74, 0x3fb8aa3b, v21
	v_fma_f32 v95, 0x3fb8aa3b, v5, -v49
	v_rndne_f32_e32 v96, v49
	v_cvt_i32_f32_e32 v88, v88
	v_fmac_f32_e32 v93, 0x32a5705f, v20
	v_sub_f32_e32 v48, v48, v94
	v_add_f32_e32 v47, v47, v91
	v_exp_f32_e32 v46, v46
	v_ldexp_f32 v44, v44, v86
	v_cndmask_b32_e32 v25, 0, v25, vcc_lo
	v_cmp_ngt_f32_e32 vcc_lo, 0xc2ce8ed0, v18
	v_max_f32_e32 v71, v24, v22
	v_sub_f32_e32 v22, v1, v70
	v_mul_f32_e32 v75, 0x3fb8aa3b, v6
	v_fma_f32 v97, 0x3fb8aa3b, v21, -v74
	v_rndne_f32_e32 v98, v74
	v_cvt_i32_f32_e32 v90, v90
	v_fmac_f32_e32 v95, 0x32a5705f, v5
	v_sub_f32_e32 v49, v49, v96
	v_add_f32_e32 v48, v48, v93
	v_exp_f32_e32 v47, v47
	v_ldexp_f32 v45, v45, v88
	v_cndmask_b32_e32 v44, 0, v44, vcc_lo
	v_cmp_ngt_f32_e32 vcc_lo, 0xc2ce8ed0, v3
	v_sub_f32_e32 v7, v7, v71
	v_mul_f32_e32 v76, 0x3fb8aa3b, v22
	v_fma_f32 v99, 0x3fb8aa3b, v6, -v75
	v_rndne_f32_e32 v100, v75
	v_cvt_i32_f32_e32 v92, v92
	v_fmac_f32_e32 v97, 0x32a5705f, v21
	v_sub_f32_e32 v74, v74, v98
	v_add_f32_e32 v49, v49, v95
	v_exp_f32_e32 v48, v48
	v_ldexp_f32 v46, v46, v90
	v_cndmask_b32_e32 v45, 0, v45, vcc_lo
	v_cmp_ngt_f32_e32 vcc_lo, 0xc2ce8ed0, v19
	;; [unrolled: 12-line block ×7, first 2 shown]
	v_mul_f32_e32 v82, 0x3fb8aa3b, v1
	v_fma_f32 v111, 0x3fb8aa3b, v9, -v81
	v_rndne_f32_e32 v112, v81
	v_cvt_i32_f32_e32 v104, v104
	v_fmac_f32_e32 v109, 0x32a5705f, v24
	v_sub_f32_e32 v80, v80, v110
	v_add_f32_e32 v79, v79, v107
	v_exp_f32_e32 v78, v78
	v_ldexp_f32 v76, v76, v102
	v_cndmask_b32_e32 v75, 0, v75, vcc_lo
	v_cmp_ngt_f32_e32 vcc_lo, 0xc2ce8ed0, v22
	v_fma_f32 v113, 0x3fb8aa3b, v1, -v82
	v_rndne_f32_e32 v114, v82
	v_cvt_i32_f32_e32 v106, v106
	v_fmac_f32_e32 v111, 0x32a5705f, v9
	v_sub_f32_e32 v81, v81, v112
	v_add_f32_e32 v80, v80, v109
	v_exp_f32_e32 v79, v79
	v_ldexp_f32 v77, v77, v104
	v_cndmask_b32_e32 v76, 0, v76, vcc_lo
	v_cmp_ngt_f32_e32 vcc_lo, 0xc2ce8ed0, v7
	v_cvt_i32_f32_e32 v108, v108
	v_fmac_f32_e32 v113, 0x32a5705f, v1
	v_sub_f32_e32 v82, v82, v114
	v_add_f32_e32 v81, v81, v111
	v_exp_f32_e32 v80, v80
	v_ldexp_f32 v78, v78, v106
	v_cndmask_b32_e32 v77, 0, v77, vcc_lo
	v_cmp_ngt_f32_e32 vcc_lo, 0xc2ce8ed0, v23
	v_cvt_i32_f32_e32 v110, v110
	v_add_f32_e32 v82, v82, v113
	v_exp_f32_e32 v81, v81
	v_ldexp_f32 v79, v79, v108
	v_cndmask_b32_e32 v78, 0, v78, vcc_lo
	v_cmp_ngt_f32_e32 vcc_lo, 0xc2ce8ed0, v8
	v_cvt_i32_f32_e32 v112, v112
	v_exp_f32_e32 v82, v82
	v_ldexp_f32 v80, v80, v110
	v_cvt_i32_f32_e32 v114, v114
	v_cndmask_b32_e32 v79, 0, v79, vcc_lo
	v_cmp_ngt_f32_e32 vcc_lo, 0xc2ce8ed0, v24
	v_ldexp_f32 v81, v81, v112
	v_cndmask_b32_e32 v80, 0, v80, vcc_lo
	v_cmp_ngt_f32_e32 vcc_lo, 0xc2ce8ed0, v9
	v_ldexp_f32 v82, v82, v114
	v_cndmask_b32_e32 v81, 0, v81, vcc_lo
	v_cmp_ngt_f32_e32 vcc_lo, 0xc2ce8ed0, v1
	v_cndmask_b32_e32 v82, 0, v82, vcc_lo
	v_cmp_nlt_f32_e32 vcc_lo, 0x42b17218, v2
	v_cndmask_b32_e32 v2, 0x7f800000, v25, vcc_lo
	v_cmp_nlt_f32_e32 vcc_lo, 0x42b17218, v18
	;; [unrolled: 2-line block ×3, first 2 shown]
	v_fmac_f32_e32 v18, v10, v2
	v_cndmask_b32_e32 v3, 0x7f800000, v45, vcc_lo
	v_cmp_nlt_f32_e32 vcc_lo, 0x42b17218, v19
	v_cndmask_b32_e32 v19, 0x7f800000, v46, vcc_lo
	v_cmp_nlt_f32_e32 vcc_lo, 0x42b17218, v4
	v_fmac_f32_e32 v19, v11, v3
	v_cndmask_b32_e32 v4, 0x7f800000, v47, vcc_lo
	v_cmp_nlt_f32_e32 vcc_lo, 0x42b17218, v20
	v_cndmask_b32_e32 v20, 0x7f800000, v48, vcc_lo
	v_cmp_nlt_f32_e32 vcc_lo, 0x42b17218, v5
	;; [unrolled: 5-line block ×6, first 2 shown]
	v_fmac_f32_e32 v24, v16, v8
	v_cndmask_b32_e32 v9, 0x7f800000, v81, vcc_lo
	v_cmp_nlt_f32_e32 vcc_lo, 0x42b17218, v1
	v_cvt_f16_f32_e32 v1, v2
	v_cvt_f16_f32_e32 v2, v3
	;; [unrolled: 1-line block ×8, first 2 shown]
	v_cndmask_b32_e32 v25, 0x7f800000, v82, vcc_lo
	v_mul_u32_u24_sdwa v2, v2, v43 dst_sel:DWORD dst_unused:UNUSED_PAD src0_sel:WORD_0 src1_sel:DWORD
	v_mul_u32_u24_sdwa v3, v3, v43 dst_sel:DWORD dst_unused:UNUSED_PAD src0_sel:WORD_0 src1_sel:DWORD
	;; [unrolled: 1-line block ×7, first 2 shown]
	v_fmac_f32_e32 v25, v17, v9
	v_mul_u32_u24_sdwa v1, v1, v43 dst_sel:DWORD dst_unused:UNUSED_PAD src0_sel:WORD_0 src1_sel:DWORD
	v_mov_b32_e32 v10, v18
	v_pk_mul_f16 v62, v62, v2
	v_pk_mul_f16 v63, v63, v2
	;; [unrolled: 1-line block ×14, first 2 shown]
	v_mov_b32_e32 v2, v66
	v_mov_b32_e32 v11, v19
	;; [unrolled: 1-line block ×8, first 2 shown]
	v_pk_mul_f16 v64, v64, v1
	v_pk_mul_f16 v65, v65, v1
	v_mov_b32_e32 v3, v67
	v_mov_b32_e32 v4, v68
	;; [unrolled: 1-line block ×7, first 2 shown]
	s_mov_b32 s6, exec_lo
	v_cmpx_gt_i32_e64 s30, v27
	s_cbranch_execnz .LBB52_132
.LBB52_130:
	s_endpgm
.LBB52_131:
	v_mov_b32_e32 v18, v10
	v_mov_b32_e32 v19, v11
	;; [unrolled: 1-line block ×8, first 2 shown]
	s_mov_b32 s6, exec_lo
	v_cmpx_gt_i32_e64 s30, v27
	s_cbranch_execz .LBB52_130
.LBB52_132:
	s_load_dword s5, s[4:5], 0xd4
	v_mov_b32_e32 v1, 1.0
	s_waitcnt lgkmcnt(0)
	s_cmp_lg_u32 s5, 1
	s_cselect_b32 s8, -1, 0
	s_cmp_eq_u32 s5, 1
	s_cselect_b32 s7, -1, 0
	s_and_b32 vcc_lo, exec_lo, s8
	s_cbranch_vccnz .LBB52_134
; %bb.133:
	v_div_scale_f32 v1, null, v18, v18, 1.0
	v_rcp_f32_e32 v27, v1
	v_fma_f32 v43, -v1, v27, 1.0
	v_fmac_f32_e32 v27, v43, v27
	v_div_scale_f32 v43, vcc_lo, 1.0, v18, 1.0
	v_mul_f32_e32 v44, v43, v27
	v_fma_f32 v45, -v1, v44, v43
	v_fmac_f32_e32 v44, v45, v27
	v_fma_f32 v1, -v1, v44, v43
	v_div_fmas_f32 v1, v1, v27, v44
	v_div_fixup_f32 v1, v1, v18, 1.0
.LBB52_134:
	s_mul_i32 s6, s33, s30
	v_mov_b32_e32 v44, 0
	s_add_i32 s6, s6, s18
	v_cmp_eq_u32_e32 vcc_lo, 0, v0
	v_add_nc_u32_e32 v18, s6, v26
	v_cvt_f32_f16_e32 v0, v64
	v_cvt_f32_f16_sdwa v46, v65 dst_sel:DWORD dst_unused:UNUSED_PAD src0_sel:WORD_1
	v_mad_u64_u32 v[26:27], null, v18, s31, s[44:45]
	v_cvt_f32_f16_sdwa v18, v64 dst_sel:DWORD dst_unused:UNUSED_PAD src0_sel:WORD_1
	v_mul_f32_e32 v46, v1, v46
	v_mad_u64_u32 v[26:27], null, s5, v26, s[34:35]
	v_cvt_f32_f16_e32 v27, v65
	v_mul_f32_e32 v45, v1, v27
	v_lshl_add_u32 v43, v26, 7, v38
	v_lshlrev_b64 v[47:48], 2, v[43:44]
	v_mul_f32_e32 v43, v1, v0
	v_mul_f32_e32 v44, v1, v18
	v_add_co_u32 v0, s4, s24, v47
	v_add_co_ci_u32_e64 v1, null, s25, v48, s4
	s_and_b32 s4, vcc_lo, s8
	global_store_dwordx4 v[0:1], v[43:46], off
	s_and_saveexec_b32 s8, s4
	s_cbranch_execz .LBB52_136
; %bb.135:
	v_ashrrev_i32_e32 v27, 31, v26
	v_lshlrev_b64 v[0:1], 3, v[26:27]
	v_mov_b32_e32 v26, v2
	v_mov_b32_e32 v27, v10
	v_add_co_u32 v0, vcc_lo, s26, v0
	v_add_co_ci_u32_e64 v1, null, s27, v1, vcc_lo
	global_store_dwordx2 v[0:1], v[26:27], off
.LBB52_136:
	s_or_b32 exec_lo, exec_lo, s8
	v_cmp_gt_i32_e32 vcc_lo, s30, v42
	s_and_b32 exec_lo, exec_lo, vcc_lo
	s_cbranch_execz .LBB52_130
; %bb.137:
	v_cndmask_b32_e64 v2, 0, 1, s7
	v_mov_b32_e32 v10, 1.0
	s_andn2_b32 vcc_lo, exec_lo, s7
	s_cbranch_vccnz .LBB52_139
; %bb.138:
	v_div_scale_f32 v0, null, v19, v19, 1.0
	v_rcp_f32_e32 v1, v0
	v_fma_f32 v10, -v0, v1, 1.0
	v_fmac_f32_e32 v1, v10, v1
	v_div_scale_f32 v10, vcc_lo, 1.0, v19, 1.0
	v_mul_f32_e32 v18, v10, v1
	v_fma_f32 v26, -v0, v18, v10
	v_fmac_f32_e32 v18, v26, v1
	v_fma_f32 v0, -v0, v18, v10
	v_div_fmas_f32 v0, v0, v1, v18
	v_div_fixup_f32 v10, v0, v19, 1.0
.LBB52_139:
	v_add_nc_u32_e32 v0, s6, v40
	v_mov_b32_e32 v19, 0
	v_cvt_f32_f16_sdwa v26, v62 dst_sel:DWORD dst_unused:UNUSED_PAD src0_sel:WORD_1
	v_cvt_f32_f16_e32 v27, v63
	v_cvt_f32_f16_sdwa v40, v63 dst_sel:DWORD dst_unused:UNUSED_PAD src0_sel:WORD_1
	v_mad_u64_u32 v[0:1], null, v0, s31, s[44:45]
	v_mul_f32_e32 v43, v10, v26
	v_mul_f32_e32 v44, v10, v27
	v_mul_f32_e32 v45, v10, v40
	v_mad_u64_u32 v[0:1], null, s5, v0, s[34:35]
	v_cvt_f32_f16_e32 v1, v62
	v_mul_f32_e32 v42, v10, v1
	v_lshl_add_u32 v18, v0, 7, v38
	v_lshlrev_b64 v[18:19], 2, v[18:19]
	v_add_co_u32 v18, vcc_lo, s24, v18
	v_add_co_ci_u32_e64 v19, null, s25, v19, vcc_lo
	global_store_dwordx4 v[18:19], v[42:45], off
	s_and_saveexec_b32 s7, s4
	s_cbranch_execz .LBB52_141
; %bb.140:
	v_ashrrev_i32_e32 v1, 31, v0
	v_mov_b32_e32 v10, v3
	v_lshlrev_b64 v[0:1], 3, v[0:1]
	v_add_co_u32 v0, vcc_lo, s26, v0
	v_add_co_ci_u32_e64 v1, null, s27, v1, vcc_lo
	global_store_dwordx2 v[0:1], v[10:11], off
.LBB52_141:
	s_or_b32 exec_lo, exec_lo, s7
	v_cmp_gt_i32_e32 vcc_lo, s30, v41
	s_and_b32 exec_lo, exec_lo, vcc_lo
	s_cbranch_execz .LBB52_130
; %bb.142:
	v_cmp_ne_u32_e32 vcc_lo, 1, v2
	v_mov_b32_e32 v3, 1.0
	s_cbranch_vccnz .LBB52_144
; %bb.143:
	v_div_scale_f32 v0, null, v20, v20, 1.0
	v_rcp_f32_e32 v1, v0
	v_fma_f32 v3, -v0, v1, 1.0
	v_fmac_f32_e32 v1, v3, v1
	v_div_scale_f32 v3, vcc_lo, 1.0, v20, 1.0
	v_mul_f32_e32 v10, v3, v1
	v_fma_f32 v11, -v0, v10, v3
	v_fmac_f32_e32 v10, v11, v1
	v_fma_f32 v0, -v0, v10, v3
	v_div_fmas_f32 v0, v0, v1, v10
	v_div_fixup_f32 v3, v0, v20, 1.0
.LBB52_144:
	v_add_nc_u32_e32 v0, s6, v37
	v_mov_b32_e32 v11, 0
	v_cvt_f32_f16_sdwa v18, v60 dst_sel:DWORD dst_unused:UNUSED_PAD src0_sel:WORD_1
	v_cvt_f32_f16_e32 v19, v61
	v_cvt_f32_f16_sdwa v20, v61 dst_sel:DWORD dst_unused:UNUSED_PAD src0_sel:WORD_1
	v_mad_u64_u32 v[0:1], null, v0, s31, s[44:45]
	v_mul_f32_e32 v41, v3, v18
	v_mul_f32_e32 v42, v3, v19
	v_mul_f32_e32 v43, v3, v20
	v_mad_u64_u32 v[0:1], null, s5, v0, s[34:35]
	v_cvt_f32_f16_e32 v1, v60
	v_mul_f32_e32 v40, v3, v1
	v_lshl_add_u32 v10, v0, 7, v38
	v_lshlrev_b64 v[10:11], 2, v[10:11]
	v_add_co_u32 v10, vcc_lo, s24, v10
	v_add_co_ci_u32_e64 v11, null, s25, v11, vcc_lo
	global_store_dwordx4 v[10:11], v[40:43], off
	s_and_saveexec_b32 s7, s4
	s_cbranch_execz .LBB52_146
; %bb.145:
	v_ashrrev_i32_e32 v1, 31, v0
	v_mov_b32_e32 v11, v4
	v_lshlrev_b64 v[0:1], 3, v[0:1]
	v_add_co_u32 v0, vcc_lo, s26, v0
	v_add_co_ci_u32_e64 v1, null, s27, v1, vcc_lo
	global_store_dwordx2 v[0:1], v[11:12], off
.LBB52_146:
	s_or_b32 exec_lo, exec_lo, s7
	v_cmp_gt_i32_e32 vcc_lo, s30, v39
	s_and_b32 exec_lo, exec_lo, vcc_lo
	s_cbranch_execz .LBB52_130
; %bb.147:
	v_cmp_ne_u32_e32 vcc_lo, 1, v2
	v_mov_b32_e32 v3, 1.0
	;; [unrolled: 48-line block ×5, first 2 shown]
	s_cbranch_vccnz .LBB52_164
; %bb.163:
	v_div_scale_f32 v0, null, v24, v24, 1.0
	v_rcp_f32_e32 v1, v0
	v_fma_f32 v3, -v0, v1, 1.0
	v_fmac_f32_e32 v1, v3, v1
	v_div_scale_f32 v3, vcc_lo, 1.0, v24, 1.0
	v_mul_f32_e32 v4, v3, v1
	v_fma_f32 v5, -v0, v4, v3
	v_fmac_f32_e32 v4, v5, v1
	v_fma_f32 v0, -v0, v4, v3
	v_div_fmas_f32 v0, v0, v1, v4
	v_div_fixup_f32 v3, v0, v24, 1.0
.LBB52_164:
	v_add_nc_u32_e32 v0, s6, v30
	v_mov_b32_e32 v5, 0
	v_cvt_f32_f16_sdwa v6, v52 dst_sel:DWORD dst_unused:UNUSED_PAD src0_sel:WORD_1
	v_cvt_f32_f16_e32 v7, v53
	v_cvt_f32_f16_sdwa v12, v53 dst_sel:DWORD dst_unused:UNUSED_PAD src0_sel:WORD_1
	v_mad_u64_u32 v[0:1], null, v0, s31, s[44:45]
	v_mad_u64_u32 v[0:1], null, s5, v0, s[34:35]
	v_cvt_f32_f16_e32 v1, v52
	v_lshl_add_u32 v4, v0, 7, v38
	v_lshlrev_b64 v[10:11], 2, v[4:5]
	v_mul_f32_e32 v4, v3, v1
	v_mul_f32_e32 v5, v3, v6
	;; [unrolled: 1-line block ×4, first 2 shown]
	v_add_co_u32 v10, vcc_lo, s24, v10
	v_add_co_ci_u32_e64 v11, null, s25, v11, vcc_lo
	global_store_dwordx4 v[10:11], v[4:7], off
	s_and_saveexec_b32 s7, s4
	s_cbranch_execz .LBB52_166
; %bb.165:
	v_ashrrev_i32_e32 v1, 31, v0
	v_mov_b32_e32 v15, v8
	v_lshlrev_b64 v[0:1], 3, v[0:1]
	v_add_co_u32 v0, vcc_lo, s26, v0
	v_add_co_ci_u32_e64 v1, null, s27, v1, vcc_lo
	global_store_dwordx2 v[0:1], v[15:16], off
.LBB52_166:
	s_or_b32 exec_lo, exec_lo, s7
	v_cmp_gt_i32_e32 vcc_lo, s30, v29
	s_and_b32 exec_lo, exec_lo, vcc_lo
	s_cbranch_execz .LBB52_130
; %bb.167:
	v_cmp_ne_u32_e32 vcc_lo, 1, v2
	v_mov_b32_e32 v2, 1.0
	s_cbranch_vccnz .LBB52_169
; %bb.168:
	v_div_scale_f32 v0, null, v25, v25, 1.0
	v_rcp_f32_e32 v1, v0
	v_fma_f32 v2, -v0, v1, 1.0
	v_fmac_f32_e32 v1, v2, v1
	v_div_scale_f32 v2, vcc_lo, 1.0, v25, 1.0
	v_mul_f32_e32 v3, v2, v1
	v_fma_f32 v4, -v0, v3, v2
	v_fmac_f32_e32 v3, v4, v1
	v_fma_f32 v0, -v0, v3, v2
	v_div_fmas_f32 v0, v0, v1, v3
	v_div_fixup_f32 v2, v0, v25, 1.0
.LBB52_169:
	v_add_nc_u32_e32 v0, s6, v28
	v_mov_b32_e32 v4, 0
	v_cvt_f32_f16_sdwa v5, v51 dst_sel:DWORD dst_unused:UNUSED_PAD src0_sel:WORD_1
	v_cvt_f32_f16_e32 v6, v50
	v_cvt_f32_f16_sdwa v10, v50 dst_sel:DWORD dst_unused:UNUSED_PAD src0_sel:WORD_1
	v_mad_u64_u32 v[0:1], null, v0, s31, s[44:45]
	v_mad_u64_u32 v[0:1], null, s5, v0, s[34:35]
	v_cvt_f32_f16_e32 v1, v51
	v_lshl_add_u32 v3, v0, 7, v38
	v_lshlrev_b64 v[7:8], 2, v[3:4]
	v_mul_f32_e32 v3, v2, v1
	v_mul_f32_e32 v4, v2, v5
	;; [unrolled: 1-line block ×4, first 2 shown]
	v_add_co_u32 v1, vcc_lo, s24, v7
	v_add_co_ci_u32_e64 v2, null, s25, v8, vcc_lo
	global_store_dwordx4 v[1:2], v[3:6], off
	s_and_b32 exec_lo, exec_lo, s4
	s_cbranch_execz .LBB52_130
; %bb.170:
	v_ashrrev_i32_e32 v1, 31, v0
	v_mov_b32_e32 v16, v9
	v_lshlrev_b64 v[0:1], 3, v[0:1]
	v_add_co_u32 v0, vcc_lo, s26, v0
	v_add_co_ci_u32_e64 v1, null, s27, v1, vcc_lo
	global_store_dwordx2 v[0:1], v[16:17], off
	s_endpgm
	.section	.rodata,"a",@progbits
	.p2align	6, 0x0
	.amdhsa_kernel _ZL15flash_attn_tileILi128ELi128ELi64ELi1ELb0EEvPKcS1_S1_S1_S1_PKiPfP15HIP_vector_typeIfLj2EEffffjfiS5_IjLj3EEiiiiiiiiiiiliiliiiiil
		.amdhsa_group_segment_fixed_size 33792
		.amdhsa_private_segment_fixed_size 32
		.amdhsa_kernarg_size 464
		.amdhsa_user_sgpr_count 8
		.amdhsa_user_sgpr_private_segment_buffer 1
		.amdhsa_user_sgpr_dispatch_ptr 0
		.amdhsa_user_sgpr_queue_ptr 0
		.amdhsa_user_sgpr_kernarg_segment_ptr 1
		.amdhsa_user_sgpr_dispatch_id 0
		.amdhsa_user_sgpr_flat_scratch_init 1
		.amdhsa_user_sgpr_private_segment_size 0
		.amdhsa_wavefront_size32 1
		.amdhsa_uses_dynamic_stack 0
		.amdhsa_system_sgpr_private_segment_wavefront_offset 1
		.amdhsa_system_sgpr_workgroup_id_x 1
		.amdhsa_system_sgpr_workgroup_id_y 1
		.amdhsa_system_sgpr_workgroup_id_z 1
		.amdhsa_system_sgpr_workgroup_info 0
		.amdhsa_system_vgpr_workitem_id 1
		.amdhsa_next_free_vgpr 156
		.amdhsa_next_free_sgpr 52
		.amdhsa_reserve_vcc 1
		.amdhsa_reserve_flat_scratch 1
		.amdhsa_float_round_mode_32 0
		.amdhsa_float_round_mode_16_64 0
		.amdhsa_float_denorm_mode_32 3
		.amdhsa_float_denorm_mode_16_64 3
		.amdhsa_dx10_clamp 1
		.amdhsa_ieee_mode 1
		.amdhsa_fp16_overflow 0
		.amdhsa_workgroup_processor_mode 1
		.amdhsa_memory_ordered 1
		.amdhsa_forward_progress 1
		.amdhsa_shared_vgpr_count 0
		.amdhsa_exception_fp_ieee_invalid_op 0
		.amdhsa_exception_fp_denorm_src 0
		.amdhsa_exception_fp_ieee_div_zero 0
		.amdhsa_exception_fp_ieee_overflow 0
		.amdhsa_exception_fp_ieee_underflow 0
		.amdhsa_exception_fp_ieee_inexact 0
		.amdhsa_exception_int_div_zero 0
	.end_amdhsa_kernel
	.section	.text._ZL15flash_attn_tileILi128ELi128ELi64ELi1ELb0EEvPKcS1_S1_S1_S1_PKiPfP15HIP_vector_typeIfLj2EEffffjfiS5_IjLj3EEiiiiiiiiiiiliiliiiiil,"axG",@progbits,_ZL15flash_attn_tileILi128ELi128ELi64ELi1ELb0EEvPKcS1_S1_S1_S1_PKiPfP15HIP_vector_typeIfLj2EEffffjfiS5_IjLj3EEiiiiiiiiiiiliiliiiiil,comdat
.Lfunc_end52:
	.size	_ZL15flash_attn_tileILi128ELi128ELi64ELi1ELb0EEvPKcS1_S1_S1_S1_PKiPfP15HIP_vector_typeIfLj2EEffffjfiS5_IjLj3EEiiiiiiiiiiiliiliiiiil, .Lfunc_end52-_ZL15flash_attn_tileILi128ELi128ELi64ELi1ELb0EEvPKcS1_S1_S1_S1_PKiPfP15HIP_vector_typeIfLj2EEffffjfiS5_IjLj3EEiiiiiiiiiiiliiliiiiil
                                        ; -- End function
	.set _ZL15flash_attn_tileILi128ELi128ELi64ELi1ELb0EEvPKcS1_S1_S1_S1_PKiPfP15HIP_vector_typeIfLj2EEffffjfiS5_IjLj3EEiiiiiiiiiiiliiliiiiil.num_vgpr, 156
	.set _ZL15flash_attn_tileILi128ELi128ELi64ELi1ELb0EEvPKcS1_S1_S1_S1_PKiPfP15HIP_vector_typeIfLj2EEffffjfiS5_IjLj3EEiiiiiiiiiiiliiliiiiil.num_agpr, 0
	.set _ZL15flash_attn_tileILi128ELi128ELi64ELi1ELb0EEvPKcS1_S1_S1_S1_PKiPfP15HIP_vector_typeIfLj2EEffffjfiS5_IjLj3EEiiiiiiiiiiiliiliiiiil.numbered_sgpr, 52
	.set _ZL15flash_attn_tileILi128ELi128ELi64ELi1ELb0EEvPKcS1_S1_S1_S1_PKiPfP15HIP_vector_typeIfLj2EEffffjfiS5_IjLj3EEiiiiiiiiiiiliiliiiiil.num_named_barrier, 0
	.set _ZL15flash_attn_tileILi128ELi128ELi64ELi1ELb0EEvPKcS1_S1_S1_S1_PKiPfP15HIP_vector_typeIfLj2EEffffjfiS5_IjLj3EEiiiiiiiiiiiliiliiiiil.private_seg_size, 32
	.set _ZL15flash_attn_tileILi128ELi128ELi64ELi1ELb0EEvPKcS1_S1_S1_S1_PKiPfP15HIP_vector_typeIfLj2EEffffjfiS5_IjLj3EEiiiiiiiiiiiliiliiiiil.uses_vcc, 1
	.set _ZL15flash_attn_tileILi128ELi128ELi64ELi1ELb0EEvPKcS1_S1_S1_S1_PKiPfP15HIP_vector_typeIfLj2EEffffjfiS5_IjLj3EEiiiiiiiiiiiliiliiiiil.uses_flat_scratch, 1
	.set _ZL15flash_attn_tileILi128ELi128ELi64ELi1ELb0EEvPKcS1_S1_S1_S1_PKiPfP15HIP_vector_typeIfLj2EEffffjfiS5_IjLj3EEiiiiiiiiiiiliiliiiiil.has_dyn_sized_stack, 0
	.set _ZL15flash_attn_tileILi128ELi128ELi64ELi1ELb0EEvPKcS1_S1_S1_S1_PKiPfP15HIP_vector_typeIfLj2EEffffjfiS5_IjLj3EEiiiiiiiiiiiliiliiiiil.has_recursion, 0
	.set _ZL15flash_attn_tileILi128ELi128ELi64ELi1ELb0EEvPKcS1_S1_S1_S1_PKiPfP15HIP_vector_typeIfLj2EEffffjfiS5_IjLj3EEiiiiiiiiiiiliiliiiiil.has_indirect_call, 0
	.section	.AMDGPU.csdata,"",@progbits
; Kernel info:
; codeLenInByte = 92712
; TotalNumSgprs: 54
; NumVgprs: 156
; ScratchSize: 32
; MemoryBound: 0
; FloatMode: 240
; IeeeMode: 1
; LDSByteSize: 33792 bytes/workgroup (compile time only)
; SGPRBlocks: 0
; VGPRBlocks: 19
; NumSGPRsForWavesPerEU: 54
; NumVGPRsForWavesPerEU: 156
; Occupancy: 6
; WaveLimiterHint : 0
; COMPUTE_PGM_RSRC2:SCRATCH_EN: 1
; COMPUTE_PGM_RSRC2:USER_SGPR: 8
; COMPUTE_PGM_RSRC2:TRAP_HANDLER: 0
; COMPUTE_PGM_RSRC2:TGID_X_EN: 1
; COMPUTE_PGM_RSRC2:TGID_Y_EN: 1
; COMPUTE_PGM_RSRC2:TGID_Z_EN: 1
; COMPUTE_PGM_RSRC2:TIDIG_COMP_CNT: 1
	.section	.text._ZL25flash_attn_mask_to_KV_maxILi64EEvPK7__half2Piiii,"axG",@progbits,_ZL25flash_attn_mask_to_KV_maxILi64EEvPK7__half2Piiii,comdat
	.globl	_ZL25flash_attn_mask_to_KV_maxILi64EEvPK7__half2Piiii ; -- Begin function _ZL25flash_attn_mask_to_KV_maxILi64EEvPK7__half2Piiii
	.p2align	8
	.type	_ZL25flash_attn_mask_to_KV_maxILi64EEvPK7__half2Piiii,@function
_ZL25flash_attn_mask_to_KV_maxILi64EEvPK7__half2Piiii: ; @_ZL25flash_attn_mask_to_KV_maxILi64EEvPK7__half2Piiii
; %bb.0:
	s_load_dwordx4 s[8:11], s[4:5], 0x0
	s_mov_b32 s0, exec_lo
	v_cmpx_gt_u32_e32 32, v0
; %bb.1:
	v_lshlrev_b32_e32 v1, 2, v0
	v_mov_b32_e32 v2, 1
	ds_write_b32 v1, v2
; %bb.2:
	s_or_b32 exec_lo, exec_lo, s0
	s_clause 0x1
	s_load_dwordx4 s[12:15], s[4:5], 0x10
	s_load_dword s1, s[4:5], 0x20
	v_and_b32_e32 v1, 31, v0
	v_lshrrev_b32_e32 v5, 3, v0
	v_mov_b32_e32 v2, 0
	v_mov_b32_e32 v6, 0x204
	s_waitcnt lgkmcnt(0)
	v_lshlrev_b32_e32 v7, 2, v1
	s_barrier
	buffer_gl0_inv
	s_mul_i32 s0, s6, s13
	s_mul_i32 s2, s14, s7
	s_lshl_b32 s0, s0, 6
	s_add_i32 s2, s2, s0
	v_cmp_eq_u32_e64 s0, 0, v1
	s_ashr_i32 s3, s2, 31
	s_lshl_b64 s[4:5], s[2:3], 2
	s_add_u32 s3, s8, s4
	s_addc_u32 s4, s9, s5
	s_lshl_b32 s5, s12, 8
	s_branch .LBB53_4
.LBB53_3:                               ;   in Loop: Header=BB53_4 Depth=1
	s_or_b32 exec_lo, exec_lo, s8
	s_waitcnt lgkmcnt(0)
	s_barrier
	buffer_gl0_inv
	ds_read_b32 v1, v7
	s_waitcnt lgkmcnt(0)
	s_barrier
	buffer_gl0_inv
	v_cmp_ne_u32_e32 vcc_lo, 0, v1
	s_cmp_lg_u32 vcc_lo, exec_lo
	s_cselect_b32 s8, -1, 0
	s_and_b32 vcc_lo, exec_lo, s8
	s_cbranch_vccnz .LBB53_260
.LBB53_4:                               ; =>This Inner Loop Header: Depth=1
	s_mov_b32 s2, s5
	s_addk_i32 s5, 0xff00
	s_cmp_lt_i32 s5, 0
	s_cbranch_scc1 .LBB53_259
; %bb.5:                                ;   in Loop: Header=BB53_4 Depth=1
	s_lshr_b32 s8, s5, 1
	v_add_nc_u32_e32 v1, s8, v0
	v_lshlrev_b64 v[3:4], 2, v[1:2]
	v_add_co_u32 v3, vcc_lo, s3, v3
	v_add_co_ci_u32_e64 v4, null, s4, v4, vcc_lo
	global_load_dword v3, v[3:4], off
	s_waitcnt vmcnt(0)
	v_cmp_class_f16_e64 s8, v3, 0x204
	v_cmp_class_f16_sdwa s9, v3, v6 src0_sel:WORD_1 src1_sel:DWORD
	s_and_b32 s12, s8, s9
	s_mov_b32 s9, 0
	s_and_saveexec_b32 s8, s12
	s_cbranch_execz .LBB53_257
; %bb.6:                                ;   in Loop: Header=BB53_4 Depth=1
	v_add_nc_u32_e32 v3, s13, v1
	s_mov_b32 s12, 0
	v_ashrrev_i32_e32 v4, 31, v3
	v_lshlrev_b64 v[8:9], 2, v[3:4]
	v_add_co_u32 v8, vcc_lo, s3, v8
	v_add_co_ci_u32_e64 v9, null, s4, v9, vcc_lo
	global_load_dword v1, v[8:9], off
	s_waitcnt vmcnt(0)
	v_cmp_class_f16_e64 s14, v1, 0x204
	s_and_saveexec_b32 s9, s14
	s_cbranch_execz .LBB53_256
; %bb.7:                                ;   in Loop: Header=BB53_4 Depth=1
	v_cmp_class_f16_sdwa s15, v1, v6 src0_sel:WORD_1 src1_sel:DWORD
	s_mov_b32 s14, 0
	s_and_saveexec_b32 s12, s15
	s_cbranch_execz .LBB53_255
; %bb.8:                                ;   in Loop: Header=BB53_4 Depth=1
	v_add_nc_u32_e32 v3, s13, v3
	s_mov_b32 s15, 0
	v_ashrrev_i32_e32 v4, 31, v3
	v_lshlrev_b64 v[8:9], 2, v[3:4]
	v_add_co_u32 v8, vcc_lo, s3, v8
	v_add_co_ci_u32_e64 v9, null, s4, v9, vcc_lo
	global_load_dword v1, v[8:9], off
	s_waitcnt vmcnt(0)
	v_cmp_class_f16_e64 s16, v1, 0x204
	s_and_saveexec_b32 s14, s16
	s_cbranch_execz .LBB53_254
; %bb.9:                                ;   in Loop: Header=BB53_4 Depth=1
	v_cmp_class_f16_sdwa s17, v1, v6 src0_sel:WORD_1 src1_sel:DWORD
	s_mov_b32 s16, 0
	s_and_saveexec_b32 s15, s17
	s_cbranch_execz .LBB53_253
; %bb.10:                               ;   in Loop: Header=BB53_4 Depth=1
	v_add_nc_u32_e32 v3, s13, v3
	s_mov_b32 s17, 0
	v_ashrrev_i32_e32 v4, 31, v3
	v_lshlrev_b64 v[8:9], 2, v[3:4]
	v_add_co_u32 v8, vcc_lo, s3, v8
	v_add_co_ci_u32_e64 v9, null, s4, v9, vcc_lo
	global_load_dword v1, v[8:9], off
	s_waitcnt vmcnt(0)
	v_cmp_class_f16_e64 s18, v1, 0x204
	s_and_saveexec_b32 s16, s18
	s_cbranch_execz .LBB53_252
; %bb.11:                               ;   in Loop: Header=BB53_4 Depth=1
	v_cmp_class_f16_sdwa s19, v1, v6 src0_sel:WORD_1 src1_sel:DWORD
	s_mov_b32 s18, 0
	s_and_saveexec_b32 s17, s19
	s_cbranch_execz .LBB53_251
; %bb.12:                               ;   in Loop: Header=BB53_4 Depth=1
	v_add_nc_u32_e32 v3, s13, v3
	s_mov_b32 s19, 0
	v_ashrrev_i32_e32 v4, 31, v3
	v_lshlrev_b64 v[8:9], 2, v[3:4]
	v_add_co_u32 v8, vcc_lo, s3, v8
	v_add_co_ci_u32_e64 v9, null, s4, v9, vcc_lo
	global_load_dword v1, v[8:9], off
	s_waitcnt vmcnt(0)
	v_cmp_class_f16_e64 s20, v1, 0x204
	s_and_saveexec_b32 s18, s20
	s_cbranch_execz .LBB53_250
; %bb.13:                               ;   in Loop: Header=BB53_4 Depth=1
	;; [unrolled: 17-line block ×24, first 2 shown]
	v_cmp_class_f16_sdwa s66, v1, v6 src0_sel:WORD_1 src1_sel:DWORD
	s_mov_b32 s65, 0
	s_and_saveexec_b32 s64, s66
	s_cbranch_execz .LBB53_205
; %bb.58:                               ;   in Loop: Header=BB53_4 Depth=1
	v_add_nc_u32_e32 v3, s13, v3
	v_ashrrev_i32_e32 v4, 31, v3
	v_lshlrev_b64 v[8:9], 2, v[3:4]
	v_add_co_u32 v8, vcc_lo, s3, v8
	v_add_co_ci_u32_e64 v9, null, s4, v9, vcc_lo
	global_load_dword v1, v[8:9], off
	s_waitcnt vmcnt(0)
	v_cmp_class_f16_e64 s66, v1, 0x204
	s_mov_b32 s67, exec_lo
	s_and_b32 s66, s67, s66
                                        ; implicit-def: $vgpr11 : SGPR spill to VGPR lane
	v_writelane_b32 v11, s67, 0
	s_mov_b32 exec_lo, s66
	s_cbranch_execz .LBB53_204
; %bb.59:                               ;   in Loop: Header=BB53_4 Depth=1
	v_cmp_class_f16_sdwa s66, v1, v6 src0_sel:WORD_1 src1_sel:DWORD
	s_mov_b32 s67, exec_lo
	s_and_b32 s66, s67, s66
	v_writelane_b32 v11, s67, 1
	s_mov_b32 exec_lo, s66
	s_cbranch_execz .LBB53_203
; %bb.60:                               ;   in Loop: Header=BB53_4 Depth=1
	v_add_nc_u32_e32 v3, s13, v3
	v_ashrrev_i32_e32 v4, 31, v3
	v_lshlrev_b64 v[8:9], 2, v[3:4]
	v_add_co_u32 v8, vcc_lo, s3, v8
	v_add_co_ci_u32_e64 v9, null, s4, v9, vcc_lo
	global_load_dword v1, v[8:9], off
	s_waitcnt vmcnt(0)
	v_cmp_class_f16_e64 s66, v1, 0x204
	s_mov_b32 s67, exec_lo
	s_and_b32 s66, s67, s66
	v_writelane_b32 v11, s67, 2
	s_mov_b32 exec_lo, s66
	s_cbranch_execz .LBB53_202
; %bb.61:                               ;   in Loop: Header=BB53_4 Depth=1
	v_cmp_class_f16_sdwa s66, v1, v6 src0_sel:WORD_1 src1_sel:DWORD
	s_mov_b32 s67, exec_lo
	s_and_b32 s66, s67, s66
	v_writelane_b32 v11, s67, 3
	s_mov_b32 exec_lo, s66
	s_cbranch_execz .LBB53_201
; %bb.62:                               ;   in Loop: Header=BB53_4 Depth=1
	v_add_nc_u32_e32 v3, s13, v3
	v_ashrrev_i32_e32 v4, 31, v3
	v_lshlrev_b64 v[8:9], 2, v[3:4]
	v_add_co_u32 v8, vcc_lo, s3, v8
	v_add_co_ci_u32_e64 v9, null, s4, v9, vcc_lo
	global_load_dword v1, v[8:9], off
	s_waitcnt vmcnt(0)
	v_cmp_class_f16_e64 s66, v1, 0x204
	s_mov_b32 s67, exec_lo
	s_and_b32 s66, s67, s66
	;; [unrolled: 21-line block ×16, first 2 shown]
                                        ; implicit-def: $vgpr10 : SGPR spill to VGPR lane
	v_writelane_b32 v10, s67, 0
	s_mov_b32 exec_lo, s66
	s_cbranch_execz .LBB53_172
; %bb.91:                               ;   in Loop: Header=BB53_4 Depth=1
	v_cmp_class_f16_sdwa s66, v1, v6 src0_sel:WORD_1 src1_sel:DWORD
	s_mov_b32 s67, exec_lo
	s_and_b32 s66, s67, s66
	v_writelane_b32 v10, s67, 1
	s_mov_b32 exec_lo, s66
	s_cbranch_execz .LBB53_171
; %bb.92:                               ;   in Loop: Header=BB53_4 Depth=1
	v_add_nc_u32_e32 v3, s13, v3
	v_ashrrev_i32_e32 v4, 31, v3
	v_lshlrev_b64 v[8:9], 2, v[3:4]
	v_add_co_u32 v8, vcc_lo, s3, v8
	v_add_co_ci_u32_e64 v9, null, s4, v9, vcc_lo
	global_load_dword v1, v[8:9], off
	s_waitcnt vmcnt(0)
	v_cmp_class_f16_e64 s66, v1, 0x204
	s_mov_b32 s67, exec_lo
	s_and_b32 s66, s67, s66
	v_writelane_b32 v10, s67, 2
	s_mov_b32 exec_lo, s66
	s_cbranch_execz .LBB53_170
; %bb.93:                               ;   in Loop: Header=BB53_4 Depth=1
	v_cmp_class_f16_sdwa s66, v1, v6 src0_sel:WORD_1 src1_sel:DWORD
	s_mov_b32 s67, exec_lo
	s_and_b32 s66, s67, s66
	v_writelane_b32 v10, s67, 3
	s_mov_b32 exec_lo, s66
	s_cbranch_execz .LBB53_169
; %bb.94:                               ;   in Loop: Header=BB53_4 Depth=1
	v_add_nc_u32_e32 v3, s13, v3
	v_ashrrev_i32_e32 v4, 31, v3
	v_lshlrev_b64 v[8:9], 2, v[3:4]
	v_add_co_u32 v8, vcc_lo, s3, v8
	v_add_co_ci_u32_e64 v9, null, s4, v9, vcc_lo
	global_load_dword v1, v[8:9], off
	s_waitcnt vmcnt(0)
	v_cmp_class_f16_e64 s66, v1, 0x204
	s_mov_b32 s67, exec_lo
	s_and_b32 s66, s67, s66
	v_writelane_b32 v10, s67, 4
	s_mov_b32 exec_lo, s66
	s_cbranch_execz .LBB53_168
; %bb.95:                               ;   in Loop: Header=BB53_4 Depth=1
	v_cmp_class_f16_sdwa s67, v1, v6 src0_sel:WORD_1 src1_sel:DWORD
	s_mov_b32 s66, 0
	s_and_saveexec_b32 s65, s67
	s_cbranch_execz .LBB53_167
; %bb.96:                               ;   in Loop: Header=BB53_4 Depth=1
	v_add_nc_u32_e32 v3, s13, v3
	s_mov_b32 s67, 0
	v_ashrrev_i32_e32 v4, 31, v3
	v_lshlrev_b64 v[8:9], 2, v[3:4]
	v_add_co_u32 v8, vcc_lo, s3, v8
	v_add_co_ci_u32_e64 v9, null, s4, v9, vcc_lo
	global_load_dword v1, v[8:9], off
	s_waitcnt vmcnt(0)
	v_cmp_class_f16_e64 s68, v1, 0x204
	s_and_saveexec_b32 s66, s68
	s_cbranch_execz .LBB53_166
; %bb.97:                               ;   in Loop: Header=BB53_4 Depth=1
	v_cmp_class_f16_sdwa s69, v1, v6 src0_sel:WORD_1 src1_sel:DWORD
	s_mov_b32 s68, 0
	s_and_saveexec_b32 s67, s69
	s_cbranch_execz .LBB53_165
; %bb.98:                               ;   in Loop: Header=BB53_4 Depth=1
	v_add_nc_u32_e32 v3, s13, v3
	s_mov_b32 s69, 0
	v_ashrrev_i32_e32 v4, 31, v3
	v_lshlrev_b64 v[8:9], 2, v[3:4]
	v_add_co_u32 v8, vcc_lo, s3, v8
	v_add_co_ci_u32_e64 v9, null, s4, v9, vcc_lo
	global_load_dword v1, v[8:9], off
	s_waitcnt vmcnt(0)
	v_cmp_class_f16_e64 s70, v1, 0x204
	s_and_saveexec_b32 s68, s70
	s_cbranch_execz .LBB53_164
; %bb.99:                               ;   in Loop: Header=BB53_4 Depth=1
	v_cmp_class_f16_sdwa s71, v1, v6 src0_sel:WORD_1 src1_sel:DWORD
	s_mov_b32 s70, 0
	s_and_saveexec_b32 s69, s71
	s_cbranch_execz .LBB53_163
; %bb.100:                              ;   in Loop: Header=BB53_4 Depth=1
	v_add_nc_u32_e32 v3, s13, v3
	s_mov_b32 s71, 0
	v_ashrrev_i32_e32 v4, 31, v3
	v_lshlrev_b64 v[8:9], 2, v[3:4]
	v_add_co_u32 v8, vcc_lo, s3, v8
	v_add_co_ci_u32_e64 v9, null, s4, v9, vcc_lo
	global_load_dword v1, v[8:9], off
	s_waitcnt vmcnt(0)
	v_cmp_class_f16_e64 s72, v1, 0x204
	s_and_saveexec_b32 s70, s72
	s_cbranch_execz .LBB53_162
; %bb.101:                              ;   in Loop: Header=BB53_4 Depth=1
	v_cmp_class_f16_sdwa s73, v1, v6 src0_sel:WORD_1 src1_sel:DWORD
	s_mov_b32 s72, 0
	s_and_saveexec_b32 s71, s73
	s_cbranch_execz .LBB53_161
; %bb.102:                              ;   in Loop: Header=BB53_4 Depth=1
	v_add_nc_u32_e32 v3, s13, v3
	s_mov_b32 s73, 0
	v_ashrrev_i32_e32 v4, 31, v3
	v_lshlrev_b64 v[8:9], 2, v[3:4]
	v_add_co_u32 v8, vcc_lo, s3, v8
	v_add_co_ci_u32_e64 v9, null, s4, v9, vcc_lo
	global_load_dword v1, v[8:9], off
	s_waitcnt vmcnt(0)
	v_cmp_class_f16_e64 s74, v1, 0x204
	s_and_saveexec_b32 s72, s74
	s_cbranch_execz .LBB53_160
; %bb.103:                              ;   in Loop: Header=BB53_4 Depth=1
	;; [unrolled: 17-line block ×15, first 2 shown]
	v_cmp_class_f16_sdwa s104, v1, v6 src0_sel:WORD_1 src1_sel:DWORD
	s_mov_b32 vcc_lo, 0
	s_and_saveexec_b32 s99, s104
	s_cbranch_execz .LBB53_133
; %bb.130:                              ;   in Loop: Header=BB53_4 Depth=1
	v_add_nc_u32_e32 v3, s13, v3
	v_ashrrev_i32_e32 v4, 31, v3
	v_lshlrev_b64 v[3:4], 2, v[3:4]
	v_add_co_u32 v3, vcc_lo, s3, v3
	v_add_co_ci_u32_e64 v4, null, s4, v4, vcc_lo
	s_mov_b32 vcc_lo, 0
	global_load_dword v1, v[3:4], off
	s_waitcnt vmcnt(0)
	v_cmp_class_f16_e64 vcc_hi, v1, 0x204
	s_and_saveexec_b32 s104, vcc_hi
; %bb.131:                              ;   in Loop: Header=BB53_4 Depth=1
	v_cmp_class_f16_sdwa vcc_hi, v1, v6 src0_sel:WORD_1 src1_sel:DWORD
	s_and_b32 vcc_lo, vcc_hi, exec_lo
; %bb.132:                              ;   in Loop: Header=BB53_4 Depth=1
	s_or_b32 exec_lo, exec_lo, s104
	s_and_b32 vcc_lo, vcc_lo, exec_lo
.LBB53_133:                             ;   in Loop: Header=BB53_4 Depth=1
	s_or_b32 exec_lo, exec_lo, s99
	s_and_b32 s99, vcc_lo, exec_lo
.LBB53_134:                             ;   in Loop: Header=BB53_4 Depth=1
	s_or_b32 exec_lo, exec_lo, s98
	s_and_b32 s98, s99, exec_lo
.LBB53_135:                             ;   in Loop: Header=BB53_4 Depth=1
	s_or_b32 exec_lo, exec_lo, s97
	s_and_b32 s97, s98, exec_lo
.LBB53_136:                             ;   in Loop: Header=BB53_4 Depth=1
	s_or_b32 exec_lo, exec_lo, s96
	s_and_b32 s96, s97, exec_lo
.LBB53_137:                             ;   in Loop: Header=BB53_4 Depth=1
	s_or_b32 exec_lo, exec_lo, s95
	s_and_b32 s95, s96, exec_lo
.LBB53_138:                             ;   in Loop: Header=BB53_4 Depth=1
	s_or_b32 exec_lo, exec_lo, s94
	s_and_b32 s94, s95, exec_lo
.LBB53_139:                             ;   in Loop: Header=BB53_4 Depth=1
	s_or_b32 exec_lo, exec_lo, s93
	s_and_b32 s93, s94, exec_lo
.LBB53_140:                             ;   in Loop: Header=BB53_4 Depth=1
	s_or_b32 exec_lo, exec_lo, s92
	s_and_b32 s92, s93, exec_lo
.LBB53_141:                             ;   in Loop: Header=BB53_4 Depth=1
	s_or_b32 exec_lo, exec_lo, s91
	s_and_b32 s91, s92, exec_lo
.LBB53_142:                             ;   in Loop: Header=BB53_4 Depth=1
	s_or_b32 exec_lo, exec_lo, s90
	s_and_b32 s90, s91, exec_lo
.LBB53_143:                             ;   in Loop: Header=BB53_4 Depth=1
	s_or_b32 exec_lo, exec_lo, s89
	s_and_b32 s89, s90, exec_lo
.LBB53_144:                             ;   in Loop: Header=BB53_4 Depth=1
	s_or_b32 exec_lo, exec_lo, s88
	s_and_b32 s88, s89, exec_lo
.LBB53_145:                             ;   in Loop: Header=BB53_4 Depth=1
	s_or_b32 exec_lo, exec_lo, s87
	s_and_b32 s87, s88, exec_lo
.LBB53_146:                             ;   in Loop: Header=BB53_4 Depth=1
	s_or_b32 exec_lo, exec_lo, s86
	s_and_b32 s86, s87, exec_lo
.LBB53_147:                             ;   in Loop: Header=BB53_4 Depth=1
	s_or_b32 exec_lo, exec_lo, s85
	s_and_b32 s85, s86, exec_lo
.LBB53_148:                             ;   in Loop: Header=BB53_4 Depth=1
	s_or_b32 exec_lo, exec_lo, s84
	s_and_b32 s84, s85, exec_lo
.LBB53_149:                             ;   in Loop: Header=BB53_4 Depth=1
	s_or_b32 exec_lo, exec_lo, s83
	s_and_b32 s83, s84, exec_lo
.LBB53_150:                             ;   in Loop: Header=BB53_4 Depth=1
	s_or_b32 exec_lo, exec_lo, s82
	s_and_b32 s82, s83, exec_lo
.LBB53_151:                             ;   in Loop: Header=BB53_4 Depth=1
	s_or_b32 exec_lo, exec_lo, s81
	s_and_b32 s81, s82, exec_lo
.LBB53_152:                             ;   in Loop: Header=BB53_4 Depth=1
	s_or_b32 exec_lo, exec_lo, s80
	s_and_b32 s80, s81, exec_lo
.LBB53_153:                             ;   in Loop: Header=BB53_4 Depth=1
	s_or_b32 exec_lo, exec_lo, s79
	s_and_b32 s79, s80, exec_lo
.LBB53_154:                             ;   in Loop: Header=BB53_4 Depth=1
	s_or_b32 exec_lo, exec_lo, s78
	s_and_b32 s78, s79, exec_lo
.LBB53_155:                             ;   in Loop: Header=BB53_4 Depth=1
	s_or_b32 exec_lo, exec_lo, s77
	s_and_b32 s77, s78, exec_lo
.LBB53_156:                             ;   in Loop: Header=BB53_4 Depth=1
	s_or_b32 exec_lo, exec_lo, s76
	s_and_b32 s76, s77, exec_lo
.LBB53_157:                             ;   in Loop: Header=BB53_4 Depth=1
	s_or_b32 exec_lo, exec_lo, s75
	s_and_b32 s75, s76, exec_lo
.LBB53_158:                             ;   in Loop: Header=BB53_4 Depth=1
	s_or_b32 exec_lo, exec_lo, s74
	s_and_b32 s74, s75, exec_lo
.LBB53_159:                             ;   in Loop: Header=BB53_4 Depth=1
	s_or_b32 exec_lo, exec_lo, s73
	s_and_b32 s73, s74, exec_lo
.LBB53_160:                             ;   in Loop: Header=BB53_4 Depth=1
	s_or_b32 exec_lo, exec_lo, s72
	s_and_b32 s72, s73, exec_lo
.LBB53_161:                             ;   in Loop: Header=BB53_4 Depth=1
	s_or_b32 exec_lo, exec_lo, s71
	s_and_b32 s71, s72, exec_lo
.LBB53_162:                             ;   in Loop: Header=BB53_4 Depth=1
	s_or_b32 exec_lo, exec_lo, s70
	s_and_b32 s70, s71, exec_lo
.LBB53_163:                             ;   in Loop: Header=BB53_4 Depth=1
	s_or_b32 exec_lo, exec_lo, s69
	s_and_b32 s69, s70, exec_lo
.LBB53_164:                             ;   in Loop: Header=BB53_4 Depth=1
	s_or_b32 exec_lo, exec_lo, s68
	s_and_b32 s68, s69, exec_lo
.LBB53_165:                             ;   in Loop: Header=BB53_4 Depth=1
	s_or_b32 exec_lo, exec_lo, s67
	s_and_b32 s67, s68, exec_lo
.LBB53_166:                             ;   in Loop: Header=BB53_4 Depth=1
	s_or_b32 exec_lo, exec_lo, s66
	s_and_b32 s66, s67, exec_lo
.LBB53_167:                             ;   in Loop: Header=BB53_4 Depth=1
	s_or_b32 exec_lo, exec_lo, s65
	s_and_b32 s65, s66, exec_lo
.LBB53_168:                             ;   in Loop: Header=BB53_4 Depth=1
	v_readlane_b32 s66, v10, 4
	s_or_b32 exec_lo, exec_lo, s66
	s_and_b32 s65, s65, exec_lo
.LBB53_169:                             ;   in Loop: Header=BB53_4 Depth=1
	v_readlane_b32 s66, v10, 3
	s_or_b32 exec_lo, exec_lo, s66
	s_and_b32 s65, s65, exec_lo
.LBB53_170:                             ;   in Loop: Header=BB53_4 Depth=1
	v_readlane_b32 s66, v10, 2
	s_or_b32 exec_lo, exec_lo, s66
	s_and_b32 s65, s65, exec_lo
.LBB53_171:                             ;   in Loop: Header=BB53_4 Depth=1
	v_readlane_b32 s66, v10, 1
	s_or_b32 exec_lo, exec_lo, s66
	s_and_b32 s65, s65, exec_lo
.LBB53_172:                             ;   in Loop: Header=BB53_4 Depth=1
	v_readlane_b32 s66, v10, 0
	s_or_b32 exec_lo, exec_lo, s66
	s_and_b32 s65, s65, exec_lo
.LBB53_173:                             ;   in Loop: Header=BB53_4 Depth=1
	v_readlane_b32 s66, v11, 31
	s_or_b32 exec_lo, exec_lo, s66
	s_and_b32 s65, s65, exec_lo
.LBB53_174:                             ;   in Loop: Header=BB53_4 Depth=1
	v_readlane_b32 s66, v11, 30
	s_or_b32 exec_lo, exec_lo, s66
	s_and_b32 s65, s65, exec_lo
.LBB53_175:                             ;   in Loop: Header=BB53_4 Depth=1
	v_readlane_b32 s66, v11, 29
	s_or_b32 exec_lo, exec_lo, s66
	s_and_b32 s65, s65, exec_lo
.LBB53_176:                             ;   in Loop: Header=BB53_4 Depth=1
	v_readlane_b32 s66, v11, 28
	s_or_b32 exec_lo, exec_lo, s66
	s_and_b32 s65, s65, exec_lo
.LBB53_177:                             ;   in Loop: Header=BB53_4 Depth=1
	v_readlane_b32 s66, v11, 27
	s_or_b32 exec_lo, exec_lo, s66
	s_and_b32 s65, s65, exec_lo
.LBB53_178:                             ;   in Loop: Header=BB53_4 Depth=1
	v_readlane_b32 s66, v11, 26
	s_or_b32 exec_lo, exec_lo, s66
	s_and_b32 s65, s65, exec_lo
.LBB53_179:                             ;   in Loop: Header=BB53_4 Depth=1
	v_readlane_b32 s66, v11, 25
	s_or_b32 exec_lo, exec_lo, s66
	s_and_b32 s65, s65, exec_lo
.LBB53_180:                             ;   in Loop: Header=BB53_4 Depth=1
	v_readlane_b32 s66, v11, 24
	s_or_b32 exec_lo, exec_lo, s66
	s_and_b32 s65, s65, exec_lo
.LBB53_181:                             ;   in Loop: Header=BB53_4 Depth=1
	v_readlane_b32 s66, v11, 23
	s_or_b32 exec_lo, exec_lo, s66
	s_and_b32 s65, s65, exec_lo
.LBB53_182:                             ;   in Loop: Header=BB53_4 Depth=1
	v_readlane_b32 s66, v11, 22
	s_or_b32 exec_lo, exec_lo, s66
	s_and_b32 s65, s65, exec_lo
.LBB53_183:                             ;   in Loop: Header=BB53_4 Depth=1
	v_readlane_b32 s66, v11, 21
	s_or_b32 exec_lo, exec_lo, s66
	s_and_b32 s65, s65, exec_lo
.LBB53_184:                             ;   in Loop: Header=BB53_4 Depth=1
	v_readlane_b32 s66, v11, 20
	s_or_b32 exec_lo, exec_lo, s66
	s_and_b32 s65, s65, exec_lo
.LBB53_185:                             ;   in Loop: Header=BB53_4 Depth=1
	v_readlane_b32 s66, v11, 19
	s_or_b32 exec_lo, exec_lo, s66
	s_and_b32 s65, s65, exec_lo
.LBB53_186:                             ;   in Loop: Header=BB53_4 Depth=1
	v_readlane_b32 s66, v11, 18
	s_or_b32 exec_lo, exec_lo, s66
	s_and_b32 s65, s65, exec_lo
.LBB53_187:                             ;   in Loop: Header=BB53_4 Depth=1
	v_readlane_b32 s66, v11, 17
	s_or_b32 exec_lo, exec_lo, s66
	s_and_b32 s65, s65, exec_lo
.LBB53_188:                             ;   in Loop: Header=BB53_4 Depth=1
	v_readlane_b32 s66, v11, 16
	s_or_b32 exec_lo, exec_lo, s66
	s_and_b32 s65, s65, exec_lo
.LBB53_189:                             ;   in Loop: Header=BB53_4 Depth=1
	v_readlane_b32 s66, v11, 15
	s_or_b32 exec_lo, exec_lo, s66
	s_and_b32 s65, s65, exec_lo
.LBB53_190:                             ;   in Loop: Header=BB53_4 Depth=1
	v_readlane_b32 s66, v11, 14
	s_or_b32 exec_lo, exec_lo, s66
	s_and_b32 s65, s65, exec_lo
.LBB53_191:                             ;   in Loop: Header=BB53_4 Depth=1
	v_readlane_b32 s66, v11, 13
	s_or_b32 exec_lo, exec_lo, s66
	s_and_b32 s65, s65, exec_lo
.LBB53_192:                             ;   in Loop: Header=BB53_4 Depth=1
	v_readlane_b32 s66, v11, 12
	s_or_b32 exec_lo, exec_lo, s66
	s_and_b32 s65, s65, exec_lo
.LBB53_193:                             ;   in Loop: Header=BB53_4 Depth=1
	v_readlane_b32 s66, v11, 11
	s_or_b32 exec_lo, exec_lo, s66
	s_and_b32 s65, s65, exec_lo
.LBB53_194:                             ;   in Loop: Header=BB53_4 Depth=1
	v_readlane_b32 s66, v11, 10
	s_or_b32 exec_lo, exec_lo, s66
	s_and_b32 s65, s65, exec_lo
.LBB53_195:                             ;   in Loop: Header=BB53_4 Depth=1
	v_readlane_b32 s66, v11, 9
	s_or_b32 exec_lo, exec_lo, s66
	s_and_b32 s65, s65, exec_lo
.LBB53_196:                             ;   in Loop: Header=BB53_4 Depth=1
	v_readlane_b32 s66, v11, 8
	s_or_b32 exec_lo, exec_lo, s66
	s_and_b32 s65, s65, exec_lo
.LBB53_197:                             ;   in Loop: Header=BB53_4 Depth=1
	v_readlane_b32 s66, v11, 7
	s_or_b32 exec_lo, exec_lo, s66
	s_and_b32 s65, s65, exec_lo
.LBB53_198:                             ;   in Loop: Header=BB53_4 Depth=1
	v_readlane_b32 s66, v11, 6
	s_or_b32 exec_lo, exec_lo, s66
	s_and_b32 s65, s65, exec_lo
.LBB53_199:                             ;   in Loop: Header=BB53_4 Depth=1
	v_readlane_b32 s66, v11, 5
	s_or_b32 exec_lo, exec_lo, s66
	s_and_b32 s65, s65, exec_lo
.LBB53_200:                             ;   in Loop: Header=BB53_4 Depth=1
	v_readlane_b32 s66, v11, 4
	s_or_b32 exec_lo, exec_lo, s66
	s_and_b32 s65, s65, exec_lo
.LBB53_201:                             ;   in Loop: Header=BB53_4 Depth=1
	v_readlane_b32 s66, v11, 3
	s_or_b32 exec_lo, exec_lo, s66
	s_and_b32 s65, s65, exec_lo
.LBB53_202:                             ;   in Loop: Header=BB53_4 Depth=1
	v_readlane_b32 s66, v11, 2
	s_or_b32 exec_lo, exec_lo, s66
	s_and_b32 s65, s65, exec_lo
.LBB53_203:                             ;   in Loop: Header=BB53_4 Depth=1
	v_readlane_b32 s66, v11, 1
	s_or_b32 exec_lo, exec_lo, s66
	s_and_b32 s65, s65, exec_lo
.LBB53_204:                             ;   in Loop: Header=BB53_4 Depth=1
	v_readlane_b32 s66, v11, 0
	s_or_b32 exec_lo, exec_lo, s66
	s_and_b32 s65, s65, exec_lo
.LBB53_205:                             ;   in Loop: Header=BB53_4 Depth=1
	s_or_b32 exec_lo, exec_lo, s64
	s_and_b32 s64, s65, exec_lo
.LBB53_206:                             ;   in Loop: Header=BB53_4 Depth=1
	s_or_b32 exec_lo, exec_lo, s63
	s_and_b32 s63, s64, exec_lo
.LBB53_207:                             ;   in Loop: Header=BB53_4 Depth=1
	s_or_b32 exec_lo, exec_lo, s62
	s_and_b32 s62, s63, exec_lo
.LBB53_208:                             ;   in Loop: Header=BB53_4 Depth=1
	s_or_b32 exec_lo, exec_lo, s61
	s_and_b32 s61, s62, exec_lo
.LBB53_209:                             ;   in Loop: Header=BB53_4 Depth=1
	s_or_b32 exec_lo, exec_lo, s60
	s_and_b32 s60, s61, exec_lo
.LBB53_210:                             ;   in Loop: Header=BB53_4 Depth=1
	s_or_b32 exec_lo, exec_lo, s59
	s_and_b32 s59, s60, exec_lo
.LBB53_211:                             ;   in Loop: Header=BB53_4 Depth=1
	s_or_b32 exec_lo, exec_lo, s58
	s_and_b32 s58, s59, exec_lo
.LBB53_212:                             ;   in Loop: Header=BB53_4 Depth=1
	s_or_b32 exec_lo, exec_lo, s57
	s_and_b32 s57, s58, exec_lo
.LBB53_213:                             ;   in Loop: Header=BB53_4 Depth=1
	s_or_b32 exec_lo, exec_lo, s56
	s_and_b32 s56, s57, exec_lo
.LBB53_214:                             ;   in Loop: Header=BB53_4 Depth=1
	s_or_b32 exec_lo, exec_lo, s55
	s_and_b32 s55, s56, exec_lo
.LBB53_215:                             ;   in Loop: Header=BB53_4 Depth=1
	s_or_b32 exec_lo, exec_lo, s54
	s_and_b32 s54, s55, exec_lo
.LBB53_216:                             ;   in Loop: Header=BB53_4 Depth=1
	s_or_b32 exec_lo, exec_lo, s53
	s_and_b32 s53, s54, exec_lo
.LBB53_217:                             ;   in Loop: Header=BB53_4 Depth=1
	s_or_b32 exec_lo, exec_lo, s52
	s_and_b32 s52, s53, exec_lo
.LBB53_218:                             ;   in Loop: Header=BB53_4 Depth=1
	s_or_b32 exec_lo, exec_lo, s51
	s_and_b32 s51, s52, exec_lo
.LBB53_219:                             ;   in Loop: Header=BB53_4 Depth=1
	s_or_b32 exec_lo, exec_lo, s50
	s_and_b32 s50, s51, exec_lo
.LBB53_220:                             ;   in Loop: Header=BB53_4 Depth=1
	s_or_b32 exec_lo, exec_lo, s49
	s_and_b32 s49, s50, exec_lo
.LBB53_221:                             ;   in Loop: Header=BB53_4 Depth=1
	s_or_b32 exec_lo, exec_lo, s48
	s_and_b32 s48, s49, exec_lo
.LBB53_222:                             ;   in Loop: Header=BB53_4 Depth=1
	s_or_b32 exec_lo, exec_lo, s47
	s_and_b32 s47, s48, exec_lo
.LBB53_223:                             ;   in Loop: Header=BB53_4 Depth=1
	s_or_b32 exec_lo, exec_lo, s46
	s_and_b32 s46, s47, exec_lo
.LBB53_224:                             ;   in Loop: Header=BB53_4 Depth=1
	s_or_b32 exec_lo, exec_lo, s45
	s_and_b32 s45, s46, exec_lo
.LBB53_225:                             ;   in Loop: Header=BB53_4 Depth=1
	s_or_b32 exec_lo, exec_lo, s44
	s_and_b32 s44, s45, exec_lo
.LBB53_226:                             ;   in Loop: Header=BB53_4 Depth=1
	s_or_b32 exec_lo, exec_lo, s43
	s_and_b32 s43, s44, exec_lo
.LBB53_227:                             ;   in Loop: Header=BB53_4 Depth=1
	s_or_b32 exec_lo, exec_lo, s42
	s_and_b32 s42, s43, exec_lo
.LBB53_228:                             ;   in Loop: Header=BB53_4 Depth=1
	s_or_b32 exec_lo, exec_lo, s41
	s_and_b32 s41, s42, exec_lo
.LBB53_229:                             ;   in Loop: Header=BB53_4 Depth=1
	s_or_b32 exec_lo, exec_lo, s40
	s_and_b32 s40, s41, exec_lo
.LBB53_230:                             ;   in Loop: Header=BB53_4 Depth=1
	s_or_b32 exec_lo, exec_lo, s39
	s_and_b32 s39, s40, exec_lo
.LBB53_231:                             ;   in Loop: Header=BB53_4 Depth=1
	s_or_b32 exec_lo, exec_lo, s38
	s_and_b32 s38, s39, exec_lo
.LBB53_232:                             ;   in Loop: Header=BB53_4 Depth=1
	s_or_b32 exec_lo, exec_lo, s37
	s_and_b32 s37, s38, exec_lo
.LBB53_233:                             ;   in Loop: Header=BB53_4 Depth=1
	s_or_b32 exec_lo, exec_lo, s36
	s_and_b32 s36, s37, exec_lo
.LBB53_234:                             ;   in Loop: Header=BB53_4 Depth=1
	s_or_b32 exec_lo, exec_lo, s35
	s_and_b32 s35, s36, exec_lo
.LBB53_235:                             ;   in Loop: Header=BB53_4 Depth=1
	s_or_b32 exec_lo, exec_lo, s34
	s_and_b32 s34, s35, exec_lo
.LBB53_236:                             ;   in Loop: Header=BB53_4 Depth=1
	s_or_b32 exec_lo, exec_lo, s33
	s_and_b32 s33, s34, exec_lo
.LBB53_237:                             ;   in Loop: Header=BB53_4 Depth=1
	s_or_b32 exec_lo, exec_lo, s31
	s_and_b32 s31, s33, exec_lo
.LBB53_238:                             ;   in Loop: Header=BB53_4 Depth=1
	s_or_b32 exec_lo, exec_lo, s30
	s_and_b32 s30, s31, exec_lo
.LBB53_239:                             ;   in Loop: Header=BB53_4 Depth=1
	s_or_b32 exec_lo, exec_lo, s29
	s_and_b32 s29, s30, exec_lo
.LBB53_240:                             ;   in Loop: Header=BB53_4 Depth=1
	s_or_b32 exec_lo, exec_lo, s28
	s_and_b32 s28, s29, exec_lo
.LBB53_241:                             ;   in Loop: Header=BB53_4 Depth=1
	s_or_b32 exec_lo, exec_lo, s27
	s_and_b32 s27, s28, exec_lo
.LBB53_242:                             ;   in Loop: Header=BB53_4 Depth=1
	s_or_b32 exec_lo, exec_lo, s26
	s_and_b32 s26, s27, exec_lo
.LBB53_243:                             ;   in Loop: Header=BB53_4 Depth=1
	s_or_b32 exec_lo, exec_lo, s25
	s_and_b32 s25, s26, exec_lo
.LBB53_244:                             ;   in Loop: Header=BB53_4 Depth=1
	s_or_b32 exec_lo, exec_lo, s24
	s_and_b32 s24, s25, exec_lo
.LBB53_245:                             ;   in Loop: Header=BB53_4 Depth=1
	s_or_b32 exec_lo, exec_lo, s23
	s_and_b32 s23, s24, exec_lo
.LBB53_246:                             ;   in Loop: Header=BB53_4 Depth=1
	s_or_b32 exec_lo, exec_lo, s22
	s_and_b32 s22, s23, exec_lo
.LBB53_247:                             ;   in Loop: Header=BB53_4 Depth=1
	s_or_b32 exec_lo, exec_lo, s21
	s_and_b32 s21, s22, exec_lo
.LBB53_248:                             ;   in Loop: Header=BB53_4 Depth=1
	s_or_b32 exec_lo, exec_lo, s20
	s_and_b32 s20, s21, exec_lo
.LBB53_249:                             ;   in Loop: Header=BB53_4 Depth=1
	s_or_b32 exec_lo, exec_lo, s19
	s_and_b32 s19, s20, exec_lo
.LBB53_250:                             ;   in Loop: Header=BB53_4 Depth=1
	s_or_b32 exec_lo, exec_lo, s18
	s_and_b32 s18, s19, exec_lo
.LBB53_251:                             ;   in Loop: Header=BB53_4 Depth=1
	s_or_b32 exec_lo, exec_lo, s17
	s_and_b32 s17, s18, exec_lo
.LBB53_252:                             ;   in Loop: Header=BB53_4 Depth=1
	s_or_b32 exec_lo, exec_lo, s16
	s_and_b32 s16, s17, exec_lo
.LBB53_253:                             ;   in Loop: Header=BB53_4 Depth=1
	s_or_b32 exec_lo, exec_lo, s15
	s_and_b32 s15, s16, exec_lo
.LBB53_254:                             ;   in Loop: Header=BB53_4 Depth=1
	s_or_b32 exec_lo, exec_lo, s14
	s_and_b32 s14, s15, exec_lo
.LBB53_255:                             ;   in Loop: Header=BB53_4 Depth=1
	s_or_b32 exec_lo, exec_lo, s12
	s_and_b32 s12, s14, exec_lo
.LBB53_256:                             ;   in Loop: Header=BB53_4 Depth=1
	s_or_b32 exec_lo, exec_lo, s9
	s_and_b32 s9, s12, exec_lo
.LBB53_257:                             ;   in Loop: Header=BB53_4 Depth=1
	s_or_b32 exec_lo, exec_lo, s8
	v_cndmask_b32_e64 v1, 0, 1, s9
	s_mov_b32 s12, exec_lo
	v_cmp_ne_u32_e32 vcc_lo, 0, v1
	s_and_saveexec_b32 s8, s0
	s_cbranch_execz .LBB53_3
; %bb.258:                              ;   in Loop: Header=BB53_4 Depth=1
	s_cmp_eq_u32 vcc_lo, s12
	s_cselect_b32 s9, -1, 0
	v_cndmask_b32_e64 v1, 0, 1, s9
	ds_write_b32 v5, v1
	s_branch .LBB53_3
.LBB53_259:                             ;   in Loop: Header=BB53_4 Depth=1
	s_cbranch_execz .LBB53_4
.LBB53_260:
	s_mov_b32 s0, exec_lo
	v_cmpx_eq_u32_e32 0, v0
	s_cbranch_execz .LBB53_262
; %bb.261:
	s_mul_i32 s0, s1, s7
	v_mov_b32_e32 v0, 0
	s_add_i32 s0, s0, s6
	v_mov_b32_e32 v1, s2
	s_ashr_i32 s1, s0, 31
	s_lshl_b64 s[0:1], s[0:1], 2
	s_add_u32 s0, s10, s0
	s_addc_u32 s1, s11, s1
	global_store_dword v0, v1, s[0:1]
.LBB53_262:
	s_endpgm
	.section	.rodata,"a",@progbits
	.p2align	6, 0x0
	.amdhsa_kernel _ZL25flash_attn_mask_to_KV_maxILi64EEvPK7__half2Piiii
		.amdhsa_group_segment_fixed_size 128
		.amdhsa_private_segment_fixed_size 0
		.amdhsa_kernarg_size 288
		.amdhsa_user_sgpr_count 6
		.amdhsa_user_sgpr_private_segment_buffer 1
		.amdhsa_user_sgpr_dispatch_ptr 0
		.amdhsa_user_sgpr_queue_ptr 0
		.amdhsa_user_sgpr_kernarg_segment_ptr 1
		.amdhsa_user_sgpr_dispatch_id 0
		.amdhsa_user_sgpr_flat_scratch_init 0
		.amdhsa_user_sgpr_private_segment_size 0
		.amdhsa_wavefront_size32 1
		.amdhsa_uses_dynamic_stack 0
		.amdhsa_system_sgpr_private_segment_wavefront_offset 0
		.amdhsa_system_sgpr_workgroup_id_x 1
		.amdhsa_system_sgpr_workgroup_id_y 1
		.amdhsa_system_sgpr_workgroup_id_z 0
		.amdhsa_system_sgpr_workgroup_info 0
		.amdhsa_system_vgpr_workitem_id 0
		.amdhsa_next_free_vgpr 12
		.amdhsa_next_free_sgpr 105
		.amdhsa_reserve_vcc 1
		.amdhsa_reserve_flat_scratch 0
		.amdhsa_float_round_mode_32 0
		.amdhsa_float_round_mode_16_64 0
		.amdhsa_float_denorm_mode_32 3
		.amdhsa_float_denorm_mode_16_64 3
		.amdhsa_dx10_clamp 1
		.amdhsa_ieee_mode 1
		.amdhsa_fp16_overflow 0
		.amdhsa_workgroup_processor_mode 1
		.amdhsa_memory_ordered 1
		.amdhsa_forward_progress 1
		.amdhsa_shared_vgpr_count 0
		.amdhsa_exception_fp_ieee_invalid_op 0
		.amdhsa_exception_fp_denorm_src 0
		.amdhsa_exception_fp_ieee_div_zero 0
		.amdhsa_exception_fp_ieee_overflow 0
		.amdhsa_exception_fp_ieee_underflow 0
		.amdhsa_exception_fp_ieee_inexact 0
		.amdhsa_exception_int_div_zero 0
	.end_amdhsa_kernel
	.section	.text._ZL25flash_attn_mask_to_KV_maxILi64EEvPK7__half2Piiii,"axG",@progbits,_ZL25flash_attn_mask_to_KV_maxILi64EEvPK7__half2Piiii,comdat
.Lfunc_end53:
	.size	_ZL25flash_attn_mask_to_KV_maxILi64EEvPK7__half2Piiii, .Lfunc_end53-_ZL25flash_attn_mask_to_KV_maxILi64EEvPK7__half2Piiii
                                        ; -- End function
	.set _ZL25flash_attn_mask_to_KV_maxILi64EEvPK7__half2Piiii.num_vgpr, 12
	.set _ZL25flash_attn_mask_to_KV_maxILi64EEvPK7__half2Piiii.num_agpr, 0
	.set _ZL25flash_attn_mask_to_KV_maxILi64EEvPK7__half2Piiii.numbered_sgpr, 105
	.set _ZL25flash_attn_mask_to_KV_maxILi64EEvPK7__half2Piiii.num_named_barrier, 0
	.set _ZL25flash_attn_mask_to_KV_maxILi64EEvPK7__half2Piiii.private_seg_size, 0
	.set _ZL25flash_attn_mask_to_KV_maxILi64EEvPK7__half2Piiii.uses_vcc, 1
	.set _ZL25flash_attn_mask_to_KV_maxILi64EEvPK7__half2Piiii.uses_flat_scratch, 0
	.set _ZL25flash_attn_mask_to_KV_maxILi64EEvPK7__half2Piiii.has_dyn_sized_stack, 0
	.set _ZL25flash_attn_mask_to_KV_maxILi64EEvPK7__half2Piiii.has_recursion, 0
	.set _ZL25flash_attn_mask_to_KV_maxILi64EEvPK7__half2Piiii.has_indirect_call, 0
	.section	.AMDGPU.csdata,"",@progbits
; Kernel info:
; codeLenInByte = 7692
; TotalNumSgprs: 107
; NumVgprs: 12
; ScratchSize: 0
; MemoryBound: 0
; FloatMode: 240
; IeeeMode: 1
; LDSByteSize: 128 bytes/workgroup (compile time only)
; SGPRBlocks: 0
; VGPRBlocks: 1
; NumSGPRsForWavesPerEU: 107
; NumVGPRsForWavesPerEU: 12
; Occupancy: 16
; WaveLimiterHint : 0
; COMPUTE_PGM_RSRC2:SCRATCH_EN: 0
; COMPUTE_PGM_RSRC2:USER_SGPR: 6
; COMPUTE_PGM_RSRC2:TRAP_HANDLER: 0
; COMPUTE_PGM_RSRC2:TGID_X_EN: 1
; COMPUTE_PGM_RSRC2:TGID_Y_EN: 1
; COMPUTE_PGM_RSRC2:TGID_Z_EN: 0
; COMPUTE_PGM_RSRC2:TIDIG_COMP_CNT: 0
	.section	.text._ZL33flash_attn_stream_k_fixup_uniformILi128ELi64ELi1EEvPfPK15HIP_vector_typeIfLj2EEiiiiiiS1_IjLj3EES5_S5_,"axG",@progbits,_ZL33flash_attn_stream_k_fixup_uniformILi128ELi64ELi1EEvPfPK15HIP_vector_typeIfLj2EEiiiiiiS1_IjLj3EES5_S5_,comdat
	.globl	_ZL33flash_attn_stream_k_fixup_uniformILi128ELi64ELi1EEvPfPK15HIP_vector_typeIfLj2EEiiiiiiS1_IjLj3EES5_S5_ ; -- Begin function _ZL33flash_attn_stream_k_fixup_uniformILi128ELi64ELi1EEvPfPK15HIP_vector_typeIfLj2EEiiiiiiS1_IjLj3EES5_S5_
	.p2align	8
	.type	_ZL33flash_attn_stream_k_fixup_uniformILi128ELi64ELi1EEvPfPK15HIP_vector_typeIfLj2EEiiiiiiS1_IjLj3EES5_S5_,@function
_ZL33flash_attn_stream_k_fixup_uniformILi128ELi64ELi1EEvPfPK15HIP_vector_typeIfLj2EEiiiiiiS1_IjLj3EES5_S5_: ; @_ZL33flash_attn_stream_k_fixup_uniformILi128ELi64ELi1EEvPfPK15HIP_vector_typeIfLj2EEiiiiiiS1_IjLj3EES5_S5_
; %bb.0:
	s_clause 0x2
	s_load_dwordx8 s[12:19], s[4:5], 0x1c
	s_load_dwordx4 s[20:23], s[4:5], 0x3c
	s_load_dwordx2 s[10:11], s[4:5], 0x10
	s_waitcnt lgkmcnt(0)
	s_mul_hi_u32 s0, s15, s6
	s_add_i32 s0, s6, s0
	s_lshr_b32 s0, s0, s16
	s_mul_i32 s1, s0, s17
	s_sub_i32 s2, s6, s1
	s_mul_hi_u32 s1, s2, s18
	s_add_i32 s1, s2, s1
	s_lshr_b32 s1, s1, s19
	s_mul_i32 s3, s1, s20
	s_sub_i32 s2, s2, s3
	;; [unrolled: 5-line block ×3, first 2 shown]
	s_lshl_b32 s2, s15, 6
	s_add_i32 s2, s2, s7
	s_cmp_lt_i32 s2, s10
	s_cselect_b32 s2, -1, 0
	s_add_i32 s3, s9, s8
	s_cmp_lt_i32 s3, s13
	s_cselect_b32 s3, -1, 0
	s_and_b32 s2, s2, s3
	s_andn2_b32 vcc_lo, exec_lo, s2
	s_cbranch_vccnz .LBB54_6
; %bb.1:
	s_mul_i32 s0, s0, s10
	s_mul_i32 s10, s1, s13
	s_add_i32 s0, s0, s7
	s_mul_i32 s0, s0, s11
	s_add_i32 s13, s0, s8
	s_load_dwordx4 s[0:3], s[4:5], 0x0
	s_add_i32 s4, s13, s10
	s_mul_i32 s5, s11, s15
	s_add_i32 s4, s4, s9
	s_lshl_b32 s5, s5, 13
	s_lshl_b32 s4, s4, 7
	s_add_i32 s8, s7, s8
	s_add_i32 s5, s5, s4
	s_mul_i32 s4, s14, s6
	v_or_b32_e32 v1, s5, v0
	s_add_i32 s9, s4, s14
	v_ashrrev_i32_e32 v2, 31, v1
	v_lshlrev_b64 v[1:2], 2, v[1:2]
	s_waitcnt lgkmcnt(0)
	v_add_co_u32 v1, vcc_lo, s0, v1
	v_add_co_ci_u32_e64 v2, null, s1, v2, vcc_lo
	s_lshl_b32 s0, s9, 6
	s_add_i32 s0, s8, s0
	global_load_dword v5, v[1:2], off
	s_sub_i32 s0, s0, 64
	s_ashr_i32 s1, s0, 31
	s_lshl_b64 s[0:1], s[0:1], 3
	s_add_u32 s0, s2, s0
	s_addc_u32 s1, s3, s1
	s_add_i32 s5, s9, -2
	s_load_dword s10, s[0:1], 0x4
	s_cmp_lt_i32 s5, s4
	s_cbranch_scc1 .LBB54_4
; %bb.2:
	s_lshl_b32 s16, s12, 8
	s_load_dword s11, s[0:1], 0x0
	s_ashr_i32 s17, s16, 31
	s_waitcnt lgkmcnt(0)
	v_mov_b32_e32 v6, s10
	s_lshl_b64 s[0:1], s[16:17], 2
	s_add_u32 s5, s2, s0
	s_addc_u32 s7, s3, s1
	s_add_i32 s6, s6, 1
	s_lshl_b32 s1, s8, 7
	s_mul_i32 s0, s14, s6
	s_lshl_b32 s6, s0, 13
	s_lshl_b32 s0, s0, 6
	s_add_i32 s1, s1, s6
	s_add_i32 s0, s8, s0
	v_or_b32_e32 v0, s1, v0
	s_lshl_b32 s1, s12, 6
	s_add_i32 s6, s9, -1
	s_add_i32 s0, s0, s1
	v_add_nc_u32_e32 v3, 0xffffc000, v0
	v_mov_b32_e32 v0, s11
	s_addk_i32 s0, 0xff80
.LBB54_3:                               ; =>This Inner Loop Header: Depth=1
	v_ashrrev_i32_e32 v4, 31, v3
	s_ashr_i32 s1, s0, 31
	s_lshl_b64 s[8:9], s[0:1], 3
	s_add_u32 s8, s2, s8
	v_lshlrev_b64 v[7:8], 2, v[3:4]
	s_addc_u32 s9, s3, s9
	v_add_nc_u32_e32 v3, 0xffffe000, v3
	s_add_i32 s6, s6, -1
	s_sub_i32 s0, s0, 64
	s_cmp_le_i32 s6, s4
	v_add_co_u32 v7, vcc_lo, s5, v7
	v_add_co_ci_u32_e64 v8, null, s7, v8, vcc_lo
	s_load_dwordx2 s[8:9], s[8:9], 0x0
	global_load_dword v4, v[7:8], off
	v_max_f32_e32 v7, v0, v0
	s_waitcnt lgkmcnt(0)
	v_max_f32_e64 v8, s8, s8
	v_max_f32_e32 v7, v7, v8
	v_sub_f32_e32 v8, s8, v7
	v_sub_f32_e32 v0, v0, v7
	v_mul_f32_e32 v9, 0x3fb8aa3b, v8
	v_mul_f32_e32 v12, 0x3fb8aa3b, v0
	v_cmp_ngt_f32_e32 vcc_lo, 0xc2ce8ed0, v8
	v_fma_f32 v10, 0x3fb8aa3b, v8, -v9
	v_rndne_f32_e32 v11, v9
	v_fma_f32 v13, 0x3fb8aa3b, v0, -v12
	v_rndne_f32_e32 v14, v12
	v_fmac_f32_e32 v10, 0x32a5705f, v8
	v_sub_f32_e32 v9, v9, v11
	v_fmac_f32_e32 v13, 0x32a5705f, v0
	v_cvt_i32_f32_e32 v11, v11
	v_add_f32_e32 v9, v9, v10
	v_sub_f32_e32 v10, v12, v14
	v_exp_f32_e32 v9, v9
	v_add_f32_e32 v10, v10, v13
	v_exp_f32_e32 v10, v10
	v_ldexp_f32 v9, v9, v11
	v_cvt_i32_f32_e32 v11, v14
	v_cndmask_b32_e32 v9, 0, v9, vcc_lo
	v_cmp_nlt_f32_e32 vcc_lo, 0x42b17218, v8
	v_ldexp_f32 v10, v10, v11
	v_mov_b32_e32 v11, v6
	v_cndmask_b32_e32 v9, 0x7f800000, v9, vcc_lo
	v_cmp_ngt_f32_e32 vcc_lo, 0xc2ce8ed0, v0
	v_cndmask_b32_e32 v10, 0, v10, vcc_lo
	v_cmp_le_f32_e32 vcc_lo, 0xc1a00000, v8
	v_cndmask_b32_e32 v8, 0, v9, vcc_lo
	v_cmp_nlt_f32_e32 vcc_lo, 0x42b17218, v0
	s_waitcnt vmcnt(1)
	v_mov_b32_e32 v9, v5
	v_cndmask_b32_e32 v5, 0x7f800000, v10, vcc_lo
	v_mul_f32_e32 v10, s9, v8
	v_cmp_le_f32_e32 vcc_lo, 0xc1a00000, v0
	v_mov_b32_e32 v0, v7
	v_mov_b32_e32 v6, v10
	v_cndmask_b32_e32 v12, 0, v5, vcc_lo
	v_fmac_f32_e32 v6, v11, v12
	s_waitcnt vmcnt(0)
	v_mul_f32_e32 v5, v4, v8
	v_fmac_f32_e32 v5, v9, v12
	s_cbranch_scc0 .LBB54_3
	s_branch .LBB54_5
.LBB54_4:
	s_waitcnt lgkmcnt(0)
	v_mov_b32_e32 v6, s10
.LBB54_5:
	s_waitcnt vmcnt(0)
	v_div_scale_f32 v0, null, v6, v6, v5
	v_rcp_f32_e32 v3, v0
	v_fma_f32 v4, -v0, v3, 1.0
	v_fmac_f32_e32 v3, v4, v3
	v_div_scale_f32 v4, vcc_lo, v5, v6, v5
	v_mul_f32_e32 v7, v4, v3
	v_fma_f32 v8, -v0, v7, v4
	v_fmac_f32_e32 v7, v8, v3
	v_fma_f32 v0, -v0, v7, v4
	v_div_fmas_f32 v0, v0, v3, v7
	v_div_fixup_f32 v0, v0, v6, v5
	global_store_dword v[1:2], v0, off
.LBB54_6:
	s_endpgm
	.section	.rodata,"a",@progbits
	.p2align	6, 0x0
	.amdhsa_kernel _ZL33flash_attn_stream_k_fixup_uniformILi128ELi64ELi1EEvPfPK15HIP_vector_typeIfLj2EEiiiiiiS1_IjLj3EES5_S5_
		.amdhsa_group_segment_fixed_size 0
		.amdhsa_private_segment_fixed_size 0
		.amdhsa_kernarg_size 76
		.amdhsa_user_sgpr_count 6
		.amdhsa_user_sgpr_private_segment_buffer 1
		.amdhsa_user_sgpr_dispatch_ptr 0
		.amdhsa_user_sgpr_queue_ptr 0
		.amdhsa_user_sgpr_kernarg_segment_ptr 1
		.amdhsa_user_sgpr_dispatch_id 0
		.amdhsa_user_sgpr_flat_scratch_init 0
		.amdhsa_user_sgpr_private_segment_size 0
		.amdhsa_wavefront_size32 1
		.amdhsa_uses_dynamic_stack 0
		.amdhsa_system_sgpr_private_segment_wavefront_offset 0
		.amdhsa_system_sgpr_workgroup_id_x 1
		.amdhsa_system_sgpr_workgroup_id_y 1
		.amdhsa_system_sgpr_workgroup_id_z 1
		.amdhsa_system_sgpr_workgroup_info 0
		.amdhsa_system_vgpr_workitem_id 0
		.amdhsa_next_free_vgpr 15
		.amdhsa_next_free_sgpr 24
		.amdhsa_reserve_vcc 1
		.amdhsa_reserve_flat_scratch 0
		.amdhsa_float_round_mode_32 0
		.amdhsa_float_round_mode_16_64 0
		.amdhsa_float_denorm_mode_32 3
		.amdhsa_float_denorm_mode_16_64 3
		.amdhsa_dx10_clamp 1
		.amdhsa_ieee_mode 1
		.amdhsa_fp16_overflow 0
		.amdhsa_workgroup_processor_mode 1
		.amdhsa_memory_ordered 1
		.amdhsa_forward_progress 1
		.amdhsa_shared_vgpr_count 0
		.amdhsa_exception_fp_ieee_invalid_op 0
		.amdhsa_exception_fp_denorm_src 0
		.amdhsa_exception_fp_ieee_div_zero 0
		.amdhsa_exception_fp_ieee_overflow 0
		.amdhsa_exception_fp_ieee_underflow 0
		.amdhsa_exception_fp_ieee_inexact 0
		.amdhsa_exception_int_div_zero 0
	.end_amdhsa_kernel
	.section	.text._ZL33flash_attn_stream_k_fixup_uniformILi128ELi64ELi1EEvPfPK15HIP_vector_typeIfLj2EEiiiiiiS1_IjLj3EES5_S5_,"axG",@progbits,_ZL33flash_attn_stream_k_fixup_uniformILi128ELi64ELi1EEvPfPK15HIP_vector_typeIfLj2EEiiiiiiS1_IjLj3EES5_S5_,comdat
.Lfunc_end54:
	.size	_ZL33flash_attn_stream_k_fixup_uniformILi128ELi64ELi1EEvPfPK15HIP_vector_typeIfLj2EEiiiiiiS1_IjLj3EES5_S5_, .Lfunc_end54-_ZL33flash_attn_stream_k_fixup_uniformILi128ELi64ELi1EEvPfPK15HIP_vector_typeIfLj2EEiiiiiiS1_IjLj3EES5_S5_
                                        ; -- End function
	.set _ZL33flash_attn_stream_k_fixup_uniformILi128ELi64ELi1EEvPfPK15HIP_vector_typeIfLj2EEiiiiiiS1_IjLj3EES5_S5_.num_vgpr, 15
	.set _ZL33flash_attn_stream_k_fixup_uniformILi128ELi64ELi1EEvPfPK15HIP_vector_typeIfLj2EEiiiiiiS1_IjLj3EES5_S5_.num_agpr, 0
	.set _ZL33flash_attn_stream_k_fixup_uniformILi128ELi64ELi1EEvPfPK15HIP_vector_typeIfLj2EEiiiiiiS1_IjLj3EES5_S5_.numbered_sgpr, 24
	.set _ZL33flash_attn_stream_k_fixup_uniformILi128ELi64ELi1EEvPfPK15HIP_vector_typeIfLj2EEiiiiiiS1_IjLj3EES5_S5_.num_named_barrier, 0
	.set _ZL33flash_attn_stream_k_fixup_uniformILi128ELi64ELi1EEvPfPK15HIP_vector_typeIfLj2EEiiiiiiS1_IjLj3EES5_S5_.private_seg_size, 0
	.set _ZL33flash_attn_stream_k_fixup_uniformILi128ELi64ELi1EEvPfPK15HIP_vector_typeIfLj2EEiiiiiiS1_IjLj3EES5_S5_.uses_vcc, 1
	.set _ZL33flash_attn_stream_k_fixup_uniformILi128ELi64ELi1EEvPfPK15HIP_vector_typeIfLj2EEiiiiiiS1_IjLj3EES5_S5_.uses_flat_scratch, 0
	.set _ZL33flash_attn_stream_k_fixup_uniformILi128ELi64ELi1EEvPfPK15HIP_vector_typeIfLj2EEiiiiiiS1_IjLj3EES5_S5_.has_dyn_sized_stack, 0
	.set _ZL33flash_attn_stream_k_fixup_uniformILi128ELi64ELi1EEvPfPK15HIP_vector_typeIfLj2EEiiiiiiS1_IjLj3EES5_S5_.has_recursion, 0
	.set _ZL33flash_attn_stream_k_fixup_uniformILi128ELi64ELi1EEvPfPK15HIP_vector_typeIfLj2EEiiiiiiS1_IjLj3EES5_S5_.has_indirect_call, 0
	.section	.AMDGPU.csdata,"",@progbits
; Kernel info:
; codeLenInByte = 828
; TotalNumSgprs: 26
; NumVgprs: 15
; ScratchSize: 0
; MemoryBound: 0
; FloatMode: 240
; IeeeMode: 1
; LDSByteSize: 0 bytes/workgroup (compile time only)
; SGPRBlocks: 0
; VGPRBlocks: 1
; NumSGPRsForWavesPerEU: 26
; NumVGPRsForWavesPerEU: 15
; Occupancy: 16
; WaveLimiterHint : 0
; COMPUTE_PGM_RSRC2:SCRATCH_EN: 0
; COMPUTE_PGM_RSRC2:USER_SGPR: 6
; COMPUTE_PGM_RSRC2:TRAP_HANDLER: 0
; COMPUTE_PGM_RSRC2:TGID_X_EN: 1
; COMPUTE_PGM_RSRC2:TGID_Y_EN: 1
; COMPUTE_PGM_RSRC2:TGID_Z_EN: 1
; COMPUTE_PGM_RSRC2:TIDIG_COMP_CNT: 0
	.section	.text._ZL33flash_attn_stream_k_fixup_generalILi128ELi64ELi1EEvPfPK15HIP_vector_typeIfLj2EEiiiiS1_IjLj3EES5_S5_S5_,"axG",@progbits,_ZL33flash_attn_stream_k_fixup_generalILi128ELi64ELi1EEvPfPK15HIP_vector_typeIfLj2EEiiiiS1_IjLj3EES5_S5_S5_,comdat
	.globl	_ZL33flash_attn_stream_k_fixup_generalILi128ELi64ELi1EEvPfPK15HIP_vector_typeIfLj2EEiiiiS1_IjLj3EES5_S5_S5_ ; -- Begin function _ZL33flash_attn_stream_k_fixup_generalILi128ELi64ELi1EEvPfPK15HIP_vector_typeIfLj2EEiiiiS1_IjLj3EES5_S5_S5_
	.p2align	8
	.type	_ZL33flash_attn_stream_k_fixup_generalILi128ELi64ELi1EEvPfPK15HIP_vector_typeIfLj2EEiiiiS1_IjLj3EES5_S5_S5_,@function
_ZL33flash_attn_stream_k_fixup_generalILi128ELi64ELi1EEvPfPK15HIP_vector_typeIfLj2EEiiiiS1_IjLj3EES5_S5_S5_: ; @_ZL33flash_attn_stream_k_fixup_generalILi128ELi64ELi1EEvPfPK15HIP_vector_typeIfLj2EEiiiiS1_IjLj3EES5_S5_S5_
; %bb.0:
	s_clause 0x1
	s_load_dwordx4 s[0:3], s[4:5], 0x10
	s_load_dword s9, s[4:5], 0x50
	s_mov_b32 s16, 0
	s_waitcnt lgkmcnt(0)
	s_mul_hi_i32 s17, s3, s6
	s_mul_i32 s18, s3, s6
	s_cmp_lg_u64 s[16:17], 0
	s_cbranch_scc0 .LBB55_21
; %bb.1:
	s_add_u32 s10, s9, 0
	s_addc_u32 s11, 0, 0
	s_xor_b64 s[10:11], s[10:11], 0
	v_cvt_f32_u32_e32 v1, s10
	v_cvt_f32_u32_e32 v2, s11
	s_sub_u32 s14, 0, s10
	s_subb_u32 s15, 0, s11
	v_fmamk_f32 v1, v2, 0x4f800000, v1
	v_rcp_f32_e32 v1, v1
	v_mul_f32_e32 v1, 0x5f7ffffc, v1
	v_mul_f32_e32 v2, 0x2f800000, v1
	v_trunc_f32_e32 v2, v2
	v_fmamk_f32 v1, v2, 0xcf800000, v1
	v_cvt_u32_f32_e32 v2, v2
	v_cvt_u32_f32_e32 v1, v1
	v_readfirstlane_b32 s12, v2
	v_readfirstlane_b32 s13, v1
	s_mul_i32 s19, s14, s12
	s_mul_hi_u32 s21, s14, s13
	s_mul_i32 s20, s15, s13
	s_add_i32 s19, s21, s19
	s_mul_i32 s22, s14, s13
	s_add_i32 s19, s19, s20
	s_mul_hi_u32 s21, s13, s22
	s_mul_i32 s24, s13, s19
	s_mul_hi_u32 s23, s12, s22
	s_mul_i32 s20, s12, s22
	s_mul_hi_u32 s22, s13, s19
	s_add_u32 s21, s21, s24
	s_addc_u32 s22, 0, s22
	s_mul_hi_u32 s25, s12, s19
	s_add_u32 s20, s21, s20
	s_mul_i32 s19, s12, s19
	s_addc_u32 s20, s22, s23
	s_addc_u32 s21, s25, 0
	s_add_u32 s19, s20, s19
	s_addc_u32 s20, 0, s21
	s_add_u32 s13, s13, s19
	s_cselect_b32 s19, -1, 0
	s_mul_hi_u32 s21, s14, s13
	s_cmp_lg_u32 s19, 0
	s_mul_i32 s19, s14, s13
	s_addc_u32 s12, s12, s20
	s_mul_i32 s15, s15, s13
	s_mul_i32 s14, s14, s12
	s_mul_hi_u32 s20, s13, s19
	s_add_i32 s14, s21, s14
	s_mul_hi_u32 s21, s12, s19
	s_add_i32 s14, s14, s15
	s_mul_i32 s15, s12, s19
	s_mul_i32 s23, s13, s14
	s_mul_hi_u32 s22, s13, s14
	s_add_u32 s20, s20, s23
	s_addc_u32 s22, 0, s22
	s_mul_hi_u32 s19, s12, s14
	s_add_u32 s15, s20, s15
	s_mul_i32 s14, s12, s14
	s_addc_u32 s15, s22, s21
	s_addc_u32 s19, s19, 0
	s_add_u32 s14, s15, s14
	s_addc_u32 s15, 0, s19
	s_add_u32 s19, s13, s14
	s_cselect_b32 s13, -1, 0
	s_cmp_lg_u32 s13, 0
	s_addc_u32 s20, s12, s15
	s_ashr_i32 s12, s17, 31
	s_add_u32 s14, s18, s12
	s_mov_b32 s13, s12
	s_addc_u32 s15, s17, s12
	s_xor_b64 s[14:15], s[14:15], s[12:13]
	s_mul_i32 s21, s14, s20
	s_mul_hi_u32 s22, s14, s19
	s_mul_hi_u32 s17, s14, s20
	;; [unrolled: 1-line block ×3, first 2 shown]
	s_mul_i32 s19, s15, s19
	s_add_u32 s21, s22, s21
	s_addc_u32 s17, 0, s17
	s_mul_hi_u32 s23, s15, s20
	s_add_u32 s19, s21, s19
	s_mul_i32 s20, s15, s20
	s_addc_u32 s17, s17, s24
	s_addc_u32 s19, s23, 0
	s_add_u32 s17, s17, s20
	s_addc_u32 s19, 0, s19
	s_mul_hi_u32 s20, s10, s17
	s_mul_i32 s21, s10, s19
	s_mul_i32 s22, s11, s17
	s_add_i32 s20, s20, s21
	s_mul_i32 s21, s10, s17
	s_add_i32 s20, s20, s22
	s_sub_i32 s22, s15, s20
	s_sub_u32 s14, s14, s21
	s_cselect_b32 s21, -1, 0
	s_cmp_lg_u32 s21, 0
	s_subb_u32 s22, s22, s11
	s_sub_u32 s23, s14, s10
	s_cselect_b32 s24, -1, 0
	s_cmp_lg_u32 s24, 0
	s_subb_u32 s22, s22, 0
	s_cmp_ge_u32 s22, s11
	s_cselect_b32 s24, -1, 0
	s_cmp_ge_u32 s23, s10
	s_cselect_b32 s23, -1, 0
	s_cmp_eq_u32 s22, s11
	s_cselect_b32 s22, s23, s24
	s_add_u32 s23, s17, 1
	s_addc_u32 s24, s19, 0
	s_add_u32 s25, s17, 2
	s_addc_u32 s26, s19, 0
	s_cmp_lg_u32 s22, 0
	s_cselect_b32 s22, s25, s23
	s_cselect_b32 s23, s26, s24
	s_cmp_lg_u32 s21, 0
	s_subb_u32 s15, s15, s20
	s_cmp_ge_u32 s15, s11
	s_cselect_b32 s20, -1, 0
	s_cmp_ge_u32 s14, s10
	s_cselect_b32 s10, -1, 0
	s_cmp_eq_u32 s15, s11
	s_cselect_b32 s10, s10, s20
	s_cmp_lg_u32 s10, 0
	s_cselect_b32 s11, s23, s19
	s_cselect_b32 s10, s22, s17
	s_xor_b64 s[12:13], s[12:13], 0
	s_xor_b64 s[10:11], s[10:11], s[12:13]
	s_sub_u32 s10, s10, s12
	s_load_dwordx4 s[12:15], s[4:5], 0x44
	s_andn2_b32 vcc_lo, exec_lo, s16
	s_cbranch_vccnz .LBB55_3
.LBB55_2:
	v_cvt_f32_u32_e32 v1, s9
	s_sub_i32 s11, 0, s9
	v_rcp_iflag_f32_e32 v1, v1
	v_mul_f32_e32 v1, 0x4f7ffffe, v1
	v_cvt_u32_f32_e32 v1, v1
	v_readfirstlane_b32 s10, v1
	s_mul_i32 s11, s11, s10
	s_mul_hi_u32 s11, s10, s11
	s_add_i32 s10, s10, s11
	s_mul_hi_u32 s10, s18, s10
	s_mul_i32 s11, s10, s9
	s_waitcnt lgkmcnt(0)
	s_add_i32 s15, s10, 1
	s_sub_i32 s11, s18, s11
	s_sub_i32 s16, s11, s9
	s_cmp_ge_u32 s11, s9
	s_cselect_b32 s10, s15, s10
	s_cselect_b32 s11, s16, s11
	s_add_i32 s15, s10, 1
	s_cmp_ge_u32 s11, s9
	s_cselect_b32 s10, s15, s10
.LBB55_3:
	s_add_i32 s11, s6, 1
	s_mov_b32 s16, 0
	s_mul_hi_i32 s17, s3, s11
	s_mul_i32 s11, s3, s11
	s_cmp_lg_u64 s[16:17], 0
	s_cbranch_scc0 .LBB55_22
; %bb.4:
	s_add_u32 s18, s9, 0
	s_addc_u32 s19, 0, 0
	s_xor_b64 s[18:19], s[18:19], 0
	v_cvt_f32_u32_e32 v1, s18
	v_cvt_f32_u32_e32 v2, s19
	s_sub_u32 s21, 0, s18
	s_subb_u32 s22, 0, s19
	v_fmamk_f32 v1, v2, 0x4f800000, v1
	v_rcp_f32_e32 v1, v1
	v_mul_f32_e32 v1, 0x5f7ffffc, v1
	v_mul_f32_e32 v2, 0x2f800000, v1
	v_trunc_f32_e32 v2, v2
	v_fmamk_f32 v1, v2, 0xcf800000, v1
	v_cvt_u32_f32_e32 v2, v2
	v_cvt_u32_f32_e32 v1, v1
	s_waitcnt lgkmcnt(0)
	v_readfirstlane_b32 s15, v2
	v_readfirstlane_b32 s20, v1
	s_mul_i32 s23, s21, s15
	s_mul_hi_u32 s25, s21, s20
	s_mul_i32 s24, s22, s20
	s_add_i32 s23, s25, s23
	s_mul_i32 s26, s21, s20
	s_add_i32 s23, s23, s24
	s_mul_hi_u32 s25, s20, s26
	s_mul_i32 s28, s20, s23
	s_mul_hi_u32 s27, s15, s26
	s_mul_i32 s24, s15, s26
	s_mul_hi_u32 s26, s20, s23
	s_add_u32 s25, s25, s28
	s_addc_u32 s26, 0, s26
	s_mul_hi_u32 s29, s15, s23
	s_add_u32 s24, s25, s24
	s_mul_i32 s23, s15, s23
	s_addc_u32 s24, s26, s27
	s_addc_u32 s25, s29, 0
	s_add_u32 s23, s24, s23
	s_addc_u32 s24, 0, s25
	s_add_u32 s20, s20, s23
	s_cselect_b32 s23, -1, 0
	s_mul_hi_u32 s25, s21, s20
	s_cmp_lg_u32 s23, 0
	s_mul_i32 s23, s21, s20
	s_addc_u32 s15, s15, s24
	s_mul_i32 s22, s22, s20
	s_mul_i32 s21, s21, s15
	s_mul_hi_u32 s24, s20, s23
	s_add_i32 s21, s25, s21
	s_mul_hi_u32 s25, s15, s23
	s_add_i32 s21, s21, s22
	s_mul_i32 s22, s15, s23
	s_mul_i32 s27, s20, s21
	s_mul_hi_u32 s26, s20, s21
	s_add_u32 s24, s24, s27
	s_addc_u32 s26, 0, s26
	s_mul_hi_u32 s23, s15, s21
	s_add_u32 s22, s24, s22
	s_mul_i32 s21, s15, s21
	s_addc_u32 s22, s26, s25
	s_addc_u32 s23, s23, 0
	s_add_u32 s21, s22, s21
	s_addc_u32 s22, 0, s23
	s_add_u32 s24, s20, s21
	s_cselect_b32 s20, -1, 0
	s_cmp_lg_u32 s20, 0
	s_addc_u32 s15, s15, s22
	s_ashr_i32 s20, s17, 31
	s_add_u32 s22, s11, s20
	s_mov_b32 s21, s20
	s_addc_u32 s23, s17, s20
	s_xor_b64 s[22:23], s[22:23], s[20:21]
	s_mul_i32 s25, s22, s15
	s_mul_hi_u32 s26, s22, s24
	s_mul_hi_u32 s17, s22, s15
	;; [unrolled: 1-line block ×3, first 2 shown]
	s_mul_i32 s24, s23, s24
	s_add_u32 s25, s26, s25
	s_addc_u32 s17, 0, s17
	s_mul_hi_u32 s27, s23, s15
	s_add_u32 s24, s25, s24
	s_mul_i32 s15, s23, s15
	s_addc_u32 s17, s17, s28
	s_addc_u32 s24, s27, 0
	s_add_u32 s15, s17, s15
	s_addc_u32 s17, 0, s24
	s_mul_hi_u32 s24, s18, s15
	s_mul_i32 s25, s18, s17
	s_mul_i32 s26, s19, s15
	s_add_i32 s24, s24, s25
	s_mul_i32 s25, s18, s15
	s_add_i32 s24, s24, s26
	s_sub_i32 s26, s23, s24
	s_sub_u32 s22, s22, s25
	s_cselect_b32 s25, -1, 0
	s_cmp_lg_u32 s25, 0
	s_subb_u32 s26, s26, s19
	s_sub_u32 s27, s22, s18
	s_cselect_b32 s28, -1, 0
	s_cmp_lg_u32 s28, 0
	s_subb_u32 s26, s26, 0
	s_cmp_ge_u32 s26, s19
	s_cselect_b32 s28, -1, 0
	s_cmp_ge_u32 s27, s18
	s_cselect_b32 s27, -1, 0
	s_cmp_eq_u32 s26, s19
	s_cselect_b32 s26, s27, s28
	s_add_u32 s27, s15, 1
	s_addc_u32 s28, s17, 0
	s_add_u32 s29, s15, 2
	s_addc_u32 s30, s17, 0
	s_cmp_lg_u32 s26, 0
	s_cselect_b32 s26, s29, s27
	s_cselect_b32 s27, s30, s28
	s_cmp_lg_u32 s25, 0
	s_subb_u32 s23, s23, s24
	s_cmp_ge_u32 s23, s19
	s_cselect_b32 s24, -1, 0
	s_cmp_ge_u32 s22, s18
	s_cselect_b32 s18, -1, 0
	s_cmp_eq_u32 s23, s19
	s_cselect_b32 s18, s18, s24
	s_cmp_lg_u32 s18, 0
	s_cselect_b32 s19, s27, s17
	s_cselect_b32 s18, s26, s15
	s_xor_b64 s[20:21], s[20:21], 0
	s_xor_b64 s[18:19], s[18:19], s[20:21]
	s_sub_u32 s18, s18, s20
	s_andn2_b32 vcc_lo, exec_lo, s16
	s_cbranch_vccnz .LBB55_6
.LBB55_5:
	v_cvt_f32_u32_e32 v1, s9
	s_sub_i32 s16, 0, s9
	v_rcp_iflag_f32_e32 v1, v1
	v_mul_f32_e32 v1, 0x4f7ffffe, v1
	v_cvt_u32_f32_e32 v1, v1
	s_waitcnt lgkmcnt(0)
	v_readfirstlane_b32 s15, v1
	s_mul_i32 s16, s16, s15
	s_mul_hi_u32 s16, s15, s16
	s_add_i32 s15, s15, s16
	s_mul_hi_u32 s15, s11, s15
	s_mul_i32 s16, s15, s9
	s_sub_i32 s11, s11, s16
	s_add_i32 s16, s15, 1
	s_sub_i32 s17, s11, s9
	s_cmp_ge_u32 s11, s9
	s_cselect_b32 s15, s16, s15
	s_cselect_b32 s11, s17, s11
	s_add_i32 s16, s15, 1
	s_cmp_ge_u32 s11, s9
	s_cselect_b32 s18, s16, s15
.LBB55_6:
	s_cmp_eq_u32 s10, s18
	s_waitcnt lgkmcnt(0)
	s_mul_hi_u32 s11, s10, s12
	s_cselect_b32 s15, -1, 0
	s_add_i32 s11, s11, s10
	s_lshr_b32 s11, s11, s13
	s_mul_i32 s16, s11, s14
	s_cmp_eq_u32 s16, s10
	s_mul_hi_u32 s16, s18, s12
	s_cselect_b32 s17, -1, 0
	s_add_i32 s16, s16, s18
	s_lshr_b32 s16, s16, s13
	s_cmp_eq_u32 s11, s16
	s_mul_i32 s16, s16, s14
	s_cselect_b32 s19, -1, 0
	s_cmp_lg_u32 s16, s18
	s_cselect_b32 s16, -1, 0
	s_or_b32 s15, s15, s17
	s_and_b32 s16, s19, s16
	s_or_b32 s15, s15, s16
	s_and_b32 vcc_lo, exec_lo, s15
	s_cbranch_vccnz .LBB55_24
; %bb.7:
	s_load_dwordx8 s[20:27], s[4:5], 0x20
	s_waitcnt lgkmcnt(0)
	s_mul_hi_u32 s15, s10, s20
	s_add_i32 s15, s15, s10
	s_lshr_b32 s20, s15, s21
	s_load_dword s15, s[4:5], 0x40
	s_mul_i32 s16, s20, s22
	s_sub_i32 s16, s10, s16
	s_mul_hi_u32 s17, s16, s23
	s_add_i32 s17, s16, s17
	s_lshr_b32 s22, s17, s24
	s_mul_i32 s17, s22, s25
	s_sub_i32 s16, s16, s17
	s_mul_hi_u32 s17, s16, s26
	s_add_i32 s17, s16, s17
	s_lshr_b32 s23, s17, s27
	s_waitcnt lgkmcnt(0)
	s_mul_i32 s15, s23, s15
	s_sub_i32 s15, s16, s15
	s_mul_hi_u32 s16, s15, s12
	s_add_i32 s15, s15, s16
	s_lshr_b32 s24, s15, s13
	s_lshl_b32 s15, s24, 6
	s_add_i32 s15, s15, s7
	s_cmp_lt_i32 s15, s0
	s_cselect_b32 s15, -1, 0
	s_add_i32 s16, s23, s8
	s_cmp_lt_i32 s16, s2
	s_cselect_b32 s16, -1, 0
	s_and_b32 s15, s15, s16
	s_andn2_b32 vcc_lo, exec_lo, s15
	s_cbranch_vccnz .LBB55_24
; %bb.8:
	s_load_dwordx4 s[16:19], s[4:5], 0x0
	s_mov_b32 s4, 0
	s_lshl_b32 s26, s9, 8
	s_mov_b32 s27, s4
	s_add_i32 s15, s7, s8
	s_lshl_b64 s[26:27], s[26:27], 2
	s_mul_i32 s0, s20, s0
	s_mul_i32 s22, s22, s2
	v_cvt_f32_u32_e32 v4, s9
	v_rcp_iflag_f32_e32 v4, v4
	s_waitcnt lgkmcnt(0)
	s_add_u32 s20, s18, s26
	s_addc_u32 s21, s19, s27
	s_add_i32 s0, s0, s7
	v_mul_f32_e32 v4, 0x4f7ffffe, v4
	s_mul_i32 s0, s0, s1
	s_mul_i32 s1, s1, s24
	s_add_i32 s0, s0, s8
	s_lshl_b32 s1, s1, 13
	s_add_i32 s0, s0, s22
	v_cvt_u32_f32_e32 v4, v4
	s_add_i32 s0, s0, s23
	s_lshl_b32 s0, s0, 7
	s_add_i32 s1, s1, s0
	s_lshl_b32 s0, s6, 6
	v_or_b32_e32 v1, s1, v0
	s_add_i32 s0, s0, s15
	v_lshl_or_b32 v0, s15, 7, v0
	s_ashr_i32 s1, s0, 31
	v_ashrrev_i32_e32 v2, 31, v1
	s_lshl_b64 s[0:1], s[0:1], 3
	s_add_u32 s0, s18, s0
	s_addc_u32 s1, s19, s1
	v_lshlrev_b64 v[1:2], 2, v[1:2]
	s_load_dwordx2 s[0:1], s[0:1], 0x0
	s_add_i32 s8, s6, -1
	s_sub_i32 s2, 0, s9
	v_add_co_u32 v1, vcc_lo, s16, v1
	v_add_co_ci_u32_e64 v2, null, s17, v2, vcc_lo
	global_load_dword v3, v[1:2], off
	s_waitcnt lgkmcnt(0)
	v_mov_b32_e32 v5, s1
	v_mov_b32_e32 v6, s0
.LBB55_9:                               ; =>This Inner Loop Header: Depth=1
	s_mul_hi_i32 s5, s8, s3
	s_mul_i32 s6, s8, s3
	s_cmp_lg_u64 s[4:5], 0
	s_mov_b32 s7, -1
                                        ; implicit-def: $sgpr0_sgpr1
	s_cbranch_scc0 .LBB55_11
; %bb.10:                               ;   in Loop: Header=BB55_9 Depth=1
	s_add_u32 s0, s9, 0
	s_addc_u32 s1, 0, 0
	s_xor_b64 s[0:1], s[0:1], 0
	v_cvt_f32_u32_e32 v7, s0
	v_cvt_f32_u32_e32 v8, s1
	s_sub_u32 s17, 0, s0
	s_subb_u32 s22, 0, s1
	v_fmac_f32_e32 v7, 0x4f800000, v8
	v_rcp_f32_e32 v7, v7
	v_mul_f32_e32 v7, 0x5f7ffffc, v7
	v_mul_f32_e32 v8, 0x2f800000, v7
	v_trunc_f32_e32 v8, v8
	v_fmac_f32_e32 v7, 0xcf800000, v8
	v_cvt_u32_f32_e32 v8, v8
	v_cvt_u32_f32_e32 v7, v7
	v_readfirstlane_b32 s7, v8
	v_readfirstlane_b32 s16, v7
	s_mul_i32 s23, s17, s7
	s_mul_hi_u32 s25, s17, s16
	s_mul_i32 s24, s22, s16
	s_add_i32 s23, s25, s23
	s_mul_i32 s26, s17, s16
	s_add_i32 s23, s23, s24
	s_mul_hi_u32 s25, s16, s26
	s_mul_i32 s28, s16, s23
	s_mul_hi_u32 s27, s7, s26
	s_mul_i32 s24, s7, s26
	s_mul_hi_u32 s26, s16, s23
	s_add_u32 s25, s25, s28
	s_addc_u32 s26, 0, s26
	s_mul_hi_u32 s29, s7, s23
	s_add_u32 s24, s25, s24
	s_mul_i32 s23, s7, s23
	s_addc_u32 s24, s26, s27
	s_addc_u32 s25, s29, 0
	s_add_u32 s23, s24, s23
	s_addc_u32 s24, 0, s25
	s_add_u32 s16, s16, s23
	s_cselect_b32 s23, -1, 0
	s_mul_hi_u32 s25, s17, s16
	s_cmp_lg_u32 s23, 0
	s_mul_i32 s23, s17, s16
	s_addc_u32 s7, s7, s24
	s_mul_i32 s22, s22, s16
	s_mul_i32 s17, s17, s7
	s_mul_hi_u32 s24, s16, s23
	s_add_i32 s17, s25, s17
	s_mul_hi_u32 s25, s7, s23
	s_add_i32 s17, s17, s22
	s_mul_i32 s22, s7, s23
	s_mul_i32 s27, s16, s17
	s_mul_hi_u32 s26, s16, s17
	s_add_u32 s24, s24, s27
	s_addc_u32 s26, 0, s26
	s_mul_hi_u32 s23, s7, s17
	s_add_u32 s22, s24, s22
	s_mul_i32 s17, s7, s17
	s_addc_u32 s22, s26, s25
	s_addc_u32 s23, s23, 0
	s_add_u32 s17, s22, s17
	s_addc_u32 s22, 0, s23
	s_add_u32 s24, s16, s17
	s_cselect_b32 s16, -1, 0
	s_cmp_lg_u32 s16, 0
	s_addc_u32 s7, s7, s22
	s_ashr_i32 s16, s5, 31
	s_add_u32 s22, s6, s16
	s_mov_b32 s17, s16
	s_addc_u32 s23, s5, s16
	s_xor_b64 s[22:23], s[22:23], s[16:17]
	s_mul_i32 s25, s22, s7
	s_mul_hi_u32 s26, s22, s24
	s_mul_hi_u32 s5, s22, s7
	s_mul_hi_u32 s28, s23, s24
	s_mul_i32 s24, s23, s24
	s_add_u32 s25, s26, s25
	s_addc_u32 s5, 0, s5
	s_mul_hi_u32 s27, s23, s7
	s_add_u32 s24, s25, s24
	s_mul_i32 s7, s23, s7
	s_addc_u32 s5, s5, s28
	s_addc_u32 s24, s27, 0
	s_add_u32 s5, s5, s7
	s_addc_u32 s7, 0, s24
	s_mul_hi_u32 s24, s0, s5
	s_mul_i32 s25, s0, s7
	s_mul_i32 s26, s1, s5
	s_add_i32 s24, s24, s25
	s_mul_i32 s25, s0, s5
	s_add_i32 s24, s24, s26
	s_sub_i32 s26, s23, s24
	s_sub_u32 s22, s22, s25
	s_cselect_b32 s25, -1, 0
	s_cmp_lg_u32 s25, 0
	s_subb_u32 s26, s26, s1
	s_sub_u32 s27, s22, s0
	s_cselect_b32 s28, -1, 0
	s_cmp_lg_u32 s28, 0
	s_subb_u32 s26, s26, 0
	s_cmp_ge_u32 s26, s1
	s_cselect_b32 s28, -1, 0
	s_cmp_ge_u32 s27, s0
	s_cselect_b32 s27, -1, 0
	s_cmp_eq_u32 s26, s1
	s_cselect_b32 s26, s27, s28
	s_add_u32 s27, s5, 1
	s_addc_u32 s28, s7, 0
	s_add_u32 s29, s5, 2
	s_addc_u32 s30, s7, 0
	s_cmp_lg_u32 s26, 0
	s_cselect_b32 s26, s29, s27
	s_cselect_b32 s27, s30, s28
	s_cmp_lg_u32 s25, 0
	s_subb_u32 s23, s23, s24
	s_cmp_ge_u32 s23, s1
	s_cselect_b32 s24, -1, 0
	s_cmp_ge_u32 s22, s0
	s_cselect_b32 s0, -1, 0
	s_cmp_eq_u32 s23, s1
	s_cselect_b32 s0, s0, s24
	s_cmp_lg_u32 s0, 0
	s_cselect_b32 s1, s27, s7
	s_cselect_b32 s0, s26, s5
	s_xor_b64 s[16:17], s[16:17], 0
	s_mov_b32 s7, 0
	s_xor_b64 s[0:1], s[0:1], s[16:17]
	s_sub_u32 s0, s0, s16
.LBB55_11:                              ;   in Loop: Header=BB55_9 Depth=1
	s_andn2_b32 vcc_lo, exec_lo, s7
	s_cbranch_vccnz .LBB55_13
; %bb.12:                               ;   in Loop: Header=BB55_9 Depth=1
	v_readfirstlane_b32 s0, v4
	s_mul_i32 s1, s2, s0
	s_mul_hi_u32 s1, s0, s1
	s_add_i32 s0, s0, s1
	s_mul_hi_u32 s0, s6, s0
	s_mul_i32 s1, s0, s9
	s_add_i32 s5, s0, 1
	s_sub_i32 s1, s6, s1
	s_sub_i32 s6, s1, s9
	s_cmp_ge_u32 s1, s9
	s_cselect_b32 s0, s5, s0
	s_cselect_b32 s1, s6, s1
	s_add_i32 s5, s0, 1
	s_cmp_ge_u32 s1, s9
	s_cselect_b32 s0, s5, s0
.LBB55_13:                              ;   in Loop: Header=BB55_9 Depth=1
	s_cmp_lg_u32 s10, s0
	s_mov_b32 s6, -1
                                        ; implicit-def: $sgpr5
                                        ; implicit-def: $vgpr8
                                        ; implicit-def: $vgpr7
                                        ; implicit-def: $vgpr9
                                        ; implicit-def: $sgpr1
                                        ; implicit-def: $sgpr16
	s_cbranch_scc0 .LBB55_18
; %bb.14:                               ;   in Loop: Header=BB55_9 Depth=1
	s_add_i32 s1, s8, s9
	s_mov_b32 s7, s4
	s_lshl_b32 s1, s1, 6
	s_mov_b32 s16, s10
	s_add_i32 s6, s1, s15
	s_mul_hi_u32 s1, s0, s12
	s_lshl_b64 s[6:7], s[6:7], 3
	s_add_u32 s6, s18, s6
	s_addc_u32 s7, s19, s7
	s_add_i32 s1, s1, s0
	s_lshr_b32 s1, s1, s13
	s_mul_i32 s5, s1, s14
	s_cmp_eq_u32 s5, s0
	s_cselect_b32 s5, -1, 0
	s_cmp_lt_u32 s1, s11
	s_cselect_b32 s1, -1, 0
	s_or_b32 s1, s1, s5
	s_mov_b32 s5, -1
	s_and_b32 vcc_lo, exec_lo, s1
	s_mov_b32 s1, s8
	s_cbranch_vccnz .LBB55_16
; %bb.15:                               ;   in Loop: Header=BB55_9 Depth=1
	s_add_i32 s1, s8, -1
	s_mov_b32 s5, 0
	s_mov_b32 s16, s0
.LBB55_16:                              ;   in Loop: Header=BB55_9 Depth=1
	v_lshl_add_u32 v7, s8, 13, v0
	s_load_dwordx2 s[6:7], s[6:7], 0x0
	v_ashrrev_i32_e32 v8, 31, v7
	v_lshlrev_b64 v[7:8], 2, v[7:8]
	v_add_co_u32 v7, vcc_lo, s20, v7
	v_add_co_ci_u32_e64 v8, null, s21, v8, vcc_lo
	s_waitcnt lgkmcnt(0)
	v_max_f32_e64 v9, s6, s6
	global_load_dword v8, v[7:8], off
	v_max_f32_e32 v7, v6, v6
	v_max_f32_e32 v7, v7, v9
	v_sub_f32_e32 v9, s6, v7
	v_sub_f32_e32 v10, v6, v7
	v_mul_f32_e32 v11, 0x3fb8aa3b, v9
	v_mul_f32_e32 v12, 0x3fb8aa3b, v10
	v_cmp_ngt_f32_e32 vcc_lo, 0xc2ce8ed0, v9
	v_fma_f32 v13, 0x3fb8aa3b, v9, -v11
	v_rndne_f32_e32 v14, v11
	v_fma_f32 v15, 0x3fb8aa3b, v10, -v12
	v_rndne_f32_e32 v16, v12
	v_fmac_f32_e32 v13, 0x32a5705f, v9
	v_sub_f32_e32 v11, v11, v14
	v_fmac_f32_e32 v15, 0x32a5705f, v10
	v_sub_f32_e32 v12, v12, v16
	v_add_f32_e32 v11, v11, v13
	v_cvt_i32_f32_e32 v13, v14
	v_add_f32_e32 v12, v12, v15
	v_cvt_i32_f32_e32 v14, v16
	v_exp_f32_e32 v11, v11
	v_exp_f32_e32 v12, v12
	v_ldexp_f32 v11, v11, v13
	v_ldexp_f32 v12, v12, v14
	v_cndmask_b32_e32 v11, 0, v11, vcc_lo
	v_cmp_ngt_f32_e32 vcc_lo, 0xc2ce8ed0, v10
	v_cndmask_b32_e32 v12, 0, v12, vcc_lo
	v_cmp_nlt_f32_e32 vcc_lo, 0x42b17218, v9
	v_cndmask_b32_e32 v11, 0x7f800000, v11, vcc_lo
	v_cmp_nlt_f32_e32 vcc_lo, 0x42b17218, v10
	v_cndmask_b32_e32 v12, 0x7f800000, v12, vcc_lo
	v_cmp_le_f32_e32 vcc_lo, 0xc1a00000, v9
	v_cndmask_b32_e32 v9, 0, v11, vcc_lo
	v_cmp_le_f32_e32 vcc_lo, 0xc1a00000, v10
	v_cndmask_b32_e32 v10, 0, v12, vcc_lo
	s_waitcnt vmcnt(0)
	v_mul_f32_e32 v8, v8, v9
	v_mul_f32_e32 v9, s7, v9
	v_fmac_f32_e32 v8, v3, v10
	v_fmac_f32_e32 v9, v5, v10
	s_cbranch_execz .LBB55_19
.LBB55_17:                              ;   in Loop: Header=BB55_9 Depth=1
	s_andn2_b32 vcc_lo, exec_lo, s5
	s_cbranch_vccnz .LBB55_20
	s_branch .LBB55_23
.LBB55_18:                              ;   in Loop: Header=BB55_9 Depth=1
	s_andn2_b32 vcc_lo, exec_lo, s6
	s_cbranch_vccnz .LBB55_17
.LBB55_19:                              ;   in Loop: Header=BB55_9 Depth=1
	v_mov_b32_e32 v9, v5
	v_mov_b32_e32 v7, v6
	s_waitcnt vmcnt(0)
	v_mov_b32_e32 v8, v3
	s_add_i32 s1, s8, -1
	s_mov_b32 s16, s10
	s_cbranch_execz .LBB55_23
.LBB55_20:                              ;   in Loop: Header=BB55_9 Depth=1
	v_mov_b32_e32 v5, v9
	v_mov_b32_e32 v6, v7
	s_waitcnt vmcnt(0)
	v_mov_b32_e32 v3, v8
	s_mov_b32 s10, s16
	s_mov_b32 s8, s1
	s_branch .LBB55_9
.LBB55_21:
                                        ; implicit-def: $sgpr10_sgpr11
	s_load_dwordx4 s[12:15], s[4:5], 0x44
	s_branch .LBB55_2
.LBB55_22:
                                        ; implicit-def: $sgpr18_sgpr19
	s_branch .LBB55_5
.LBB55_23:
	v_div_scale_f32 v0, null, v9, v9, v8
	s_waitcnt vmcnt(0)
	v_rcp_f32_e32 v3, v0
	v_fma_f32 v4, -v0, v3, 1.0
	v_fmac_f32_e32 v3, v4, v3
	v_div_scale_f32 v4, vcc_lo, v8, v9, v8
	v_mul_f32_e32 v5, v4, v3
	v_fma_f32 v6, -v0, v5, v4
	v_fmac_f32_e32 v5, v6, v3
	v_fma_f32 v0, -v0, v5, v4
	v_div_fmas_f32 v0, v0, v3, v5
	v_div_fixup_f32 v0, v0, v9, v8
	global_store_dword v[1:2], v0, off
.LBB55_24:
	s_endpgm
	.section	.rodata,"a",@progbits
	.p2align	6, 0x0
	.amdhsa_kernel _ZL33flash_attn_stream_k_fixup_generalILi128ELi64ELi1EEvPfPK15HIP_vector_typeIfLj2EEiiiiS1_IjLj3EES5_S5_S5_
		.amdhsa_group_segment_fixed_size 0
		.amdhsa_private_segment_fixed_size 0
		.amdhsa_kernarg_size 336
		.amdhsa_user_sgpr_count 6
		.amdhsa_user_sgpr_private_segment_buffer 1
		.amdhsa_user_sgpr_dispatch_ptr 0
		.amdhsa_user_sgpr_queue_ptr 0
		.amdhsa_user_sgpr_kernarg_segment_ptr 1
		.amdhsa_user_sgpr_dispatch_id 0
		.amdhsa_user_sgpr_flat_scratch_init 0
		.amdhsa_user_sgpr_private_segment_size 0
		.amdhsa_wavefront_size32 1
		.amdhsa_uses_dynamic_stack 0
		.amdhsa_system_sgpr_private_segment_wavefront_offset 0
		.amdhsa_system_sgpr_workgroup_id_x 1
		.amdhsa_system_sgpr_workgroup_id_y 1
		.amdhsa_system_sgpr_workgroup_id_z 1
		.amdhsa_system_sgpr_workgroup_info 0
		.amdhsa_system_vgpr_workitem_id 0
		.amdhsa_next_free_vgpr 17
		.amdhsa_next_free_sgpr 31
		.amdhsa_reserve_vcc 1
		.amdhsa_reserve_flat_scratch 0
		.amdhsa_float_round_mode_32 0
		.amdhsa_float_round_mode_16_64 0
		.amdhsa_float_denorm_mode_32 3
		.amdhsa_float_denorm_mode_16_64 3
		.amdhsa_dx10_clamp 1
		.amdhsa_ieee_mode 1
		.amdhsa_fp16_overflow 0
		.amdhsa_workgroup_processor_mode 1
		.amdhsa_memory_ordered 1
		.amdhsa_forward_progress 1
		.amdhsa_shared_vgpr_count 0
		.amdhsa_exception_fp_ieee_invalid_op 0
		.amdhsa_exception_fp_denorm_src 0
		.amdhsa_exception_fp_ieee_div_zero 0
		.amdhsa_exception_fp_ieee_overflow 0
		.amdhsa_exception_fp_ieee_underflow 0
		.amdhsa_exception_fp_ieee_inexact 0
		.amdhsa_exception_int_div_zero 0
	.end_amdhsa_kernel
	.section	.text._ZL33flash_attn_stream_k_fixup_generalILi128ELi64ELi1EEvPfPK15HIP_vector_typeIfLj2EEiiiiS1_IjLj3EES5_S5_S5_,"axG",@progbits,_ZL33flash_attn_stream_k_fixup_generalILi128ELi64ELi1EEvPfPK15HIP_vector_typeIfLj2EEiiiiS1_IjLj3EES5_S5_S5_,comdat
.Lfunc_end55:
	.size	_ZL33flash_attn_stream_k_fixup_generalILi128ELi64ELi1EEvPfPK15HIP_vector_typeIfLj2EEiiiiS1_IjLj3EES5_S5_S5_, .Lfunc_end55-_ZL33flash_attn_stream_k_fixup_generalILi128ELi64ELi1EEvPfPK15HIP_vector_typeIfLj2EEiiiiS1_IjLj3EES5_S5_S5_
                                        ; -- End function
	.set _ZL33flash_attn_stream_k_fixup_generalILi128ELi64ELi1EEvPfPK15HIP_vector_typeIfLj2EEiiiiS1_IjLj3EES5_S5_S5_.num_vgpr, 17
	.set _ZL33flash_attn_stream_k_fixup_generalILi128ELi64ELi1EEvPfPK15HIP_vector_typeIfLj2EEiiiiS1_IjLj3EES5_S5_S5_.num_agpr, 0
	.set _ZL33flash_attn_stream_k_fixup_generalILi128ELi64ELi1EEvPfPK15HIP_vector_typeIfLj2EEiiiiS1_IjLj3EES5_S5_S5_.numbered_sgpr, 31
	.set _ZL33flash_attn_stream_k_fixup_generalILi128ELi64ELi1EEvPfPK15HIP_vector_typeIfLj2EEiiiiS1_IjLj3EES5_S5_S5_.num_named_barrier, 0
	.set _ZL33flash_attn_stream_k_fixup_generalILi128ELi64ELi1EEvPfPK15HIP_vector_typeIfLj2EEiiiiS1_IjLj3EES5_S5_S5_.private_seg_size, 0
	.set _ZL33flash_attn_stream_k_fixup_generalILi128ELi64ELi1EEvPfPK15HIP_vector_typeIfLj2EEiiiiS1_IjLj3EES5_S5_S5_.uses_vcc, 1
	.set _ZL33flash_attn_stream_k_fixup_generalILi128ELi64ELi1EEvPfPK15HIP_vector_typeIfLj2EEiiiiS1_IjLj3EES5_S5_S5_.uses_flat_scratch, 0
	.set _ZL33flash_attn_stream_k_fixup_generalILi128ELi64ELi1EEvPfPK15HIP_vector_typeIfLj2EEiiiiS1_IjLj3EES5_S5_S5_.has_dyn_sized_stack, 0
	.set _ZL33flash_attn_stream_k_fixup_generalILi128ELi64ELi1EEvPfPK15HIP_vector_typeIfLj2EEiiiiS1_IjLj3EES5_S5_S5_.has_recursion, 0
	.set _ZL33flash_attn_stream_k_fixup_generalILi128ELi64ELi1EEvPfPK15HIP_vector_typeIfLj2EEiiiiS1_IjLj3EES5_S5_S5_.has_indirect_call, 0
	.section	.AMDGPU.csdata,"",@progbits
; Kernel info:
; codeLenInByte = 2936
; TotalNumSgprs: 33
; NumVgprs: 17
; ScratchSize: 0
; MemoryBound: 0
; FloatMode: 240
; IeeeMode: 1
; LDSByteSize: 0 bytes/workgroup (compile time only)
; SGPRBlocks: 0
; VGPRBlocks: 2
; NumSGPRsForWavesPerEU: 33
; NumVGPRsForWavesPerEU: 17
; Occupancy: 16
; WaveLimiterHint : 0
; COMPUTE_PGM_RSRC2:SCRATCH_EN: 0
; COMPUTE_PGM_RSRC2:USER_SGPR: 6
; COMPUTE_PGM_RSRC2:TRAP_HANDLER: 0
; COMPUTE_PGM_RSRC2:TGID_X_EN: 1
; COMPUTE_PGM_RSRC2:TGID_Y_EN: 1
; COMPUTE_PGM_RSRC2:TGID_Z_EN: 1
; COMPUTE_PGM_RSRC2:TIDIG_COMP_CNT: 0
	.section	.text._ZL15flash_attn_tileILi128ELi128ELi32ELi1ELb0EEvPKcS1_S1_S1_S1_PKiPfP15HIP_vector_typeIfLj2EEffffjfiS5_IjLj3EEiiiiiiiiiiiliiliiiiil,"axG",@progbits,_ZL15flash_attn_tileILi128ELi128ELi32ELi1ELb0EEvPKcS1_S1_S1_S1_PKiPfP15HIP_vector_typeIfLj2EEffffjfiS5_IjLj3EEiiiiiiiiiiiliiliiiiil,comdat
	.globl	_ZL15flash_attn_tileILi128ELi128ELi32ELi1ELb0EEvPKcS1_S1_S1_S1_PKiPfP15HIP_vector_typeIfLj2EEffffjfiS5_IjLj3EEiiiiiiiiiiiliiliiiiil ; -- Begin function _ZL15flash_attn_tileILi128ELi128ELi32ELi1ELb0EEvPKcS1_S1_S1_S1_PKiPfP15HIP_vector_typeIfLj2EEffffjfiS5_IjLj3EEiiiiiiiiiiiliiliiiiil
	.p2align	8
	.type	_ZL15flash_attn_tileILi128ELi128ELi32ELi1ELb0EEvPKcS1_S1_S1_S1_PKiPfP15HIP_vector_typeIfLj2EEffffjfiS5_IjLj3EEiiiiiiiiiiiliiliiiiil,@function
_ZL15flash_attn_tileILi128ELi128ELi32ELi1ELb0EEvPKcS1_S1_S1_S1_PKiPfP15HIP_vector_typeIfLj2EEffffjfiS5_IjLj3EEiiiiiiiiiiiliiliiiiil: ; @_ZL15flash_attn_tileILi128ELi128ELi32ELi1ELb0EEvPKcS1_S1_S1_S1_PKiPfP15HIP_vector_typeIfLj2EEffffjfiS5_IjLj3EEiiiiiiiiiiiliiliiiiil
; %bb.0:
	s_add_u32 s6, s6, s11
	s_addc_u32 s7, s7, 0
	s_setreg_b32 hwreg(HW_REG_FLAT_SCR_LO), s6
	s_setreg_b32 hwreg(HW_REG_FLAT_SCR_HI), s7
	s_clause 0x1
	s_load_dwordx4 s[28:31], s[4:5], 0x5c
	s_load_dwordx2 s[48:49], s[4:5], 0x80
	s_add_u32 s0, s0, s11
	s_addc_u32 s1, s1, 0
	s_mov_b32 s34, s9
	s_load_dwordx2 s[50:51], s[4:5], 0xb8
	s_mov_b64 s[46:47], 0
	s_waitcnt lgkmcnt(0)
	v_cvt_f32_u32_e32 v2, s31
	s_sub_i32 s7, 0, s31
	v_rcp_iflag_f32_e32 v2, v2
	v_mul_f32_e32 v2, 0x4f7ffffe, v2
	v_cvt_u32_f32_e32 v2, v2
	v_readfirstlane_b32 s6, v2
	s_mul_i32 s7, s7, s6
	s_mul_hi_u32 s7, s6, s7
	s_add_i32 s6, s6, s7
	s_mul_hi_u32 s6, s10, s6
	s_mul_i32 s7, s6, s31
	s_add_i32 s9, s6, 1
	s_sub_i32 s7, s10, s7
	s_sub_i32 s11, s7, s31
	s_cmp_ge_u32 s7, s31
	s_cselect_b32 s6, s9, s6
	s_cselect_b32 s7, s11, s7
	s_add_i32 s9, s6, 1
	s_cmp_ge_u32 s7, s31
	s_cselect_b32 s33, s9, s6
	s_abs_i32 s6, s49
	s_abs_i32 s12, s31
	v_cvt_f32_u32_e32 v2, s6
	s_sub_i32 s9, 0, s6
	s_mul_i32 s11, s33, s31
	s_sub_i32 s44, s10, s11
	v_rcp_iflag_f32_e32 v2, v2
	v_mul_f32_e32 v2, 0x4f7ffffe, v2
	v_cvt_u32_f32_e32 v2, v2
	v_readfirstlane_b32 s7, v2
	s_mul_i32 s9, s9, s7
	s_mul_hi_u32 s9, s7, s9
	s_add_i32 s7, s7, s9
	s_xor_b32 s9, s31, s49
	s_mul_hi_u32 s7, s12, s7
	s_ashr_i32 s9, s9, 31
	s_mul_i32 s10, s7, s6
	s_add_i32 s11, s7, 1
	s_sub_i32 s10, s12, s10
	s_sub_i32 s12, s10, s6
	s_cmp_ge_u32 s10, s6
	s_cselect_b32 s7, s11, s7
	s_cselect_b32 s10, s12, s10
	s_add_i32 s11, s7, 1
	s_cmp_ge_u32 s10, s6
	s_load_dwordx16 s[12:27], s[4:5], 0x0
	s_cselect_b32 s6, s11, s7
	s_abs_i32 s49, s44
	s_xor_b32 s6, s6, s9
	s_sub_i32 s10, s6, s9
	s_abs_i32 s35, s10
	v_cvt_f32_u32_e32 v2, s35
	s_sub_i32 s7, 0, s35
	v_rcp_iflag_f32_e32 v2, v2
	v_mul_f32_e32 v2, 0x4f7ffffe, v2
	v_cvt_u32_f32_e32 v2, v2
	v_readfirstlane_b32 s6, v2
	s_mul_i32 s7, s7, s6
	s_mul_hi_u32 s7, s6, s7
	s_add_i32 s6, s6, s7
	s_waitcnt lgkmcnt(0)
	s_cmp_eq_u64 s[18:19], 0
	s_cbranch_scc1 .LBB56_2
; %bb.1:
	s_abs_i32 s7, s50
	s_abs_i32 s38, s33
	v_cvt_f32_u32_e32 v2, s7
	s_sub_i32 s11, 0, s7
	s_load_dwordx2 s[36:37], s[4:5], 0xc8
	v_rcp_iflag_f32_e32 v2, v2
	v_mul_f32_e32 v2, 0x4f7ffffe, v2
	v_cvt_u32_f32_e32 v2, v2
	v_readfirstlane_b32 s9, v2
	s_mul_i32 s11, s11, s9
	s_mul_hi_u32 s11, s9, s11
	s_add_i32 s9, s9, s11
	s_ashr_i32 s11, s33, 31
	s_mul_hi_u32 s9, s38, s9
	s_mul_i32 s9, s9, s7
	s_sub_i32 s9, s38, s9
	s_sub_i32 s38, s9, s7
	s_cmp_ge_u32 s9, s7
	s_cselect_b32 s9, s38, s9
	s_sub_i32 s38, s9, s7
	s_cmp_ge_u32 s9, s7
	s_cselect_b32 s7, s38, s9
	s_xor_b32 s7, s7, s11
	s_sub_i32 s7, s7, s11
	s_ashr_i32 s9, s7, 31
	s_waitcnt lgkmcnt(0)
	s_mul_hi_u32 s11, s36, s7
	s_mul_i32 s9, s36, s9
	s_add_i32 s9, s11, s9
	s_mul_i32 s11, s37, s7
	s_mul_i32 s7, s36, s7
	s_add_i32 s9, s9, s11
	s_add_u32 s46, s18, s7
	s_addc_u32 s47, s19, s9
.LBB56_2:
	s_clause 0x1
	s_load_dwordx4 s[36:39], s[4:5], 0x40
	s_load_dword s7, s[4:5], 0x50
	v_mov_b32_e32 v40, 1.0
	s_waitcnt lgkmcnt(0)
	v_cmp_le_f32_e64 s9, s37, 0
	s_mul_hi_u32 s37, s49, s6
	s_and_b32 vcc_lo, exec_lo, s9
	s_cbranch_vccnz .LBB56_4
; %bb.3:
	v_sub_co_u32 v3, vcc_lo, s44, s7
	v_mov_b32_e32 v2, s38
	s_add_i32 s6, s44, 1
	v_lshlrev_b32_e32 v3, 1, v3
	v_cndmask_b32_e32 v2, s39, v2, vcc_lo
	v_or_b32_e32 v3, 1, v3
	v_cndmask_b32_e64 v3, v3, s6, vcc_lo
	v_cmp_neq_f32_e32 vcc_lo, 1.0, v2
	s_mov_b32 s6, 0x3e76c4e1
	v_cvt_f32_i32_e32 v3, v3
	v_cndmask_b32_e32 v4, 1.0, v3, vcc_lo
	v_cmp_neq_f32_e32 vcc_lo, 0, v4
	v_cndmask_b32_e32 v5, 1.0, v2, vcc_lo
	v_frexp_mant_f32_e64 v2, |v5|
	v_cmp_eq_f32_e64 s9, 0, v5
	v_cmp_gt_f32_e32 vcc_lo, 0x3f2aaaab, v2
	v_cndmask_b32_e64 v3, 1.0, 2.0, vcc_lo
	v_mul_f32_e32 v2, v2, v3
	v_add_f32_e32 v3, 1.0, v2
	v_add_f32_e32 v7, -1.0, v2
	v_rcp_f32_e32 v6, v3
	v_add_f32_e32 v9, -1.0, v3
	v_sub_f32_e32 v2, v2, v9
	v_mul_f32_e32 v8, v7, v6
	v_mul_f32_e32 v10, v3, v8
	v_fma_f32 v3, v8, v3, -v10
	v_fmac_f32_e32 v3, v8, v2
	v_add_f32_e32 v2, v10, v3
	v_sub_f32_e32 v9, v7, v2
	v_sub_f32_e32 v10, v2, v10
	;; [unrolled: 1-line block ×5, first 2 shown]
	v_add_f32_e32 v2, v3, v2
	v_add_f32_e32 v2, v9, v2
	v_mul_f32_e32 v2, v6, v2
	v_add_f32_e32 v6, v8, v2
	v_sub_f32_e32 v3, v6, v8
	v_mul_f32_e32 v7, v6, v6
	v_sub_f32_e32 v8, v2, v3
	v_fma_f32 v2, v6, v6, -v7
	v_add_f32_e32 v3, v8, v8
	v_fmac_f32_e32 v2, v6, v3
	v_add_f32_e32 v9, v7, v2
	v_fmaak_f32 v3, s6, v9, 0x3e91f4c4
	v_sub_f32_e32 v7, v9, v7
	v_mul_f32_e32 v14, v6, v9
	v_fmaak_f32 v3, v9, v3, 0x3ecccdef
	v_sub_f32_e32 v7, v2, v7
	v_fma_f32 v15, v9, v6, -v14
	v_mul_f32_e32 v10, v9, v3
	v_fmac_f32_e32 v15, v9, v8
	v_ldexp_f32 v8, v8, 1
	v_fma_f32 v11, v9, v3, -v10
	v_fmac_f32_e32 v15, v7, v6
	v_fmac_f32_e32 v11, v7, v3
	v_cvt_f64_f32_e64 v[2:3], |v5|
	v_add_f32_e32 v12, v10, v11
	v_sub_f32_e32 v10, v12, v10
	v_add_f32_e32 v13, 0x3f2aaaaa, v12
	v_sub_f32_e32 v10, v11, v10
	v_add_f32_e32 v11, 0xbf2aaaaa, v13
	v_add_f32_e32 v10, 0x31739010, v10
	v_sub_f32_e32 v11, v12, v11
	v_frexp_exp_i32_f64_e32 v2, v[2:3]
	v_add_f32_e32 v9, v10, v11
	v_add_f32_e32 v10, v14, v15
	;; [unrolled: 1-line block ×3, first 2 shown]
	v_sub_f32_e32 v12, v10, v14
	v_sub_f32_e32 v3, v13, v7
	v_mul_f32_e32 v11, v10, v7
	v_sub_f32_e32 v12, v15, v12
	v_add_f32_e32 v3, v9, v3
	v_fma_f32 v9, v10, v7, -v11
	v_subrev_co_ci_u32_e64 v2, null, 0, v2, vcc_lo
	v_fmac_f32_e32 v9, v10, v3
	v_ldexp_f32 v3, v6, 1
	v_cvt_f32_i32_e32 v2, v2
	v_fmac_f32_e32 v9, v12, v7
	v_add_f32_e32 v6, v11, v9
	v_add_f32_e32 v7, v3, v6
	v_sub_f32_e32 v10, v6, v11
	v_mul_f32_e32 v11, 0x3f317218, v2
	v_sub_f32_e32 v3, v7, v3
	v_sub_f32_e32 v9, v9, v10
	v_fma_f32 v10, 0x3f317218, v2, -v11
	v_sub_f32_e32 v3, v6, v3
	v_add_f32_e32 v6, v8, v9
	v_fmamk_f32 v2, v2, 0xb102e308, v10
	v_add_f32_e32 v3, v6, v3
	v_add_f32_e32 v6, v11, v2
	;; [unrolled: 1-line block ×3, first 2 shown]
	v_sub_f32_e32 v11, v6, v11
	v_add_f32_e32 v9, v6, v8
	v_sub_f32_e32 v7, v8, v7
	v_sub_f32_e32 v2, v2, v11
	;; [unrolled: 1-line block ×6, first 2 shown]
	v_add_f32_e32 v8, v2, v3
	v_sub_f32_e32 v6, v6, v12
	v_add_f32_e32 v6, v7, v6
	v_sub_f32_e32 v7, v8, v2
	;; [unrolled: 2-line block ×3, first 2 shown]
	v_sub_f32_e32 v3, v3, v7
	v_add_f32_e32 v10, v9, v6
	v_sub_f32_e32 v2, v2, v8
	v_sub_f32_e32 v7, v10, v9
	v_add_f32_e32 v2, v3, v2
	v_sub_f32_e32 v3, v6, v7
	v_add_f32_e32 v2, v2, v3
	v_add_f32_e32 v3, v10, v2
	v_sub_f32_e32 v6, v3, v10
	v_mul_f32_e32 v7, v4, v3
	v_sub_f32_e32 v2, v2, v6
	v_fma_f32 v3, v4, v3, -v7
	v_cmp_class_f32_e64 vcc_lo, v7, 0x204
	v_fmac_f32_e32 v3, v4, v2
	v_add_f32_e32 v2, v7, v3
	v_cndmask_b32_e32 v6, v2, v7, vcc_lo
	v_sub_f32_e32 v2, v2, v7
	v_cmp_eq_f32_e32 vcc_lo, 0x42b17218, v6
	v_sub_f32_e32 v2, v3, v2
	v_cndmask_b32_e64 v8, 0, 0x37000000, vcc_lo
	v_cmp_neq_f32_e64 vcc_lo, 0x7f800000, |v6|
	v_sub_f32_e32 v9, v6, v8
	v_cndmask_b32_e32 v2, 0, v2, vcc_lo
	v_trunc_f32_e32 v6, v4
	v_mul_f32_e32 v10, 0x3fb8aa3b, v9
	v_cmp_ngt_f32_e32 vcc_lo, 0xc2ce8ed0, v9
	v_add_f32_e32 v2, v8, v2
	v_fma_f32 v11, 0x3fb8aa3b, v9, -v10
	v_rndne_f32_e32 v12, v10
	v_fmamk_f32 v11, v9, 0x32a5705f, v11
	v_sub_f32_e32 v10, v10, v12
	v_cvt_i32_f32_e32 v7, v12
	v_add_f32_e32 v10, v10, v11
	v_exp_f32_e32 v10, v10
	v_ldexp_f32 v3, v10, v7
	v_mul_f32_e32 v7, 0.5, v4
	v_cndmask_b32_e32 v3, 0, v3, vcc_lo
	v_cmp_nlt_f32_e32 vcc_lo, 0x42b17218, v9
	v_trunc_f32_e32 v10, v7
	v_cndmask_b32_e32 v3, 0x7f800000, v3, vcc_lo
	v_cmp_eq_f32_e32 vcc_lo, v6, v4
	v_cmp_neq_f32_e64 s6, v10, v7
	v_fma_f32 v2, v3, v2, v3
	v_cmp_class_f32_e64 s7, v3, 0x204
	s_and_b32 s6, vcc_lo, s6
	v_cndmask_b32_e64 v6, 1.0, v5, s6
	v_cndmask_b32_e64 v2, v2, v3, s7
	v_cmp_gt_f32_e64 s7, 0, v4
	v_bfi_b32 v2, 0x7fffffff, v2, v6
	s_xor_b32 s7, s7, s9
	v_cndmask_b32_e64 v6, 0, v5, s6
	v_cndmask_b32_e64 v3, 0x7f800000, 0, s7
	v_cmp_class_f32_e64 s6, v5, 0x204
	v_cndmask_b32_e32 v4, 0x7fc00000, v2, vcc_lo
	v_cmp_gt_f32_e32 vcc_lo, 0, v5
	v_bfi_b32 v3, 0x7fffffff, v3, v6
	v_cndmask_b32_e32 v2, v2, v4, vcc_lo
	s_or_b32 vcc_lo, s9, s6
	v_cndmask_b32_e32 v2, v2, v3, vcc_lo
	v_cmp_o_f32_e32 vcc_lo, v5, v5
	v_cndmask_b32_e32 v40, 0x7fc00000, v2, vcc_lo
.LBB56_4:
	v_lshlrev_b32_e32 v31, 2, v1
	s_lshl_b32 s18, s8, 5
	s_load_dwordx4 s[40:43], s[4:5], 0x70
	s_ashr_i32 s45, s44, 31
	s_ashr_i32 s38, s10, 31
	v_or_b32_e32 v29, 1, v31
	v_add_nc_u32_e32 v33, s18, v31
	v_or_b32_e32 v28, 2, v31
	v_or_b32_e32 v26, 3, v31
	v_lshlrev_b32_e32 v37, 3, v0
	v_add_nc_u32_e32 v34, s18, v29
	v_mul_hi_u32 v2, v33, s28
	v_add_nc_u32_e32 v30, s18, v28
	v_add_nc_u32_e32 v27, s18, v26
	v_lshlrev_b32_e32 v36, 10, v1
	v_mul_hi_u32 v3, v34, s28
	v_or_b32_e32 v18, 0x6800, v37
	v_mul_hi_u32 v4, v30, s28
	v_mul_hi_u32 v5, v27, s28
	v_add_nc_u32_e32 v2, v33, v2
	v_mov_b32_e32 v22, 0
	v_add_nc_u32_e32 v19, v18, v36
	s_waitcnt lgkmcnt(0)
	s_mul_i32 s6, s33, s42
	v_add_nc_u32_e32 v3, v34, v3
	v_lshrrev_b32_e32 v2, s29, v2
	v_add_nc_u32_e32 v4, v30, v4
	v_add_nc_u32_e32 v5, v27, v5
	s_mul_i32 s7, s44, s41
	v_lshrrev_b32_e32 v3, s29, v3
	v_mul_lo_u32 v2, v2, s30
	v_lshrrev_b32_e32 v4, s29, v4
	v_lshrrev_b32_e32 v5, s29, v5
	s_ashr_i32 s9, s6, 31
	v_mul_lo_u32 v6, v3, s30
	s_add_u32 s6, s12, s6
	v_mul_lo_u32 v4, v4, s30
	v_mul_lo_u32 v5, v5, s30
	s_addc_u32 s9, s13, s9
	s_ashr_i32 s10, s7, 31
	s_add_u32 s11, s6, s7
	v_sub_nc_u32_e32 v45, v33, v2
	v_sub_nc_u32_e32 v12, v34, v6
	s_addc_u32 s9, s9, s10
	s_ashr_i32 s41, s40, 31
	v_sub_nc_u32_e32 v13, v30, v4
	s_lshr_b64 s[6:7], s[40:41], 2
	v_sub_nc_u32_e32 v14, v27, v5
	v_mad_u64_u32 v[2:3], null, s6, v45, 0
	v_mad_u64_u32 v[4:5], null, s6, v12, 0
	;; [unrolled: 1-line block ×4, first 2 shown]
	s_lshr_b32 s6, s41, 2
	v_lshl_add_u32 v20, v29, 8, v18
	v_mad_u64_u32 v[8:9], null, s6, v45, v[3:4]
	v_mov_b32_e32 v3, v5
	v_mov_b32_e32 v5, v7
	;; [unrolled: 1-line block ×3, first 2 shown]
	v_lshlrev_b32_e32 v9, 4, v0
	v_lshl_add_u32 v21, v28, 8, v18
	v_mad_u64_u32 v[11:12], null, s6, v12, v[3:4]
	v_mad_u64_u32 v[12:13], null, s6, v13, v[5:6]
	v_mov_b32_e32 v3, v8
	v_add_co_u32 v16, s7, s11, v9
	v_mad_u64_u32 v[8:9], null, s6, v14, v[7:8]
	v_mov_b32_e32 v5, v11
	v_lshlrev_b64 v[2:3], 2, v[2:3]
	v_add_co_ci_u32_e64 v17, null, s9, 0, s7
	v_mov_b32_e32 v7, v12
	v_lshlrev_b64 v[4:5], 2, v[4:5]
	v_mov_b32_e32 v11, v8
	v_add_co_u32 v2, vcc_lo, v16, v2
	v_add_co_ci_u32_e64 v3, null, v17, v3, vcc_lo
	v_add_co_u32 v12, vcc_lo, v16, v4
	v_lshlrev_b64 v[14:15], 2, v[6:7]
	v_add_co_ci_u32_e64 v13, null, v17, v5, vcc_lo
	v_lshlrev_b64 v[10:11], 2, v[10:11]
	s_clause 0x1
	global_load_dwordx4 v[2:5], v[2:3], off
	global_load_dwordx4 v[6:9], v[12:13], off
	v_add_co_u32 v12, vcc_lo, v16, v14
	v_add_co_ci_u32_e64 v13, null, v17, v15, vcc_lo
	v_add_co_u32 v14, vcc_lo, v16, v10
	v_add_co_ci_u32_e64 v15, null, v17, v11, vcc_lo
	s_clause 0x1
	global_load_dwordx4 v[10:13], v[12:13], off
	global_load_dwordx4 v[14:17], v[14:15], off
	s_mov_b32 s7, 0
	v_lshl_add_u32 v18, v26, 8, v18
	s_cmp_eq_u64 s[22:23], 0
	s_waitcnt vmcnt(3)
	v_fma_mixlo_f16 v3, s36, v3, 0
	v_fma_mixlo_f16 v2, s36, v2, 0
	v_fma_mixlo_f16 v5, s36, v5, 0
	v_fma_mixlo_f16 v4, s36, v4, 0
	s_waitcnt vmcnt(2)
	v_fma_mixlo_f16 v6, s36, v6, 0
	v_lshlrev_b32_e32 v3, 16, v3
	v_and_b32_e32 v2, 0xffff, v2
	v_lshlrev_b32_e32 v5, 16, v5
	v_and_b32_e32 v4, 0xffff, v4
	v_fma_mixlo_f16 v7, s36, v7, 0
	v_fma_mixlo_f16 v8, s36, v8, 0
	;; [unrolled: 1-line block ×3, first 2 shown]
	s_waitcnt vmcnt(1)
	v_fma_mixlo_f16 v10, s36, v10, 0
	v_fma_mixlo_f16 v11, s36, v11, 0
	;; [unrolled: 1-line block ×4, first 2 shown]
	s_waitcnt vmcnt(0)
	v_fma_mixlo_f16 v14, s36, v14, 0
	v_fma_mixlo_f16 v15, s36, v15, 0
	v_or_b32_e32 v2, v3, v2
	v_or3_b32 v3, v5, v4, 0
	v_lshlrev_b32_e32 v4, 16, v7
	v_and_b32_e32 v5, 0xffff, v6
	v_lshlrev_b32_e32 v6, 16, v9
	v_and_b32_e32 v7, 0xffff, v8
	;; [unrolled: 2-line block ×3, first 2 shown]
	v_fma_mixlo_f16 v16, s36, v16, 0
	v_fma_mixlo_f16 v17, s36, v17, 0
	v_lshlrev_b32_e32 v10, 16, v13
	v_and_b32_e32 v11, 0xffff, v12
	v_lshlrev_b32_e32 v12, 16, v15
	v_and_b32_e32 v13, 0xffff, v14
	v_or_b32_e32 v4, v4, v5
	v_or3_b32 v5, v6, v7, 0
	v_or_b32_e32 v6, v8, v9
	v_lshlrev_b32_e32 v14, 16, v17
	v_and_b32_e32 v15, 0xffff, v16
	v_or_b32_e32 v8, v12, v13
	v_or3_b32 v2, 0, 0, v2
	v_or3_b32 v4, 0, 0, v4
	;; [unrolled: 1-line block ×6, first 2 shown]
	ds_write_b64 v19, v[2:3]
	ds_write_b64 v20, v[4:5]
	;; [unrolled: 1-line block ×4, first 2 shown]
	s_waitcnt lgkmcnt(0)
	s_barrier
	buffer_gl0_inv
	s_cbranch_scc1 .LBB56_6
; %bb.5:
	s_load_dword s6, s[4:5], 0xd0
	s_waitcnt lgkmcnt(0)
	s_mul_i32 s6, s6, s33
	s_add_i32 s6, s6, s8
	s_lshl_b64 s[6:7], s[6:7], 2
	s_add_u32 s6, s22, s6
	s_addc_u32 s7, s23, s7
	s_load_dword s48, s[6:7], 0x0
.LBB56_6:
	s_clause 0x1
	s_load_dwordx2 s[6:7], s[4:5], 0x8c
	s_load_dwordx4 s[8:11], s[4:5], 0x98
	s_ashr_i32 s36, s33, 31
	s_load_dwordx2 s[12:13], s[4:5], 0xa8
	s_ashr_i32 s22, s51, 1
	s_mul_i32 s39, s37, s35
	v_lshlrev_b32_e32 v32, 2, v0
	v_lshrrev_b32_e32 v56, 3, v0
	v_mul_u32_u24_e32 v46, 0x90, v0
	v_or_b32_e32 v44, 1, v33
	v_or_b32_e32 v43, 2, v33
	v_or_b32_e32 v42, 3, v33
	v_and_b32_e32 v55, 28, v32
	v_add_nc_u32_e32 v41, 0x4800, v36
	v_lshrrev_b32_e32 v38, 4, v0
	v_and_b32_e32 v39, 60, v32
	v_mbcnt_lo_u32_b32 v35, -1, 0
	s_waitcnt lgkmcnt(0)
	s_ashr_i32 s23, s6, 2
	s_ashr_i32 s19, s10, 2
	s_mul_hi_u32 s6, s8, s33
	s_mul_i32 s10, s8, s36
	s_mul_i32 s9, s9, s33
	s_add_i32 s6, s6, s10
	s_mul_i32 s8, s8, s33
	s_add_i32 s6, s6, s9
	s_add_u32 s8, s14, s8
	s_addc_u32 s6, s15, s6
	s_sub_i32 s10, s49, s39
	s_xor_b32 s9, s45, s38
	s_add_i32 s14, s37, 1
	s_sub_i32 s15, s10, s35
	s_cmp_ge_u32 s10, s35
	s_mul_i32 s13, s13, s33
	s_cselect_b32 s14, s14, s37
	s_cselect_b32 s10, s15, s10
	s_add_i32 s15, s14, 1
	s_cmp_ge_u32 s10, s35
	s_cselect_b32 s10, s15, s14
	s_mul_hi_u32 s14, s12, s33
	s_xor_b32 s10, s10, s9
	s_mul_i32 s15, s12, s36
	s_sub_i32 s10, s10, s9
	s_mul_i32 s12, s12, s33
	s_mul_i32 s7, s10, s7
	;; [unrolled: 1-line block ×3, first 2 shown]
	s_ashr_i32 s9, s7, 31
	s_add_u32 s8, s8, s7
	s_addc_u32 s9, s6, s9
	s_add_i32 s6, s14, s15
	s_add_i32 s6, s6, s13
	s_add_u32 s7, s16, s12
	s_addc_u32 s6, s17, s6
	s_ashr_i32 s12, s10, 31
	s_add_u32 s11, s7, s10
	s_addc_u32 s14, s6, s12
	s_lshl_b32 s10, s34, 7
	s_add_i32 s12, s48, 0xffffff80
	s_cmp_ge_i32 s10, s12
	s_cbranch_scc1 .LBB56_43
; %bb.7:
	v_add_nc_u32_e32 v3, v56, v31
	v_lshlrev_b32_e32 v4, 2, v55
	s_lshl_b32 s6, s23, 5
	v_mul_hi_u32 v5, s28, v44
	v_mul_hi_u32 v6, s28, v43
	v_mul_lo_u32 v2, s23, v3
	v_mul_hi_u32 v7, s28, v42
	v_lshl_add_u32 v8, v1, 1, v38
	v_mad_u32_u24 v58, 0x90, v3, v4
	s_cmp_lg_u64 s[46:47], 0
	v_lshlrev_b32_e32 v15, 2, v39
	v_add_nc_u32_e32 v5, v44, v5
	v_mul_lo_u32 v14, s19, v8
	v_add_nc_u32_e32 v4, s6, v2
	v_add_nc_u32_e32 v6, v43, v6
	;; [unrolled: 1-line block ×3, first 2 shown]
	s_cselect_b32 s13, -1, 0
	v_lshrrev_b32_e32 v9, s29, v5
	v_add_nc_u32_e32 v10, s6, v4
	v_lshrrev_b32_e32 v6, s29, v6
	v_lshrrev_b32_e32 v7, s29, v7
	v_ashrrev_i32_e32 v3, 31, v2
	v_mul_lo_u32 v9, v9, s30
	v_add_nc_u32_e32 v12, s6, v10
	s_lshl_b32 s6, s19, 4
	v_mul_lo_u32 v6, v6, s30
	v_add_nc_u32_e32 v16, s6, v14
	v_mul_lo_u32 v7, v7, s30
	v_ashrrev_i32_e32 v5, 31, v4
	v_ashrrev_i32_e32 v11, 31, v10
	v_sub_nc_u32_e32 v9, v44, v9
	v_add_nc_u32_e32 v18, s6, v16
	v_ashrrev_i32_e32 v13, 31, v12
	v_sub_nc_u32_e32 v6, v43, v6
	v_lshl_or_b32 v64, v8, 8, v15
	v_sub_nc_u32_e32 v7, v42, v7
	v_add_nc_u32_e32 v20, s6, v18
	v_ashrrev_i32_e32 v15, 31, v14
	v_ashrrev_i32_e32 v17, 31, v16
	;; [unrolled: 1-line block ×3, first 2 shown]
	v_mul_lo_u32 v62, v45, s22
	v_ashrrev_i32_e32 v21, 31, v20
	v_mul_lo_u32 v63, v9, s22
	v_mul_lo_u32 v65, v6, s22
	v_mul_lo_u32 v66, v7, s22
	v_lshlrev_b64 v[6:7], 2, v[2:3]
	v_lshlrev_b64 v[8:9], 2, v[4:5]
	;; [unrolled: 1-line block ×8, first 2 shown]
	v_mov_b32_e32 v50, 0
	v_add_nc_u32_e32 v57, 0x6800, v36
	v_add_nc_u32_e32 v59, 0x1200, v58
	;; [unrolled: 1-line block ×7, first 2 shown]
	v_mov_b32_e32 v81, 0xfeffffff
	v_lshlrev_b32_e32 v70, 2, v55
	v_lshlrev_b32_e32 v71, 2, v39
	v_mbcnt_lo_u32_b32 v72, -1, 0
	v_mov_b32_e32 v73, 0x10001
	v_mov_b32_e32 v51, 0
	;; [unrolled: 1-line block ×15, first 2 shown]
	s_add_u32 s6, s4, 0xd0
	s_addc_u32 s7, s5, 0
.LBB56_8:                               ; =>This Inner Loop Header: Depth=1
	s_mul_hi_i32 s17, s10, s23
	s_mul_i32 s16, s10, s23
	v_mov_b32_e32 v93, 0
	s_lshl_b64 s[16:17], s[16:17], 2
	v_mov_b32_e32 v88, 0
	s_add_u32 s15, s8, s16
	s_addc_u32 s16, s9, s17
	v_add_co_u32 v2, vcc_lo, s15, v6
	v_add_co_ci_u32_e64 v3, null, s16, v7, vcc_lo
	v_add_co_u32 v4, vcc_lo, s15, v8
	v_add_co_ci_u32_e64 v5, null, s16, v9, vcc_lo
	;; [unrolled: 2-line block ×8, first 2 shown]
	s_clause 0x3
	global_load_dwordx4 v[89:92], v[2:3], off
	global_load_dwordx4 v[94:97], v[4:5], off
	;; [unrolled: 1-line block ×4, first 2 shown]
	v_mov_b32_e32 v84, 0
	v_mov_b32_e32 v82, 0
	;; [unrolled: 1-line block ×6, first 2 shown]
	s_andn2_b32 vcc_lo, exec_lo, s13
	s_waitcnt vmcnt(3)
	ds_write_b128 v58, v[89:92]
	s_waitcnt vmcnt(2)
	ds_write_b128 v59, v[94:97]
	;; [unrolled: 2-line block ×4, first 2 shown]
	s_waitcnt lgkmcnt(0)
	s_barrier
	buffer_gl0_inv
	ds_read_b128 v[98:101], v46
	ds_read_b128 v[102:105], v57
	ds_read_b128 v[106:109], v57 offset:256
	ds_read_b128 v[118:121], v46 offset:4608
	;; [unrolled: 1-line block ×6, first 2 shown]
	s_waitcnt lgkmcnt(6)
	;;#ASMSTART
	v_dot2_f32_f16 v93, v98, v102, v93
	;;#ASMEND
	;;#ASMSTART
	v_dot2_f32_f16 v93, v99, v103, v93
	;;#ASMEND
	;;#ASMSTART
	v_dot2_f32_f16 v93, v100, v104, v93
	;;#ASMEND
	;;#ASMSTART
	v_dot2_f32_f16 v93, v101, v105, v93
	;;#ASMEND
	s_waitcnt lgkmcnt(5)
	;;#ASMSTART
	v_dot2_f32_f16 v88, v98, v106, v88
	;;#ASMEND
	;;#ASMSTART
	v_dot2_f32_f16 v88, v99, v107, v88
	;;#ASMEND
	;;#ASMSTART
	v_dot2_f32_f16 v88, v100, v108, v88
	;;#ASMEND
	;;#ASMSTART
	v_dot2_f32_f16 v88, v101, v109, v88
	;;#ASMEND
	s_waitcnt lgkmcnt(3)
	;;#ASMSTART
	v_dot2_f32_f16 v84, v98, v110, v84
	;;#ASMEND
	;;#ASMSTART
	v_dot2_f32_f16 v84, v99, v111, v84
	;;#ASMEND
	;;#ASMSTART
	v_dot2_f32_f16 v84, v100, v112, v84
	;;#ASMEND
	;;#ASMSTART
	v_dot2_f32_f16 v84, v101, v113, v84
	;;#ASMEND
	s_waitcnt lgkmcnt(2)
	;;#ASMSTART
	v_dot2_f32_f16 v82, v98, v114, v82
	;;#ASMEND
	;;#ASMSTART
	v_dot2_f32_f16 v82, v99, v115, v82
	;;#ASMEND
	v_mov_b32_e32 v95, 0
	;;#ASMSTART
	v_dot2_f32_f16 v82, v100, v116, v82
	;;#ASMEND
	;;#ASMSTART
	v_dot2_f32_f16 v82, v101, v117, v82
	;;#ASMEND
	;; [unrolled: 3-line block ×4, first 2 shown]
	v_mov_b32_e32 v90, 0
	;;#ASMSTART
	v_dot2_f32_f16 v95, v120, v104, v95
	;;#ASMEND
	;;#ASMSTART
	v_dot2_f32_f16 v95, v121, v105, v95
	;;#ASMEND
	;; [unrolled: 3-line block ×12, first 2 shown]
	v_mov_b32_e32 v96, 0
	;;#ASMSTART
	v_dot2_f32_f16 v83, v120, v116, v83
	;;#ASMEND
	;;#ASMSTART
	v_dot2_f32_f16 v83, v121, v117, v83
	;;#ASMEND
	s_waitcnt lgkmcnt(1)
	;;#ASMSTART
	v_dot2_f32_f16 v96, v122, v102, v96
	;;#ASMEND
	;;#ASMSTART
	v_dot2_f32_f16 v96, v123, v103, v96
	;;#ASMEND
	v_mov_b32_e32 v92, 0
	;;#ASMSTART
	v_dot2_f32_f16 v96, v124, v104, v96
	;;#ASMEND
	;;#ASMSTART
	v_dot2_f32_f16 v96, v125, v105, v96
	;;#ASMEND
	;; [unrolled: 3-line block ×4, first 2 shown]
	v_mov_b32_e32 v89, 0
	;;#ASMSTART
	v_dot2_f32_f16 v92, v124, v108, v92
	;;#ASMEND
	;;#ASMSTART
	v_dot2_f32_f16 v92, v125, v109, v92
	;;#ASMEND
	;; [unrolled: 3-line block ×8, first 2 shown]
	v_mov_b32_e32 v97, 0
	;;#ASMSTART
	v_dot2_f32_f16 v85, v124, v116, v85
	;;#ASMEND
	;;#ASMSTART
	v_dot2_f32_f16 v85, v125, v117, v85
	;;#ASMEND
	s_waitcnt lgkmcnt(0)
	;;#ASMSTART
	v_dot2_f32_f16 v97, v126, v102, v97
	;;#ASMEND
	;;#ASMSTART
	v_dot2_f32_f16 v97, v127, v103, v97
	;;#ASMEND
	v_mov_b32_e32 v94, 0
	;;#ASMSTART
	v_dot2_f32_f16 v97, v128, v104, v97
	;;#ASMEND
	;;#ASMSTART
	v_dot2_f32_f16 v97, v129, v105, v97
	;;#ASMEND
	;; [unrolled: 3-line block ×4, first 2 shown]
	v_mov_b32_e32 v91, 0
	;;#ASMSTART
	v_dot2_f32_f16 v94, v128, v108, v94
	;;#ASMEND
	;;#ASMSTART
	v_dot2_f32_f16 v94, v129, v109, v94
	;;#ASMEND
	;; [unrolled: 3-line block ×10, first 2 shown]
	ds_read_b128 v[98:101], v46 offset:16
	ds_read_b128 v[102:105], v57 offset:16
	ds_read_b128 v[106:109], v57 offset:272
	ds_read_b128 v[110:113], v57 offset:528
	ds_read_b128 v[114:117], v57 offset:784
	ds_read_b128 v[118:121], v46 offset:4624
	ds_read_b128 v[122:125], v46 offset:9232
	ds_read_b128 v[126:129], v46 offset:13840
	s_waitcnt lgkmcnt(6)
	;;#ASMSTART
	v_dot2_f32_f16 v93, v98, v102, v93
	;;#ASMEND
	;;#ASMSTART
	v_dot2_f32_f16 v93, v99, v103, v93
	;;#ASMEND
	;;#ASMSTART
	v_dot2_f32_f16 v93, v100, v104, v93
	;;#ASMEND
	;;#ASMSTART
	v_dot2_f32_f16 v93, v101, v105, v93
	;;#ASMEND
	s_waitcnt lgkmcnt(5)
	;;#ASMSTART
	v_dot2_f32_f16 v88, v98, v106, v88
	;;#ASMEND
	;;#ASMSTART
	v_dot2_f32_f16 v88, v99, v107, v88
	;;#ASMEND
	;;#ASMSTART
	v_dot2_f32_f16 v88, v100, v108, v88
	;;#ASMEND
	;;#ASMSTART
	v_dot2_f32_f16 v88, v101, v109, v88
	;;#ASMEND
	s_waitcnt lgkmcnt(4)
	;;#ASMSTART
	v_dot2_f32_f16 v84, v98, v110, v84
	;;#ASMEND
	;;#ASMSTART
	v_dot2_f32_f16 v84, v99, v111, v84
	;;#ASMEND
	;;#ASMSTART
	v_dot2_f32_f16 v84, v100, v112, v84
	;;#ASMEND
	;;#ASMSTART
	v_dot2_f32_f16 v84, v101, v113, v84
	;;#ASMEND
	s_waitcnt lgkmcnt(3)
	;;#ASMSTART
	v_dot2_f32_f16 v82, v98, v114, v82
	;;#ASMEND
	;;#ASMSTART
	v_dot2_f32_f16 v82, v99, v115, v82
	;;#ASMEND
	;;#ASMSTART
	v_dot2_f32_f16 v82, v100, v116, v82
	;;#ASMEND
	;;#ASMSTART
	v_dot2_f32_f16 v82, v101, v117, v82
	;;#ASMEND
	s_waitcnt lgkmcnt(2)
	;;#ASMSTART
	v_dot2_f32_f16 v95, v118, v102, v95
	;;#ASMEND
	;;#ASMSTART
	v_dot2_f32_f16 v95, v119, v103, v95
	;;#ASMEND
	;;#ASMSTART
	v_dot2_f32_f16 v95, v120, v104, v95
	;;#ASMEND
	;;#ASMSTART
	v_dot2_f32_f16 v95, v121, v105, v95
	;;#ASMEND
	;;#ASMSTART
	v_dot2_f32_f16 v90, v118, v106, v90
	;;#ASMEND
	;;#ASMSTART
	v_dot2_f32_f16 v90, v119, v107, v90
	;;#ASMEND
	;; [unrolled: 3-line block ×12, first 2 shown]
	s_waitcnt lgkmcnt(1)
	;;#ASMSTART
	v_dot2_f32_f16 v96, v122, v102, v96
	;;#ASMEND
	;;#ASMSTART
	v_dot2_f32_f16 v96, v123, v103, v96
	;;#ASMEND
	;; [unrolled: 3-line block ×16, first 2 shown]
	s_waitcnt lgkmcnt(0)
	;;#ASMSTART
	v_dot2_f32_f16 v97, v126, v102, v97
	;;#ASMEND
	;;#ASMSTART
	v_dot2_f32_f16 v97, v127, v103, v97
	;;#ASMEND
	;; [unrolled: 3-line block ×16, first 2 shown]
	ds_read_b128 v[98:101], v46 offset:32
	ds_read_b128 v[102:105], v57 offset:32
	;; [unrolled: 1-line block ×8, first 2 shown]
	s_waitcnt lgkmcnt(6)
	;;#ASMSTART
	v_dot2_f32_f16 v93, v98, v102, v93
	;;#ASMEND
	;;#ASMSTART
	v_dot2_f32_f16 v93, v99, v103, v93
	;;#ASMEND
	;;#ASMSTART
	v_dot2_f32_f16 v93, v100, v104, v93
	;;#ASMEND
	;;#ASMSTART
	v_dot2_f32_f16 v93, v101, v105, v93
	;;#ASMEND
	s_waitcnt lgkmcnt(5)
	;;#ASMSTART
	v_dot2_f32_f16 v88, v98, v106, v88
	;;#ASMEND
	;;#ASMSTART
	v_dot2_f32_f16 v88, v99, v107, v88
	;;#ASMEND
	;;#ASMSTART
	v_dot2_f32_f16 v88, v100, v108, v88
	;;#ASMEND
	;;#ASMSTART
	v_dot2_f32_f16 v88, v101, v109, v88
	;;#ASMEND
	;; [unrolled: 13-line block ×5, first 2 shown]
	;;#ASMSTART
	v_dot2_f32_f16 v90, v118, v106, v90
	;;#ASMEND
	;;#ASMSTART
	v_dot2_f32_f16 v90, v119, v107, v90
	;;#ASMEND
	;; [unrolled: 3-line block ×12, first 2 shown]
	s_waitcnt lgkmcnt(1)
	;;#ASMSTART
	v_dot2_f32_f16 v96, v122, v102, v96
	;;#ASMEND
	;;#ASMSTART
	v_dot2_f32_f16 v96, v123, v103, v96
	;;#ASMEND
	;; [unrolled: 3-line block ×16, first 2 shown]
	s_waitcnt lgkmcnt(0)
	;;#ASMSTART
	v_dot2_f32_f16 v97, v126, v102, v97
	;;#ASMEND
	;;#ASMSTART
	v_dot2_f32_f16 v97, v127, v103, v97
	;;#ASMEND
	;; [unrolled: 3-line block ×16, first 2 shown]
	ds_read_b128 v[98:101], v46 offset:48
	ds_read_b128 v[102:105], v57 offset:48
	;; [unrolled: 1-line block ×8, first 2 shown]
	s_waitcnt lgkmcnt(6)
	;;#ASMSTART
	v_dot2_f32_f16 v93, v98, v102, v93
	;;#ASMEND
	;;#ASMSTART
	v_dot2_f32_f16 v93, v99, v103, v93
	;;#ASMEND
	;;#ASMSTART
	v_dot2_f32_f16 v93, v100, v104, v93
	;;#ASMEND
	;;#ASMSTART
	v_dot2_f32_f16 v93, v101, v105, v93
	;;#ASMEND
	s_waitcnt lgkmcnt(5)
	;;#ASMSTART
	v_dot2_f32_f16 v88, v98, v106, v88
	;;#ASMEND
	;;#ASMSTART
	v_dot2_f32_f16 v88, v99, v107, v88
	;;#ASMEND
	;;#ASMSTART
	v_dot2_f32_f16 v88, v100, v108, v88
	;;#ASMEND
	;;#ASMSTART
	v_dot2_f32_f16 v88, v101, v109, v88
	;;#ASMEND
	;; [unrolled: 13-line block ×5, first 2 shown]
	;;#ASMSTART
	v_dot2_f32_f16 v90, v118, v106, v90
	;;#ASMEND
	;;#ASMSTART
	v_dot2_f32_f16 v90, v119, v107, v90
	;;#ASMEND
	;; [unrolled: 3-line block ×12, first 2 shown]
	s_waitcnt lgkmcnt(1)
	;;#ASMSTART
	v_dot2_f32_f16 v96, v122, v102, v96
	;;#ASMEND
	;;#ASMSTART
	v_dot2_f32_f16 v96, v123, v103, v96
	;;#ASMEND
	;; [unrolled: 3-line block ×16, first 2 shown]
	s_waitcnt lgkmcnt(0)
	;;#ASMSTART
	v_dot2_f32_f16 v97, v126, v102, v97
	;;#ASMEND
	;;#ASMSTART
	v_dot2_f32_f16 v97, v127, v103, v97
	;;#ASMEND
	;; [unrolled: 3-line block ×16, first 2 shown]
	ds_read_b128 v[98:101], v46 offset:64
	ds_read_b128 v[102:105], v57 offset:64
	;; [unrolled: 1-line block ×8, first 2 shown]
	s_waitcnt lgkmcnt(6)
	;;#ASMSTART
	v_dot2_f32_f16 v93, v98, v102, v93
	;;#ASMEND
	;;#ASMSTART
	v_dot2_f32_f16 v93, v99, v103, v93
	;;#ASMEND
	;;#ASMSTART
	v_dot2_f32_f16 v93, v100, v104, v93
	;;#ASMEND
	;;#ASMSTART
	v_dot2_f32_f16 v93, v101, v105, v93
	;;#ASMEND
	s_waitcnt lgkmcnt(5)
	;;#ASMSTART
	v_dot2_f32_f16 v88, v98, v106, v88
	;;#ASMEND
	;;#ASMSTART
	v_dot2_f32_f16 v88, v99, v107, v88
	;;#ASMEND
	;;#ASMSTART
	v_dot2_f32_f16 v88, v100, v108, v88
	;;#ASMEND
	;;#ASMSTART
	v_dot2_f32_f16 v88, v101, v109, v88
	;;#ASMEND
	;; [unrolled: 13-line block ×5, first 2 shown]
	;;#ASMSTART
	v_dot2_f32_f16 v90, v118, v106, v90
	;;#ASMEND
	;;#ASMSTART
	v_dot2_f32_f16 v90, v119, v107, v90
	;;#ASMEND
	;; [unrolled: 3-line block ×12, first 2 shown]
	s_waitcnt lgkmcnt(1)
	;;#ASMSTART
	v_dot2_f32_f16 v96, v122, v102, v96
	;;#ASMEND
	;;#ASMSTART
	v_dot2_f32_f16 v96, v123, v103, v96
	;;#ASMEND
	;; [unrolled: 3-line block ×16, first 2 shown]
	s_waitcnt lgkmcnt(0)
	;;#ASMSTART
	v_dot2_f32_f16 v97, v126, v102, v97
	;;#ASMEND
	;;#ASMSTART
	v_dot2_f32_f16 v97, v127, v103, v97
	;;#ASMEND
	;; [unrolled: 3-line block ×16, first 2 shown]
	ds_read_b128 v[98:101], v46 offset:80
	ds_read_b128 v[102:105], v57 offset:80
	;; [unrolled: 1-line block ×8, first 2 shown]
	s_waitcnt lgkmcnt(6)
	;;#ASMSTART
	v_dot2_f32_f16 v93, v98, v102, v93
	;;#ASMEND
	;;#ASMSTART
	v_dot2_f32_f16 v93, v99, v103, v93
	;;#ASMEND
	;;#ASMSTART
	v_dot2_f32_f16 v93, v100, v104, v93
	;;#ASMEND
	;;#ASMSTART
	v_dot2_f32_f16 v93, v101, v105, v93
	;;#ASMEND
	s_waitcnt lgkmcnt(5)
	;;#ASMSTART
	v_dot2_f32_f16 v88, v98, v106, v88
	;;#ASMEND
	;;#ASMSTART
	v_dot2_f32_f16 v88, v99, v107, v88
	;;#ASMEND
	;;#ASMSTART
	v_dot2_f32_f16 v88, v100, v108, v88
	;;#ASMEND
	;;#ASMSTART
	v_dot2_f32_f16 v88, v101, v109, v88
	;;#ASMEND
	;; [unrolled: 13-line block ×5, first 2 shown]
	;;#ASMSTART
	v_dot2_f32_f16 v90, v118, v106, v90
	;;#ASMEND
	;;#ASMSTART
	v_dot2_f32_f16 v90, v119, v107, v90
	;;#ASMEND
	;; [unrolled: 3-line block ×12, first 2 shown]
	s_waitcnt lgkmcnt(1)
	;;#ASMSTART
	v_dot2_f32_f16 v96, v122, v102, v96
	;;#ASMEND
	;;#ASMSTART
	v_dot2_f32_f16 v96, v123, v103, v96
	;;#ASMEND
	;; [unrolled: 3-line block ×16, first 2 shown]
	s_waitcnt lgkmcnt(0)
	;;#ASMSTART
	v_dot2_f32_f16 v97, v126, v102, v97
	;;#ASMEND
	;;#ASMSTART
	v_dot2_f32_f16 v97, v127, v103, v97
	;;#ASMEND
	;; [unrolled: 3-line block ×16, first 2 shown]
	ds_read_b128 v[98:101], v46 offset:96
	ds_read_b128 v[102:105], v57 offset:96
	;; [unrolled: 1-line block ×8, first 2 shown]
	s_waitcnt lgkmcnt(6)
	;;#ASMSTART
	v_dot2_f32_f16 v93, v98, v102, v93
	;;#ASMEND
	;;#ASMSTART
	v_dot2_f32_f16 v93, v99, v103, v93
	;;#ASMEND
	;;#ASMSTART
	v_dot2_f32_f16 v93, v100, v104, v93
	;;#ASMEND
	;;#ASMSTART
	v_dot2_f32_f16 v93, v101, v105, v93
	;;#ASMEND
	s_waitcnt lgkmcnt(5)
	;;#ASMSTART
	v_dot2_f32_f16 v88, v98, v106, v88
	;;#ASMEND
	;;#ASMSTART
	v_dot2_f32_f16 v88, v99, v107, v88
	;;#ASMEND
	;;#ASMSTART
	v_dot2_f32_f16 v88, v100, v108, v88
	;;#ASMEND
	;;#ASMSTART
	v_dot2_f32_f16 v88, v101, v109, v88
	;;#ASMEND
	;; [unrolled: 13-line block ×5, first 2 shown]
	;;#ASMSTART
	v_dot2_f32_f16 v90, v118, v106, v90
	;;#ASMEND
	;;#ASMSTART
	v_dot2_f32_f16 v90, v119, v107, v90
	;;#ASMEND
	;; [unrolled: 3-line block ×12, first 2 shown]
	s_waitcnt lgkmcnt(1)
	;;#ASMSTART
	v_dot2_f32_f16 v96, v122, v102, v96
	;;#ASMEND
	;;#ASMSTART
	v_dot2_f32_f16 v96, v123, v103, v96
	;;#ASMEND
	;; [unrolled: 3-line block ×16, first 2 shown]
	s_waitcnt lgkmcnt(0)
	;;#ASMSTART
	v_dot2_f32_f16 v97, v126, v102, v97
	;;#ASMEND
	;;#ASMSTART
	v_dot2_f32_f16 v97, v127, v103, v97
	;;#ASMEND
	;; [unrolled: 3-line block ×16, first 2 shown]
	ds_read_b128 v[98:101], v46 offset:112
	ds_read_b128 v[102:105], v57 offset:112
	;; [unrolled: 1-line block ×8, first 2 shown]
	s_waitcnt lgkmcnt(6)
	;;#ASMSTART
	v_dot2_f32_f16 v93, v98, v102, v93
	;;#ASMEND
	;;#ASMSTART
	v_dot2_f32_f16 v93, v99, v103, v93
	;;#ASMEND
	;;#ASMSTART
	v_dot2_f32_f16 v93, v100, v104, v93
	;;#ASMEND
	;;#ASMSTART
	v_dot2_f32_f16 v93, v101, v105, v93
	;;#ASMEND
	s_waitcnt lgkmcnt(5)
	;;#ASMSTART
	v_dot2_f32_f16 v88, v98, v106, v88
	;;#ASMEND
	;;#ASMSTART
	v_dot2_f32_f16 v88, v99, v107, v88
	;;#ASMEND
	;;#ASMSTART
	v_dot2_f32_f16 v88, v100, v108, v88
	;;#ASMEND
	;;#ASMSTART
	v_dot2_f32_f16 v88, v101, v109, v88
	;;#ASMEND
	;; [unrolled: 13-line block ×5, first 2 shown]
	;;#ASMSTART
	v_dot2_f32_f16 v90, v118, v106, v90
	;;#ASMEND
	;;#ASMSTART
	v_dot2_f32_f16 v90, v119, v107, v90
	;;#ASMEND
	;; [unrolled: 3-line block ×12, first 2 shown]
	s_waitcnt lgkmcnt(1)
	;;#ASMSTART
	v_dot2_f32_f16 v96, v122, v102, v96
	;;#ASMEND
	;;#ASMSTART
	v_dot2_f32_f16 v96, v123, v103, v96
	;;#ASMEND
	;; [unrolled: 3-line block ×16, first 2 shown]
	s_waitcnt lgkmcnt(0)
	;;#ASMSTART
	v_dot2_f32_f16 v97, v126, v102, v97
	;;#ASMEND
	;;#ASMSTART
	v_dot2_f32_f16 v97, v127, v103, v97
	;;#ASMEND
	;; [unrolled: 3-line block ×16, first 2 shown]
	s_barrier
	buffer_gl0_inv
	s_clause 0x3
	global_load_dwordx4 v[98:101], v[2:3], off offset:128
	global_load_dwordx4 v[2:5], v[4:5], off offset:128
	;; [unrolled: 1-line block ×4, first 2 shown]
	s_waitcnt vmcnt(3)
	ds_write_b128 v58, v[98:101]
	s_waitcnt vmcnt(2)
	ds_write_b128 v59, v[2:5]
	;; [unrolled: 2-line block ×4, first 2 shown]
	s_waitcnt lgkmcnt(0)
	s_barrier
	buffer_gl0_inv
	ds_read_b128 v[2:5], v46
	ds_read_b128 v[22:25], v57 offset:128
	ds_read_b128 v[98:101], v57 offset:384
	;; [unrolled: 1-line block ×7, first 2 shown]
	s_waitcnt lgkmcnt(6)
	;;#ASMSTART
	v_dot2_f32_f16 v93, v2, v22, v93
	;;#ASMEND
	;;#ASMSTART
	v_dot2_f32_f16 v93, v3, v23, v93
	;;#ASMEND
	;;#ASMSTART
	v_dot2_f32_f16 v93, v4, v24, v93
	;;#ASMEND
	;;#ASMSTART
	v_dot2_f32_f16 v93, v5, v25, v93
	;;#ASMEND
	s_waitcnt lgkmcnt(5)
	;;#ASMSTART
	v_dot2_f32_f16 v88, v2, v98, v88
	;;#ASMEND
	;;#ASMSTART
	v_dot2_f32_f16 v88, v3, v99, v88
	;;#ASMEND
	;;#ASMSTART
	v_dot2_f32_f16 v88, v4, v100, v88
	;;#ASMEND
	;;#ASMSTART
	v_dot2_f32_f16 v88, v5, v101, v88
	;;#ASMEND
	;; [unrolled: 13-line block ×5, first 2 shown]
	;;#ASMSTART
	v_dot2_f32_f16 v90, v110, v98, v90
	;;#ASMEND
	;;#ASMSTART
	v_dot2_f32_f16 v90, v111, v99, v90
	;;#ASMEND
	;; [unrolled: 3-line block ×12, first 2 shown]
	s_waitcnt lgkmcnt(1)
	;;#ASMSTART
	v_dot2_f32_f16 v96, v114, v22, v96
	;;#ASMEND
	;;#ASMSTART
	v_dot2_f32_f16 v96, v115, v23, v96
	;;#ASMEND
	;; [unrolled: 3-line block ×16, first 2 shown]
	s_waitcnt lgkmcnt(0)
	;;#ASMSTART
	v_dot2_f32_f16 v97, v118, v22, v97
	;;#ASMEND
	;;#ASMSTART
	v_dot2_f32_f16 v97, v119, v23, v97
	;;#ASMEND
	;; [unrolled: 3-line block ×16, first 2 shown]
	ds_read_b128 v[2:5], v46 offset:16
	ds_read_b128 v[22:25], v57 offset:144
	;; [unrolled: 1-line block ×8, first 2 shown]
	s_waitcnt lgkmcnt(6)
	;;#ASMSTART
	v_dot2_f32_f16 v93, v2, v22, v93
	;;#ASMEND
	;;#ASMSTART
	v_dot2_f32_f16 v93, v3, v23, v93
	;;#ASMEND
	;;#ASMSTART
	v_dot2_f32_f16 v93, v4, v24, v93
	;;#ASMEND
	;;#ASMSTART
	v_dot2_f32_f16 v93, v5, v25, v93
	;;#ASMEND
	s_waitcnt lgkmcnt(5)
	;;#ASMSTART
	v_dot2_f32_f16 v88, v2, v98, v88
	;;#ASMEND
	;;#ASMSTART
	v_dot2_f32_f16 v88, v3, v99, v88
	;;#ASMEND
	;;#ASMSTART
	v_dot2_f32_f16 v88, v4, v100, v88
	;;#ASMEND
	;;#ASMSTART
	v_dot2_f32_f16 v88, v5, v101, v88
	;;#ASMEND
	;; [unrolled: 13-line block ×5, first 2 shown]
	;;#ASMSTART
	v_dot2_f32_f16 v90, v110, v98, v90
	;;#ASMEND
	;;#ASMSTART
	v_dot2_f32_f16 v90, v111, v99, v90
	;;#ASMEND
	;; [unrolled: 3-line block ×12, first 2 shown]
	s_waitcnt lgkmcnt(1)
	;;#ASMSTART
	v_dot2_f32_f16 v96, v114, v22, v96
	;;#ASMEND
	;;#ASMSTART
	v_dot2_f32_f16 v96, v115, v23, v96
	;;#ASMEND
	;;#ASMSTART
	v_dot2_f32_f16 v96, v116, v24, v96
	;;#ASMEND
	;;#ASMSTART
	v_dot2_f32_f16 v96, v117, v25, v96
	;;#ASMEND
	;;#ASMSTART
	v_dot2_f32_f16 v92, v114, v98, v92
	;;#ASMEND
	;;#ASMSTART
	v_dot2_f32_f16 v92, v115, v99, v92
	;;#ASMEND
	;;#ASMSTART
	v_dot2_f32_f16 v92, v116, v100, v92
	;;#ASMEND
	;;#ASMSTART
	v_dot2_f32_f16 v92, v117, v101, v92
	;;#ASMEND
	;;#ASMSTART
	v_dot2_f32_f16 v89, v114, v102, v89
	;;#ASMEND
	;;#ASMSTART
	v_dot2_f32_f16 v89, v115, v103, v89
	;;#ASMEND
	;;#ASMSTART
	v_dot2_f32_f16 v89, v116, v104, v89
	;;#ASMEND
	;;#ASMSTART
	v_dot2_f32_f16 v89, v117, v105, v89
	;;#ASMEND
	;;#ASMSTART
	v_dot2_f32_f16 v85, v114, v106, v85
	;;#ASMEND
	;;#ASMSTART
	v_dot2_f32_f16 v85, v115, v107, v85
	;;#ASMEND
	;;#ASMSTART
	v_dot2_f32_f16 v85, v116, v108, v85
	;;#ASMEND
	;;#ASMSTART
	v_dot2_f32_f16 v85, v117, v109, v85
	;;#ASMEND
	s_waitcnt lgkmcnt(0)
	;;#ASMSTART
	v_dot2_f32_f16 v97, v118, v22, v97
	;;#ASMEND
	;;#ASMSTART
	v_dot2_f32_f16 v97, v119, v23, v97
	;;#ASMEND
	;; [unrolled: 3-line block ×16, first 2 shown]
	ds_read_b128 v[2:5], v46 offset:32
	ds_read_b128 v[22:25], v57 offset:160
	;; [unrolled: 1-line block ×8, first 2 shown]
	s_waitcnt lgkmcnt(6)
	;;#ASMSTART
	v_dot2_f32_f16 v93, v2, v22, v93
	;;#ASMEND
	;;#ASMSTART
	v_dot2_f32_f16 v93, v3, v23, v93
	;;#ASMEND
	;;#ASMSTART
	v_dot2_f32_f16 v93, v4, v24, v93
	;;#ASMEND
	;;#ASMSTART
	v_dot2_f32_f16 v93, v5, v25, v93
	;;#ASMEND
	s_waitcnt lgkmcnt(5)
	;;#ASMSTART
	v_dot2_f32_f16 v88, v2, v98, v88
	;;#ASMEND
	;;#ASMSTART
	v_dot2_f32_f16 v88, v3, v99, v88
	;;#ASMEND
	;;#ASMSTART
	v_dot2_f32_f16 v88, v4, v100, v88
	;;#ASMEND
	;;#ASMSTART
	v_dot2_f32_f16 v88, v5, v101, v88
	;;#ASMEND
	;; [unrolled: 13-line block ×5, first 2 shown]
	;;#ASMSTART
	v_dot2_f32_f16 v90, v110, v98, v90
	;;#ASMEND
	;;#ASMSTART
	v_dot2_f32_f16 v90, v111, v99, v90
	;;#ASMEND
	;; [unrolled: 3-line block ×12, first 2 shown]
	s_waitcnt lgkmcnt(1)
	;;#ASMSTART
	v_dot2_f32_f16 v96, v114, v22, v96
	;;#ASMEND
	;;#ASMSTART
	v_dot2_f32_f16 v96, v115, v23, v96
	;;#ASMEND
	;; [unrolled: 3-line block ×16, first 2 shown]
	s_waitcnt lgkmcnt(0)
	;;#ASMSTART
	v_dot2_f32_f16 v97, v118, v22, v97
	;;#ASMEND
	;;#ASMSTART
	v_dot2_f32_f16 v97, v119, v23, v97
	;;#ASMEND
	;; [unrolled: 3-line block ×16, first 2 shown]
	ds_read_b128 v[2:5], v46 offset:48
	ds_read_b128 v[22:25], v57 offset:176
	;; [unrolled: 1-line block ×8, first 2 shown]
	s_waitcnt lgkmcnt(6)
	;;#ASMSTART
	v_dot2_f32_f16 v93, v2, v22, v93
	;;#ASMEND
	;;#ASMSTART
	v_dot2_f32_f16 v93, v3, v23, v93
	;;#ASMEND
	;;#ASMSTART
	v_dot2_f32_f16 v93, v4, v24, v93
	;;#ASMEND
	;;#ASMSTART
	v_dot2_f32_f16 v93, v5, v25, v93
	;;#ASMEND
	s_waitcnt lgkmcnt(5)
	;;#ASMSTART
	v_dot2_f32_f16 v88, v2, v98, v88
	;;#ASMEND
	;;#ASMSTART
	v_dot2_f32_f16 v88, v3, v99, v88
	;;#ASMEND
	;;#ASMSTART
	v_dot2_f32_f16 v88, v4, v100, v88
	;;#ASMEND
	;;#ASMSTART
	v_dot2_f32_f16 v88, v5, v101, v88
	;;#ASMEND
	;; [unrolled: 13-line block ×5, first 2 shown]
	;;#ASMSTART
	v_dot2_f32_f16 v90, v110, v98, v90
	;;#ASMEND
	;;#ASMSTART
	v_dot2_f32_f16 v90, v111, v99, v90
	;;#ASMEND
	;; [unrolled: 3-line block ×12, first 2 shown]
	s_waitcnt lgkmcnt(1)
	;;#ASMSTART
	v_dot2_f32_f16 v96, v114, v22, v96
	;;#ASMEND
	;;#ASMSTART
	v_dot2_f32_f16 v96, v115, v23, v96
	;;#ASMEND
	;; [unrolled: 3-line block ×16, first 2 shown]
	s_waitcnt lgkmcnt(0)
	;;#ASMSTART
	v_dot2_f32_f16 v97, v118, v22, v97
	;;#ASMEND
	;;#ASMSTART
	v_dot2_f32_f16 v97, v119, v23, v97
	;;#ASMEND
	;; [unrolled: 3-line block ×16, first 2 shown]
	ds_read_b128 v[2:5], v46 offset:64
	ds_read_b128 v[22:25], v57 offset:192
	ds_read_b128 v[98:101], v57 offset:448
	ds_read_b128 v[102:105], v57 offset:704
	ds_read_b128 v[106:109], v57 offset:960
	ds_read_b128 v[110:113], v46 offset:4672
	ds_read_b128 v[114:117], v46 offset:9280
	ds_read_b128 v[118:121], v46 offset:13888
	s_waitcnt lgkmcnt(6)
	;;#ASMSTART
	v_dot2_f32_f16 v93, v2, v22, v93
	;;#ASMEND
	;;#ASMSTART
	v_dot2_f32_f16 v93, v3, v23, v93
	;;#ASMEND
	;;#ASMSTART
	v_dot2_f32_f16 v93, v4, v24, v93
	;;#ASMEND
	;;#ASMSTART
	v_dot2_f32_f16 v93, v5, v25, v93
	;;#ASMEND
	s_waitcnt lgkmcnt(5)
	;;#ASMSTART
	v_dot2_f32_f16 v88, v2, v98, v88
	;;#ASMEND
	;;#ASMSTART
	v_dot2_f32_f16 v88, v3, v99, v88
	;;#ASMEND
	;;#ASMSTART
	v_dot2_f32_f16 v88, v4, v100, v88
	;;#ASMEND
	;;#ASMSTART
	v_dot2_f32_f16 v88, v5, v101, v88
	;;#ASMEND
	;; [unrolled: 13-line block ×5, first 2 shown]
	;;#ASMSTART
	v_dot2_f32_f16 v90, v110, v98, v90
	;;#ASMEND
	;;#ASMSTART
	v_dot2_f32_f16 v90, v111, v99, v90
	;;#ASMEND
	;; [unrolled: 3-line block ×12, first 2 shown]
	s_waitcnt lgkmcnt(1)
	;;#ASMSTART
	v_dot2_f32_f16 v96, v114, v22, v96
	;;#ASMEND
	;;#ASMSTART
	v_dot2_f32_f16 v96, v115, v23, v96
	;;#ASMEND
	;; [unrolled: 3-line block ×16, first 2 shown]
	s_waitcnt lgkmcnt(0)
	;;#ASMSTART
	v_dot2_f32_f16 v97, v118, v22, v97
	;;#ASMEND
	;;#ASMSTART
	v_dot2_f32_f16 v97, v119, v23, v97
	;;#ASMEND
	;; [unrolled: 3-line block ×16, first 2 shown]
	ds_read_b128 v[2:5], v46 offset:80
	ds_read_b128 v[22:25], v57 offset:208
	;; [unrolled: 1-line block ×8, first 2 shown]
	s_waitcnt lgkmcnt(6)
	;;#ASMSTART
	v_dot2_f32_f16 v93, v2, v22, v93
	;;#ASMEND
	;;#ASMSTART
	v_dot2_f32_f16 v93, v3, v23, v93
	;;#ASMEND
	;;#ASMSTART
	v_dot2_f32_f16 v93, v4, v24, v93
	;;#ASMEND
	;;#ASMSTART
	v_dot2_f32_f16 v93, v5, v25, v93
	;;#ASMEND
	s_waitcnt lgkmcnt(5)
	;;#ASMSTART
	v_dot2_f32_f16 v88, v2, v98, v88
	;;#ASMEND
	;;#ASMSTART
	v_dot2_f32_f16 v88, v3, v99, v88
	;;#ASMEND
	;;#ASMSTART
	v_dot2_f32_f16 v88, v4, v100, v88
	;;#ASMEND
	;;#ASMSTART
	v_dot2_f32_f16 v88, v5, v101, v88
	;;#ASMEND
	;; [unrolled: 13-line block ×5, first 2 shown]
	;;#ASMSTART
	v_dot2_f32_f16 v90, v110, v98, v90
	;;#ASMEND
	;;#ASMSTART
	v_dot2_f32_f16 v90, v111, v99, v90
	;;#ASMEND
	;; [unrolled: 3-line block ×12, first 2 shown]
	s_waitcnt lgkmcnt(1)
	;;#ASMSTART
	v_dot2_f32_f16 v96, v114, v22, v96
	;;#ASMEND
	;;#ASMSTART
	v_dot2_f32_f16 v96, v115, v23, v96
	;;#ASMEND
	;; [unrolled: 3-line block ×16, first 2 shown]
	s_waitcnt lgkmcnt(0)
	;;#ASMSTART
	v_dot2_f32_f16 v97, v118, v22, v97
	;;#ASMEND
	;;#ASMSTART
	v_dot2_f32_f16 v97, v119, v23, v97
	;;#ASMEND
	;; [unrolled: 3-line block ×16, first 2 shown]
	ds_read_b128 v[2:5], v46 offset:96
	ds_read_b128 v[22:25], v57 offset:224
	;; [unrolled: 1-line block ×8, first 2 shown]
	s_waitcnt lgkmcnt(6)
	;;#ASMSTART
	v_dot2_f32_f16 v93, v2, v22, v93
	;;#ASMEND
	;;#ASMSTART
	v_dot2_f32_f16 v93, v3, v23, v93
	;;#ASMEND
	;;#ASMSTART
	v_dot2_f32_f16 v93, v4, v24, v93
	;;#ASMEND
	;;#ASMSTART
	v_dot2_f32_f16 v93, v5, v25, v93
	;;#ASMEND
	s_waitcnt lgkmcnt(5)
	;;#ASMSTART
	v_dot2_f32_f16 v88, v2, v98, v88
	;;#ASMEND
	;;#ASMSTART
	v_dot2_f32_f16 v88, v3, v99, v88
	;;#ASMEND
	;;#ASMSTART
	v_dot2_f32_f16 v88, v4, v100, v88
	;;#ASMEND
	;;#ASMSTART
	v_dot2_f32_f16 v88, v5, v101, v88
	;;#ASMEND
	;; [unrolled: 13-line block ×5, first 2 shown]
	;;#ASMSTART
	v_dot2_f32_f16 v90, v110, v98, v90
	;;#ASMEND
	;;#ASMSTART
	v_dot2_f32_f16 v90, v111, v99, v90
	;;#ASMEND
	;; [unrolled: 3-line block ×12, first 2 shown]
	s_waitcnt lgkmcnt(1)
	;;#ASMSTART
	v_dot2_f32_f16 v96, v114, v22, v96
	;;#ASMEND
	;;#ASMSTART
	v_dot2_f32_f16 v96, v115, v23, v96
	;;#ASMEND
	;; [unrolled: 3-line block ×16, first 2 shown]
	s_waitcnt lgkmcnt(0)
	;;#ASMSTART
	v_dot2_f32_f16 v97, v118, v22, v97
	;;#ASMEND
	;;#ASMSTART
	v_dot2_f32_f16 v97, v119, v23, v97
	;;#ASMEND
	;; [unrolled: 3-line block ×16, first 2 shown]
	ds_read_b128 v[22:25], v46 offset:112
	ds_read_b128 v[98:101], v57 offset:240
	;; [unrolled: 1-line block ×8, first 2 shown]
	s_waitcnt lgkmcnt(6)
	;;#ASMSTART
	v_dot2_f32_f16 v93, v22, v98, v93
	;;#ASMEND
	;;#ASMSTART
	v_dot2_f32_f16 v93, v23, v99, v93
	;;#ASMEND
	;;#ASMSTART
	v_dot2_f32_f16 v93, v24, v100, v93
	;;#ASMEND
	;;#ASMSTART
	v_dot2_f32_f16 v93, v25, v101, v93
	;;#ASMEND
	s_waitcnt lgkmcnt(5)
	;;#ASMSTART
	v_dot2_f32_f16 v88, v22, v102, v88
	;;#ASMEND
	;;#ASMSTART
	v_dot2_f32_f16 v88, v23, v103, v88
	;;#ASMEND
	;;#ASMSTART
	v_dot2_f32_f16 v88, v24, v104, v88
	;;#ASMEND
	;;#ASMSTART
	v_dot2_f32_f16 v88, v25, v105, v88
	;;#ASMEND
	;; [unrolled: 13-line block ×4, first 2 shown]
	;;#ASMSTART
	v_dot2_f32_f16 v95, v114, v98, v95
	;;#ASMEND
	;;#ASMSTART
	v_dot2_f32_f16 v95, v115, v99, v95
	;;#ASMEND
	;; [unrolled: 3-line block ×16, first 2 shown]
	s_waitcnt lgkmcnt(1)
	;;#ASMSTART
	v_dot2_f32_f16 v96, v118, v98, v96
	;;#ASMEND
	;;#ASMSTART
	v_dot2_f32_f16 v96, v119, v99, v96
	;;#ASMEND
	;;#ASMSTART
	v_dot2_f32_f16 v96, v120, v100, v96
	;;#ASMEND
	;;#ASMSTART
	v_dot2_f32_f16 v96, v121, v101, v96
	;;#ASMEND
	;;#ASMSTART
	v_dot2_f32_f16 v92, v118, v102, v92
	;;#ASMEND
	;;#ASMSTART
	v_dot2_f32_f16 v92, v119, v103, v92
	;;#ASMEND
	;;#ASMSTART
	v_dot2_f32_f16 v92, v120, v104, v92
	;;#ASMEND
	;;#ASMSTART
	v_dot2_f32_f16 v92, v121, v105, v92
	;;#ASMEND
	;;#ASMSTART
	v_dot2_f32_f16 v89, v118, v106, v89
	;;#ASMEND
	;;#ASMSTART
	v_dot2_f32_f16 v89, v119, v107, v89
	;;#ASMEND
	;;#ASMSTART
	v_dot2_f32_f16 v89, v120, v108, v89
	;;#ASMEND
	v_add_nc_u32_e32 v4, s10, v0
	;;#ASMSTART
	v_dot2_f32_f16 v89, v121, v109, v89
	;;#ASMEND
	;;#ASMSTART
	v_dot2_f32_f16 v85, v118, v110, v85
	;;#ASMEND
	;; [unrolled: 3-line block ×5, first 2 shown]
	s_waitcnt lgkmcnt(0)
	;;#ASMSTART
	v_dot2_f32_f16 v97, v122, v98, v97
	;;#ASMEND
	;;#ASMSTART
	v_dot2_f32_f16 v97, v123, v99, v97
	;;#ASMEND
	v_add_nc_u32_e32 v2, v4, v62
	;;#ASMSTART
	v_dot2_f32_f16 v97, v124, v100, v97
	;;#ASMEND
	;;#ASMSTART
	v_dot2_f32_f16 v97, v125, v101, v97
	;;#ASMEND
	;; [unrolled: 3-line block ×7, first 2 shown]
	v_mov_b32_e32 v5, 0
	v_ashrrev_i32_e32 v3, 31, v2
	;;#ASMSTART
	v_dot2_f32_f16 v91, v123, v107, v91
	;;#ASMEND
	;;#ASMSTART
	v_dot2_f32_f16 v91, v124, v108, v91
	;;#ASMEND
	;;#ASMSTART
	v_dot2_f32_f16 v91, v125, v109, v91
	;;#ASMEND
	;;#ASMSTART
	v_dot2_f32_f16 v86, v122, v110, v86
	;;#ASMEND
	;;#ASMSTART
	v_dot2_f32_f16 v86, v123, v111, v86
	;;#ASMEND
	;;#ASMSTART
	v_dot2_f32_f16 v86, v124, v112, v86
	;;#ASMEND
	;;#ASMSTART
	v_dot2_f32_f16 v86, v125, v113, v86
	;;#ASMEND
	s_cbranch_vccnz .LBB56_10
; %bb.9:                                ;   in Loop: Header=BB56_8 Depth=1
	v_lshlrev_b64 v[22:23], 1, v[2:3]
	v_add_co_u32 v22, vcc_lo, s46, v22
	v_add_co_ci_u32_e64 v23, null, s47, v23, vcc_lo
	global_load_ushort v5, v[22:23], off
	s_waitcnt vmcnt(0)
	v_cvt_f32_f16_e32 v5, v5
	v_mul_f32_e32 v5, v40, v5
.LBB56_10:                              ;   in Loop: Header=BB56_8 Depth=1
	v_mov_b32_e32 v22, 0
	v_mov_b32_e32 v23, 0
	s_andn2_b32 vcc_lo, exec_lo, s13
	s_cbranch_vccnz .LBB56_12
; %bb.11:                               ;   in Loop: Header=BB56_8 Depth=1
	v_lshlrev_b64 v[23:24], 1, v[2:3]
	v_add_co_u32 v23, vcc_lo, s46, v23
	v_add_co_ci_u32_e64 v24, null, s47, v24, vcc_lo
	global_load_ushort v23, v[23:24], off offset:64
	s_waitcnt vmcnt(0)
	v_cvt_f32_f16_e32 v23, v23
	v_mul_f32_e32 v23, v40, v23
.LBB56_12:                              ;   in Loop: Header=BB56_8 Depth=1
	s_andn2_b32 vcc_lo, exec_lo, s13
	s_cbranch_vccnz .LBB56_14
; %bb.13:                               ;   in Loop: Header=BB56_8 Depth=1
	v_lshlrev_b64 v[24:25], 1, v[2:3]
	v_add_co_u32 v24, vcc_lo, s46, v24
	v_add_co_ci_u32_e64 v25, null, s47, v25, vcc_lo
	global_load_ushort v22, v[24:25], off offset:128
	s_waitcnt vmcnt(0)
	v_cvt_f32_f16_e32 v22, v22
	v_mul_f32_e32 v22, v40, v22
.LBB56_14:                              ;   in Loop: Header=BB56_8 Depth=1
	v_mov_b32_e32 v102, 0
	v_mov_b32_e32 v98, 0
	s_andn2_b32 vcc_lo, exec_lo, s13
	s_cbranch_vccnz .LBB56_16
; %bb.15:                               ;   in Loop: Header=BB56_8 Depth=1
	v_lshlrev_b64 v[2:3], 1, v[2:3]
	v_add_co_u32 v2, vcc_lo, s46, v2
	v_add_co_ci_u32_e64 v3, null, s47, v3, vcc_lo
	global_load_ushort v2, v[2:3], off offset:192
	s_waitcnt vmcnt(0)
	v_cvt_f32_f16_e32 v2, v2
	v_mul_f32_e32 v98, v40, v2
.LBB56_16:                              ;   in Loop: Header=BB56_8 Depth=1
	v_add_f32_e32 v25, v93, v5
	v_add_f32_e32 v24, v95, v23
	v_xor_b32_e32 v2, 16, v72
	v_add_f32_e32 v22, v96, v22
	v_add_f32_e32 v23, v97, v98
	;; [unrolled: 1-line block ×4, first 2 shown]
	v_cmp_gt_i32_e32 vcc_lo, 32, v2
	v_add_f32_e32 v93, 0x40051340, v22
	v_add_f32_e32 v95, 0x40051340, v23
	v_max3_f32 v3, v81, v3, v5
	v_cndmask_b32_e32 v2, v72, v2, vcc_lo
	v_lshlrev_b32_e32 v5, 2, v2
	v_max3_f32 v2, v3, v93, v95
	v_xor_b32_e32 v93, 8, v72
	ds_bpermute_b32 v3, v5, v2
	v_cmp_gt_i32_e32 vcc_lo, 32, v93
	v_cndmask_b32_e32 v93, v72, v93, vcc_lo
	v_lshlrev_b32_e32 v96, 2, v93
	v_xor_b32_e32 v93, 4, v72
	v_cmp_gt_i32_e32 vcc_lo, 32, v93
	s_waitcnt lgkmcnt(0)
	v_max_f32_e32 v3, v3, v3
	v_cndmask_b32_e32 v93, v72, v93, vcc_lo
	v_max_f32_e32 v2, v2, v3
	v_lshlrev_b32_e32 v97, 2, v93
	v_xor_b32_e32 v93, 2, v72
	ds_bpermute_b32 v3, v96, v2
	v_cmp_gt_i32_e32 vcc_lo, 32, v93
	v_cndmask_b32_e32 v93, v72, v93, vcc_lo
	v_lshlrev_b32_e32 v98, 2, v93
	v_xor_b32_e32 v93, 1, v72
	v_cmp_gt_i32_e32 vcc_lo, 32, v93
	s_waitcnt lgkmcnt(0)
	v_max_f32_e32 v3, v3, v3
	v_cndmask_b32_e32 v93, v72, v93, vcc_lo
	v_max_f32_e32 v2, v2, v3
	s_andn2_b32 vcc_lo, exec_lo, s13
	v_lshlrev_b32_e32 v99, 2, v93
	ds_bpermute_b32 v3, v97, v2
	s_waitcnt lgkmcnt(0)
	v_max_f32_e32 v3, v3, v3
	v_max_f32_e32 v2, v2, v3
	ds_bpermute_b32 v3, v98, v2
	s_waitcnt lgkmcnt(0)
	v_max_f32_e32 v3, v3, v3
	v_max_f32_e32 v100, v2, v3
	v_add_nc_u32_e32 v2, v4, v63
	ds_bpermute_b32 v101, v99, v100
	v_ashrrev_i32_e32 v3, 31, v2
	s_cbranch_vccnz .LBB56_18
; %bb.17:                               ;   in Loop: Header=BB56_8 Depth=1
	v_lshlrev_b64 v[102:103], 1, v[2:3]
	v_add_co_u32 v102, vcc_lo, s46, v102
	v_add_co_ci_u32_e64 v103, null, s47, v103, vcc_lo
	global_load_ushort v93, v[102:103], off
	s_waitcnt vmcnt(0)
	v_cvt_f32_f16_e32 v93, v93
	v_mul_f32_e32 v102, v40, v93
.LBB56_18:                              ;   in Loop: Header=BB56_8 Depth=1
	v_mov_b32_e32 v103, 0
	v_mov_b32_e32 v93, 0
	s_andn2_b32 vcc_lo, exec_lo, s13
	s_cbranch_vccnz .LBB56_20
; %bb.19:                               ;   in Loop: Header=BB56_8 Depth=1
	v_lshlrev_b64 v[104:105], 1, v[2:3]
	v_add_co_u32 v104, vcc_lo, s46, v104
	v_add_co_ci_u32_e64 v105, null, s47, v105, vcc_lo
	global_load_ushort v93, v[104:105], off offset:64
	s_waitcnt vmcnt(0)
	v_cvt_f32_f16_e32 v93, v93
	v_mul_f32_e32 v93, v40, v93
.LBB56_20:                              ;   in Loop: Header=BB56_8 Depth=1
	s_andn2_b32 vcc_lo, exec_lo, s13
	s_cbranch_vccnz .LBB56_22
; %bb.21:                               ;   in Loop: Header=BB56_8 Depth=1
	v_lshlrev_b64 v[103:104], 1, v[2:3]
	v_add_co_u32 v103, vcc_lo, s46, v103
	v_add_co_ci_u32_e64 v104, null, s47, v104, vcc_lo
	global_load_ushort v95, v[103:104], off offset:128
	s_waitcnt vmcnt(0)
	v_cvt_f32_f16_e32 v95, v95
	v_mul_f32_e32 v103, v40, v95
.LBB56_22:                              ;   in Loop: Header=BB56_8 Depth=1
	v_mov_b32_e32 v104, 0
	v_mov_b32_e32 v105, 0
	s_andn2_b32 vcc_lo, exec_lo, s13
	s_cbranch_vccnz .LBB56_24
; %bb.23:                               ;   in Loop: Header=BB56_8 Depth=1
	v_lshlrev_b64 v[2:3], 1, v[2:3]
	v_add_co_u32 v2, vcc_lo, s46, v2
	v_add_co_ci_u32_e64 v3, null, s47, v3, vcc_lo
	global_load_ushort v2, v[2:3], off offset:192
	s_waitcnt vmcnt(0)
	v_cvt_f32_f16_e32 v2, v2
	v_mul_f32_e32 v105, v40, v2
.LBB56_24:                              ;   in Loop: Header=BB56_8 Depth=1
	v_add_f32_e32 v95, v88, v102
	v_add_f32_e32 v93, v90, v93
	v_add_f32_e32 v90, v92, v103
	v_add_f32_e32 v88, v94, v105
	s_andn2_b32 vcc_lo, exec_lo, s13
	v_add_f32_e32 v2, 0x40051340, v95
	v_add_f32_e32 v3, 0x40051340, v93
	;; [unrolled: 1-line block ×3, first 2 shown]
	v_max3_f32 v2, v79, v2, v3
	v_add_f32_e32 v3, 0x40051340, v88
	v_max3_f32 v2, v2, v92, v3
	ds_bpermute_b32 v3, v5, v2
	s_waitcnt lgkmcnt(0)
	v_max_f32_e32 v3, v3, v3
	v_max_f32_e32 v2, v2, v3
	ds_bpermute_b32 v3, v96, v2
	s_waitcnt lgkmcnt(0)
	v_max_f32_e32 v3, v3, v3
	v_max_f32_e32 v2, v2, v3
	;; [unrolled: 4-line block ×4, first 2 shown]
	v_add_nc_u32_e32 v2, v4, v65
	ds_bpermute_b32 v103, v99, v102
	v_ashrrev_i32_e32 v3, 31, v2
	s_cbranch_vccnz .LBB56_26
; %bb.25:                               ;   in Loop: Header=BB56_8 Depth=1
	v_lshlrev_b64 v[104:105], 1, v[2:3]
	v_add_co_u32 v104, vcc_lo, s46, v104
	v_add_co_ci_u32_e64 v105, null, s47, v105, vcc_lo
	global_load_ushort v92, v[104:105], off
	s_waitcnt vmcnt(0)
	v_cvt_f32_f16_e32 v92, v92
	v_mul_f32_e32 v104, v40, v92
.LBB56_26:                              ;   in Loop: Header=BB56_8 Depth=1
	v_mov_b32_e32 v106, 0
	v_mov_b32_e32 v92, 0
	s_andn2_b32 vcc_lo, exec_lo, s13
	s_cbranch_vccnz .LBB56_28
; %bb.27:                               ;   in Loop: Header=BB56_8 Depth=1
	v_lshlrev_b64 v[107:108], 1, v[2:3]
	v_add_co_u32 v107, vcc_lo, s46, v107
	v_add_co_ci_u32_e64 v108, null, s47, v108, vcc_lo
	global_load_ushort v92, v[107:108], off offset:64
	s_waitcnt vmcnt(0)
	v_cvt_f32_f16_e32 v92, v92
	v_mul_f32_e32 v92, v40, v92
.LBB56_28:                              ;   in Loop: Header=BB56_8 Depth=1
	s_andn2_b32 vcc_lo, exec_lo, s13
	s_cbranch_vccnz .LBB56_30
; %bb.29:                               ;   in Loop: Header=BB56_8 Depth=1
	v_lshlrev_b64 v[105:106], 1, v[2:3]
	v_add_co_u32 v105, vcc_lo, s46, v105
	v_add_co_ci_u32_e64 v106, null, s47, v106, vcc_lo
	global_load_ushort v94, v[105:106], off offset:128
	s_waitcnt vmcnt(0)
	v_cvt_f32_f16_e32 v94, v94
	v_mul_f32_e32 v106, v40, v94
.LBB56_30:                              ;   in Loop: Header=BB56_8 Depth=1
	v_mov_b32_e32 v105, 0
	v_mov_b32_e32 v107, 0
	s_andn2_b32 vcc_lo, exec_lo, s13
	s_cbranch_vccnz .LBB56_32
; %bb.31:                               ;   in Loop: Header=BB56_8 Depth=1
	v_lshlrev_b64 v[2:3], 1, v[2:3]
	v_add_co_u32 v2, vcc_lo, s46, v2
	v_add_co_ci_u32_e64 v3, null, s47, v3, vcc_lo
	global_load_ushort v2, v[2:3], off offset:192
	s_waitcnt vmcnt(0)
	v_cvt_f32_f16_e32 v2, v2
	v_mul_f32_e32 v107, v40, v2
.LBB56_32:                              ;   in Loop: Header=BB56_8 Depth=1
	v_add_f32_e32 v94, v84, v104
	v_add_f32_e32 v92, v87, v92
	;; [unrolled: 1-line block ×4, first 2 shown]
	s_andn2_b32 vcc_lo, exec_lo, s13
	v_add_f32_e32 v2, 0x40051340, v94
	v_add_f32_e32 v3, 0x40051340, v92
	;; [unrolled: 1-line block ×3, first 2 shown]
	v_max3_f32 v2, v77, v2, v3
	v_add_f32_e32 v3, 0x40051340, v84
	v_max3_f32 v2, v2, v89, v3
	ds_bpermute_b32 v3, v5, v2
	s_waitcnt lgkmcnt(0)
	v_max_f32_e32 v3, v3, v3
	v_max_f32_e32 v2, v2, v3
	ds_bpermute_b32 v3, v96, v2
	s_waitcnt lgkmcnt(0)
	v_max_f32_e32 v3, v3, v3
	v_max_f32_e32 v2, v2, v3
	;; [unrolled: 4-line block ×4, first 2 shown]
	v_add_nc_u32_e32 v2, v4, v66
	ds_bpermute_b32 v91, v99, v89
	v_ashrrev_i32_e32 v3, 31, v2
	s_cbranch_vccnz .LBB56_34
; %bb.33:                               ;   in Loop: Header=BB56_8 Depth=1
	v_lshlrev_b64 v[104:105], 1, v[2:3]
	v_add_co_u32 v104, vcc_lo, s46, v104
	v_add_co_ci_u32_e64 v105, null, s47, v105, vcc_lo
	global_load_ushort v4, v[104:105], off
	s_waitcnt vmcnt(0)
	v_cvt_f32_f16_e32 v4, v4
	v_mul_f32_e32 v105, v40, v4
.LBB56_34:                              ;   in Loop: Header=BB56_8 Depth=1
	v_mov_b32_e32 v4, 0
	v_mov_b32_e32 v104, 0
	s_andn2_b32 vcc_lo, exec_lo, s13
	s_cbranch_vccnz .LBB56_36
; %bb.35:                               ;   in Loop: Header=BB56_8 Depth=1
	v_lshlrev_b64 v[106:107], 1, v[2:3]
	v_add_co_u32 v106, vcc_lo, s46, v106
	v_add_co_ci_u32_e64 v107, null, s47, v107, vcc_lo
	global_load_ushort v104, v[106:107], off offset:64
	s_waitcnt vmcnt(0)
	v_cvt_f32_f16_e32 v104, v104
	v_mul_f32_e32 v104, v40, v104
.LBB56_36:                              ;   in Loop: Header=BB56_8 Depth=1
	s_andn2_b32 vcc_lo, exec_lo, s13
	s_cbranch_vccnz .LBB56_38
; %bb.37:                               ;   in Loop: Header=BB56_8 Depth=1
	v_lshlrev_b64 v[106:107], 1, v[2:3]
	v_add_co_u32 v106, vcc_lo, s46, v106
	v_add_co_ci_u32_e64 v107, null, s47, v107, vcc_lo
	global_load_ushort v4, v[106:107], off offset:128
	s_waitcnt vmcnt(0)
	v_cvt_f32_f16_e32 v4, v4
	v_mul_f32_e32 v4, v40, v4
.LBB56_38:                              ;   in Loop: Header=BB56_8 Depth=1
	s_andn2_b32 vcc_lo, exec_lo, s13
	s_cbranch_vccnz .LBB56_40
; %bb.39:                               ;   in Loop: Header=BB56_8 Depth=1
	v_lshlrev_b64 v[2:3], 1, v[2:3]
	v_add_co_u32 v2, vcc_lo, s46, v2
	v_add_co_ci_u32_e64 v3, null, s47, v3, vcc_lo
	global_load_ushort v2, v[2:3], off offset:192
	s_waitcnt vmcnt(0)
	v_cvt_f32_f16_e32 v2, v2
	v_mul_f32_e32 v106, v40, v2
	s_branch .LBB56_41
.LBB56_40:                              ;   in Loop: Header=BB56_8 Depth=1
	v_mov_b32_e32 v106, 0
.LBB56_41:                              ;   in Loop: Header=BB56_8 Depth=1
	v_add_f32_e32 v82, v82, v105
	v_add_f32_e32 v83, v83, v104
	;; [unrolled: 1-line block ×4, first 2 shown]
	s_mul_hi_i32 s17, s10, s19
	v_add_f32_e32 v2, 0x40051340, v82
	v_add_f32_e32 v3, 0x40051340, v83
	;; [unrolled: 1-line block ×3, first 2 shown]
	s_mul_i32 s16, s10, s19
	s_waitcnt lgkmcnt(0)
	s_barrier
	v_max3_f32 v104, v75, v2, v3
	v_max_f32_e32 v2, v91, v91
	v_max_f32_e32 v3, v89, v89
	;; [unrolled: 1-line block ×3, first 2 shown]
	buffer_gl0_inv
	s_lshl_b64 s[16:17], s[16:17], 2
	v_max_f32_e32 v4, v3, v2
	v_max_f32_e32 v2, v103, v103
	;; [unrolled: 1-line block ×3, first 2 shown]
	s_add_u32 s15, s11, s16
	s_addc_u32 s16, s14, s17
	v_sub_f32_e32 v92, v92, v4
	v_sub_f32_e32 v87, v87, v4
	v_max_f32_e32 v3, v3, v2
	v_max_f32_e32 v2, v101, v101
	v_sub_f32_e32 v84, v84, v4
	v_max_f32_e32 v2, v89, v2
	v_add_f32_e32 v89, 0x40051340, v86
	v_sub_f32_e32 v25, v25, v2
	v_max3_f32 v89, v104, v105, v89
	v_sub_f32_e32 v24, v24, v2
	v_sub_f32_e32 v22, v22, v2
	;; [unrolled: 1-line block ×3, first 2 shown]
	v_cmp_ngt_f32_e32 vcc_lo, 0xc2ce8ed0, v25
	ds_bpermute_b32 v5, v5, v89
	s_waitcnt lgkmcnt(0)
	v_max_f32_e32 v5, v5, v5
	v_max_f32_e32 v5, v89, v5
	ds_bpermute_b32 v89, v96, v5
	s_waitcnt lgkmcnt(0)
	v_max_f32_e32 v89, v89, v89
	v_max_f32_e32 v5, v5, v89
	;; [unrolled: 4-line block ×5, first 2 shown]
	v_mul_f32_e32 v89, 0x3fb8aa3b, v25
	v_sub_f32_e32 v83, v83, v5
	v_fma_f32 v91, 0x3fb8aa3b, v25, -v89
	v_rndne_f32_e32 v96, v89
	v_sub_f32_e32 v85, v85, v5
	v_sub_f32_e32 v86, v86, v5
	;; [unrolled: 1-line block ×3, first 2 shown]
	v_fmac_f32_e32 v91, 0x32a5705f, v25
	v_sub_f32_e32 v89, v89, v96
	v_add_f32_e32 v89, v89, v91
	v_cvt_i32_f32_e32 v91, v96
	v_exp_f32_e32 v89, v89
	v_ldexp_f32 v89, v89, v91
	v_mul_f32_e32 v91, 0x3fb8aa3b, v24
	v_cndmask_b32_e32 v89, 0, v89, vcc_lo
	v_fma_f32 v96, 0x3fb8aa3b, v24, -v91
	v_rndne_f32_e32 v97, v91
	v_cmp_nlt_f32_e32 vcc_lo, 0x42b17218, v25
	v_fmac_f32_e32 v96, 0x32a5705f, v24
	v_sub_f32_e32 v91, v91, v97
	v_cndmask_b32_e32 v25, 0x7f800000, v89, vcc_lo
	v_cmp_ngt_f32_e32 vcc_lo, 0xc2ce8ed0, v24
	v_add_f32_e32 v91, v91, v96
	v_cvt_i32_f32_e32 v96, v97
	v_cvt_f16_f32_e32 v89, v25
	v_exp_f32_e32 v91, v91
	v_ldexp_f32 v91, v91, v96
	v_cndmask_b32_e32 v91, 0, v91, vcc_lo
	v_cmp_nlt_f32_e32 vcc_lo, 0x42b17218, v24
	v_cndmask_b32_e32 v24, 0x7f800000, v91, vcc_lo
	v_cmp_ngt_f32_e32 vcc_lo, 0xc2ce8ed0, v22
	v_add_f32_e32 v25, v25, v24
	v_cvt_f16_f32_e32 v91, v24
	v_mul_f32_e32 v24, 0x3fb8aa3b, v22
	v_fma_f32 v96, 0x3fb8aa3b, v22, -v24
	v_rndne_f32_e32 v97, v24
	v_fmac_f32_e32 v96, 0x32a5705f, v22
	v_sub_f32_e32 v24, v24, v97
	v_add_f32_e32 v24, v24, v96
	v_cvt_i32_f32_e32 v96, v97
	v_exp_f32_e32 v24, v24
	v_ldexp_f32 v24, v24, v96
	v_cndmask_b32_e32 v24, 0, v24, vcc_lo
	v_cmp_nlt_f32_e32 vcc_lo, 0x42b17218, v22
	v_cndmask_b32_e32 v22, 0x7f800000, v24, vcc_lo
	v_add_f32_e32 v24, v22, v25
	v_cvt_f16_f32_e32 v96, v22
	v_sub_f32_e32 v22, v23, v2
	v_mul_f32_e32 v23, 0x3fb8aa3b, v22
	v_cmp_ngt_f32_e32 vcc_lo, 0xc2ce8ed0, v22
	v_fma_f32 v25, 0x3fb8aa3b, v22, -v23
	v_rndne_f32_e32 v97, v23
	v_fmac_f32_e32 v25, 0x32a5705f, v22
	v_sub_f32_e32 v23, v23, v97
	v_add_f32_e32 v23, v23, v25
	v_cvt_i32_f32_e32 v25, v97
	v_exp_f32_e32 v23, v23
	v_ldexp_f32 v23, v23, v25
	v_cndmask_b32_e32 v23, 0, v23, vcc_lo
	v_cmp_nlt_f32_e32 vcc_lo, 0x42b17218, v22
	v_cndmask_b32_e32 v22, 0x7f800000, v23, vcc_lo
	v_cmp_ngt_f32_e32 vcc_lo, 0xc2ce8ed0, v81
	v_add_f32_e32 v25, v22, v24
	v_cvt_f16_f32_e32 v97, v22
	v_mul_f32_e32 v22, 0x3fb8aa3b, v81
	v_fma_f32 v23, 0x3fb8aa3b, v81, -v22
	v_rndne_f32_e32 v24, v22
	v_fmac_f32_e32 v23, 0x32a5705f, v81
	v_sub_f32_e32 v22, v22, v24
	v_add_f32_e32 v22, v22, v23
	v_cvt_i32_f32_e32 v23, v24
	v_exp_f32_e32 v22, v22
	v_ldexp_f32 v22, v22, v23
	v_sub_f32_e32 v23, v95, v3
	v_cndmask_b32_e32 v22, 0, v22, vcc_lo
	v_cmp_nlt_f32_e32 vcc_lo, 0x42b17218, v81
	v_mul_f32_e32 v24, 0x3fb8aa3b, v23
	v_cndmask_b32_e32 v22, 0x7f800000, v22, vcc_lo
	v_rndne_f32_e32 v81, v24
	v_cmp_ngt_f32_e32 vcc_lo, 0xc2ce8ed0, v23
	v_fmac_f32_e32 v25, v80, v22
	v_cvt_f16_f32_e32 v22, v22
	v_mul_u32_u24_sdwa v80, v22, v73 dst_sel:DWORD dst_unused:UNUSED_PAD src0_sel:WORD_0 src1_sel:DWORD
	v_sub_f32_e32 v22, v79, v3
	v_fma_f32 v79, 0x3fb8aa3b, v23, -v24
	v_sub_f32_e32 v24, v24, v81
	v_pk_mul_f16 v54, v54, v80
	v_fmac_f32_e32 v79, 0x32a5705f, v23
	v_add_f32_e32 v24, v24, v79
	v_cvt_i32_f32_e32 v79, v81
	v_exp_f32_e32 v24, v24
	v_ldexp_f32 v24, v24, v79
	v_cndmask_b32_e32 v24, 0, v24, vcc_lo
	v_cmp_nlt_f32_e32 vcc_lo, 0x42b17218, v23
	v_cndmask_b32_e32 v23, 0x7f800000, v24, vcc_lo
	v_sub_f32_e32 v24, v93, v3
	v_cvt_f16_f32_e32 v79, v23
	v_mul_f32_e32 v81, 0x3fb8aa3b, v24
	v_cmp_ngt_f32_e32 vcc_lo, 0xc2ce8ed0, v24
	v_fma_f32 v93, 0x3fb8aa3b, v24, -v81
	v_rndne_f32_e32 v95, v81
	v_fmac_f32_e32 v93, 0x32a5705f, v24
	v_sub_f32_e32 v81, v81, v95
	v_add_f32_e32 v81, v81, v93
	v_cvt_i32_f32_e32 v93, v95
	v_exp_f32_e32 v81, v81
	v_ldexp_f32 v81, v81, v93
	v_cndmask_b32_e32 v81, 0, v81, vcc_lo
	v_cmp_nlt_f32_e32 vcc_lo, 0x42b17218, v24
	v_cndmask_b32_e32 v24, 0x7f800000, v81, vcc_lo
	v_add_f32_e32 v23, v23, v24
	v_cvt_f16_f32_e32 v81, v24
	v_sub_f32_e32 v24, v90, v3
	v_pack_b32_f16 v81, v91, v81
	v_mul_f32_e32 v90, 0x3fb8aa3b, v24
	v_cmp_ngt_f32_e32 vcc_lo, 0xc2ce8ed0, v24
	v_fma_f32 v93, 0x3fb8aa3b, v24, -v90
	v_rndne_f32_e32 v95, v90
	v_fmac_f32_e32 v93, 0x32a5705f, v24
	v_sub_f32_e32 v90, v90, v95
	v_add_f32_e32 v90, v90, v93
	v_cvt_i32_f32_e32 v93, v95
	v_exp_f32_e32 v90, v90
	v_ldexp_f32 v90, v90, v93
	v_cndmask_b32_e32 v90, 0, v90, vcc_lo
	v_cmp_nlt_f32_e32 vcc_lo, 0x42b17218, v24
	v_cndmask_b32_e32 v24, 0x7f800000, v90, vcc_lo
	v_add_f32_e32 v23, v24, v23
	v_cvt_f16_f32_e32 v90, v24
	v_sub_f32_e32 v24, v88, v3
	v_mul_f32_e32 v88, 0x3fb8aa3b, v24
	v_cmp_ngt_f32_e32 vcc_lo, 0xc2ce8ed0, v24
	v_fma_f32 v93, 0x3fb8aa3b, v24, -v88
	v_rndne_f32_e32 v95, v88
	v_fmac_f32_e32 v93, 0x32a5705f, v24
	v_sub_f32_e32 v88, v88, v95
	v_add_f32_e32 v88, v88, v93
	v_cvt_i32_f32_e32 v93, v95
	v_exp_f32_e32 v88, v88
	v_ldexp_f32 v88, v88, v93
	v_cndmask_b32_e32 v88, 0, v88, vcc_lo
	v_cmp_nlt_f32_e32 vcc_lo, 0x42b17218, v24
	v_cndmask_b32_e32 v88, 0x7f800000, v88, vcc_lo
	v_cmp_ngt_f32_e32 vcc_lo, 0xc2ce8ed0, v22
	v_add_f32_e32 v24, v88, v23
	v_mul_f32_e32 v23, 0x3fb8aa3b, v22
	v_cvt_f16_f32_e32 v88, v88
	v_fma_f32 v93, 0x3fb8aa3b, v22, -v23
	v_rndne_f32_e32 v95, v23
	v_fmac_f32_e32 v93, 0x32a5705f, v22
	v_sub_f32_e32 v23, v23, v95
	v_add_f32_e32 v23, v23, v93
	v_cvt_i32_f32_e32 v93, v95
	v_exp_f32_e32 v23, v23
	v_ldexp_f32 v23, v23, v93
	v_cndmask_b32_e32 v23, 0, v23, vcc_lo
	v_cmp_nlt_f32_e32 vcc_lo, 0x42b17218, v22
	v_cndmask_b32_e32 v22, 0x7f800000, v23, vcc_lo
	v_sub_f32_e32 v23, v94, v4
	v_fmac_f32_e32 v24, v78, v22
	v_cvt_f16_f32_e32 v22, v22
	v_cmp_ngt_f32_e32 vcc_lo, 0xc2ce8ed0, v23
	v_mul_u32_u24_sdwa v78, v22, v73 dst_sel:DWORD dst_unused:UNUSED_PAD src0_sel:WORD_0 src1_sel:DWORD
	v_sub_f32_e32 v22, v77, v4
	v_mul_f32_e32 v77, 0x3fb8aa3b, v23
	v_pk_mul_f16 v53, v53, v78
	v_fma_f32 v93, 0x3fb8aa3b, v23, -v77
	v_rndne_f32_e32 v94, v77
	v_fmac_f32_e32 v93, 0x32a5705f, v23
	v_sub_f32_e32 v77, v77, v94
	v_add_f32_e32 v77, v77, v93
	v_cvt_i32_f32_e32 v93, v94
	v_exp_f32_e32 v77, v77
	v_ldexp_f32 v77, v77, v93
	v_mul_f32_e32 v93, 0x3fb8aa3b, v92
	v_cndmask_b32_e32 v77, 0, v77, vcc_lo
	v_fma_f32 v94, 0x3fb8aa3b, v92, -v93
	v_rndne_f32_e32 v95, v93
	v_cmp_nlt_f32_e32 vcc_lo, 0x42b17218, v23
	v_fmac_f32_e32 v94, 0x32a5705f, v92
	v_sub_f32_e32 v93, v93, v95
	v_cndmask_b32_e32 v23, 0x7f800000, v77, vcc_lo
	v_cmp_ngt_f32_e32 vcc_lo, 0xc2ce8ed0, v92
	v_add_f32_e32 v93, v93, v94
	v_cvt_i32_f32_e32 v94, v95
	v_cvt_f16_f32_e32 v77, v23
	v_exp_f32_e32 v93, v93
	v_ldexp_f32 v93, v93, v94
	v_cndmask_b32_e32 v93, 0, v93, vcc_lo
	v_cmp_nlt_f32_e32 vcc_lo, 0x42b17218, v92
	v_cndmask_b32_e32 v92, 0x7f800000, v93, vcc_lo
	v_mul_f32_e32 v93, 0x3fb8aa3b, v87
	v_cmp_ngt_f32_e32 vcc_lo, 0xc2ce8ed0, v87
	v_add_f32_e32 v23, v23, v92
	v_fma_f32 v94, 0x3fb8aa3b, v87, -v93
	v_rndne_f32_e32 v95, v93
	v_cvt_f16_f32_e32 v92, v92
	v_fmac_f32_e32 v94, 0x32a5705f, v87
	v_sub_f32_e32 v93, v93, v95
	v_add_f32_e32 v93, v93, v94
	v_cvt_i32_f32_e32 v94, v95
	v_exp_f32_e32 v93, v93
	v_ldexp_f32 v93, v93, v94
	v_cndmask_b32_e32 v93, 0, v93, vcc_lo
	v_cmp_nlt_f32_e32 vcc_lo, 0x42b17218, v87
	v_cndmask_b32_e32 v87, 0x7f800000, v93, vcc_lo
	v_mul_f32_e32 v93, 0x3fb8aa3b, v84
	v_cmp_ngt_f32_e32 vcc_lo, 0xc2ce8ed0, v84
	v_add_f32_e32 v23, v87, v23
	v_fma_f32 v94, 0x3fb8aa3b, v84, -v93
	v_rndne_f32_e32 v95, v93
	v_cvt_f16_f32_e32 v87, v87
	v_fmac_f32_e32 v94, 0x32a5705f, v84
	v_sub_f32_e32 v93, v93, v95
	v_add_f32_e32 v93, v93, v94
	v_cvt_i32_f32_e32 v94, v95
	;; [unrolled: 15-line block ×3, first 2 shown]
	v_exp_f32_e32 v93, v93
	v_ldexp_f32 v93, v93, v94
	v_cndmask_b32_e32 v93, 0, v93, vcc_lo
	v_cmp_nlt_f32_e32 vcc_lo, 0x42b17218, v22
	v_cndmask_b32_e32 v22, 0x7f800000, v93, vcc_lo
	v_fmac_f32_e32 v23, v76, v22
	v_cvt_f16_f32_e32 v22, v22
	v_mul_u32_u24_sdwa v76, v22, v73 dst_sel:DWORD dst_unused:UNUSED_PAD src0_sel:WORD_0 src1_sel:DWORD
	v_sub_f32_e32 v22, v82, v5
	v_pk_mul_f16 v52, v52, v76
	v_mul_f32_e32 v82, 0x3fb8aa3b, v22
	v_cmp_ngt_f32_e32 vcc_lo, 0xc2ce8ed0, v22
	v_fma_f32 v93, 0x3fb8aa3b, v22, -v82
	v_rndne_f32_e32 v94, v82
	v_fmac_f32_e32 v93, 0x32a5705f, v22
	v_sub_f32_e32 v82, v82, v94
	v_add_f32_e32 v82, v82, v93
	v_cvt_i32_f32_e32 v93, v94
	v_exp_f32_e32 v82, v82
	v_ldexp_f32 v82, v82, v93
	v_mul_f32_e32 v93, 0x3fb8aa3b, v83
	v_cndmask_b32_e32 v82, 0, v82, vcc_lo
	v_fma_f32 v94, 0x3fb8aa3b, v83, -v93
	v_rndne_f32_e32 v95, v93
	v_cmp_nlt_f32_e32 vcc_lo, 0x42b17218, v22
	v_fmac_f32_e32 v94, 0x32a5705f, v83
	v_sub_f32_e32 v93, v93, v95
	v_cndmask_b32_e32 v22, 0x7f800000, v82, vcc_lo
	v_cmp_ngt_f32_e32 vcc_lo, 0xc2ce8ed0, v83
	v_add_f32_e32 v93, v93, v94
	v_cvt_i32_f32_e32 v94, v95
	v_cvt_f16_f32_e32 v82, v22
	v_exp_f32_e32 v93, v93
	v_ldexp_f32 v93, v93, v94
	v_cndmask_b32_e32 v93, 0, v93, vcc_lo
	v_cmp_nlt_f32_e32 vcc_lo, 0x42b17218, v83
	v_cndmask_b32_e32 v83, 0x7f800000, v93, vcc_lo
	v_mul_f32_e32 v93, 0x3fb8aa3b, v85
	v_cmp_ngt_f32_e32 vcc_lo, 0xc2ce8ed0, v85
	v_add_f32_e32 v22, v22, v83
	v_fma_f32 v94, 0x3fb8aa3b, v85, -v93
	v_rndne_f32_e32 v95, v93
	v_cvt_f16_f32_e32 v83, v83
	v_fmac_f32_e32 v94, 0x32a5705f, v85
	v_sub_f32_e32 v93, v93, v95
	v_add_f32_e32 v93, v93, v94
	v_cvt_i32_f32_e32 v94, v95
	v_exp_f32_e32 v93, v93
	v_ldexp_f32 v93, v93, v94
	v_cndmask_b32_e32 v93, 0, v93, vcc_lo
	v_cmp_nlt_f32_e32 vcc_lo, 0x42b17218, v85
	v_cndmask_b32_e32 v85, 0x7f800000, v93, vcc_lo
	v_mul_f32_e32 v93, 0x3fb8aa3b, v86
	v_cmp_ngt_f32_e32 vcc_lo, 0xc2ce8ed0, v86
	v_add_f32_e32 v22, v85, v22
	v_fma_f32 v94, 0x3fb8aa3b, v86, -v93
	v_rndne_f32_e32 v95, v93
	v_cvt_f16_f32_e32 v85, v85
	v_fmac_f32_e32 v94, 0x32a5705f, v86
	v_sub_f32_e32 v93, v93, v95
	v_add_f32_e32 v93, v93, v94
	v_cvt_i32_f32_e32 v94, v95
	;; [unrolled: 15-line block ×3, first 2 shown]
	v_exp_f32_e32 v93, v93
	v_ldexp_f32 v93, v93, v94
	v_cndmask_b32_e32 v93, 0, v93, vcc_lo
	v_cmp_nlt_f32_e32 vcc_lo, 0x42b17218, v75
	v_cndmask_b32_e32 v75, 0x7f800000, v93, vcc_lo
	v_add_nc_u32_e32 v93, v41, v37
	v_fmac_f32_e32 v22, v74, v75
	v_cvt_f16_f32_e32 v74, v75
	v_pack_b32_f16 v75, v77, v82
	v_pack_b32_f16 v82, v92, v83
	v_mul_u32_u24_sdwa v74, v74, v73 dst_sel:DWORD dst_unused:UNUSED_PAD src0_sel:WORD_0 src1_sel:DWORD
	v_pk_mul_f16 v51, v51, v74
	v_pk_mul_f16 v50, v50, v74
	v_pack_b32_f16 v74, v89, v79
	ds_write2_b64 v93, v[74:75], v[81:82] offset1:32
	v_pack_b32_f16 v75, v87, v85
	v_pack_b32_f16 v74, v96, v90
	;; [unrolled: 1-line block ×4, first 2 shown]
	ds_write2_b64 v93, v[74:75], v[81:82] offset0:64 offset1:96
	v_add_co_u32 v74, vcc_lo, s15, v14
	v_add_co_ci_u32_e64 v75, null, s16, v15, vcc_lo
	v_add_co_u32 v74, vcc_lo, v74, v71
	v_add_co_ci_u32_e64 v75, null, 0, v75, vcc_lo
	global_load_dwordx4 v[81:84], v[74:75], off
	v_add_co_u32 v74, vcc_lo, s15, v16
	v_add_co_ci_u32_e64 v75, null, s16, v17, vcc_lo
	v_add_co_u32 v74, vcc_lo, v74, v71
	v_add_co_ci_u32_e64 v75, null, 0, v75, vcc_lo
	s_waitcnt vmcnt(0)
	ds_write_b128 v64, v[81:84]
	global_load_dwordx4 v[81:84], v[74:75], off
	v_add_co_u32 v74, vcc_lo, s15, v18
	v_add_co_ci_u32_e64 v75, null, s16, v19, vcc_lo
	v_add_co_u32 v74, vcc_lo, v74, v71
	v_add_co_ci_u32_e64 v75, null, 0, v75, vcc_lo
	s_waitcnt vmcnt(0)
	ds_write_b128 v67, v[81:84]
	global_load_dwordx4 v[81:84], v[74:75], off
	v_add_co_u32 v74, vcc_lo, s15, v20
	v_add_co_ci_u32_e64 v75, null, s16, v21, vcc_lo
	s_or_b32 s15, s10, 64
	v_add_co_u32 v74, vcc_lo, v74, v71
	v_add_co_ci_u32_e64 v75, null, 0, v75, vcc_lo
	s_mul_hi_i32 s17, s15, s19
	s_mul_i32 s16, s15, s19
	s_lshl_b64 s[16:17], s[16:17], 2
	s_add_u32 s15, s11, s16
	s_addc_u32 s16, s14, s17
	s_waitcnt vmcnt(0)
	ds_write_b128 v68, v[81:84]
	global_load_dwordx4 v[81:84], v[74:75], off
	s_waitcnt vmcnt(0)
	ds_write_b128 v69, v[81:84]
	s_waitcnt lgkmcnt(0)
	s_barrier
	buffer_gl0_inv
	ds_read2_b64 v[81:84], v37 offset1:32
	ds_read_b128 v[85:88], v41
	ds_read_b128 v[89:92], v41 offset:16
	ds_read_b128 v[93:96], v41 offset:32
	;; [unrolled: 1-line block ×3, first 2 shown]
	s_waitcnt lgkmcnt(3)
	v_mul_u32_u24_sdwa v74, v85, v73 dst_sel:DWORD dst_unused:UNUSED_PAD src0_sel:WORD_0 src1_sel:DWORD
	v_mul_u32_u24_sdwa v75, v85, v73 dst_sel:DWORD dst_unused:UNUSED_PAD src0_sel:WORD_1 src1_sel:DWORD
	v_mul_u32_u24_sdwa v77, v86, v73 dst_sel:DWORD dst_unused:UNUSED_PAD src0_sel:WORD_0 src1_sel:DWORD
	v_mul_u32_u24_sdwa v79, v86, v73 dst_sel:DWORD dst_unused:UNUSED_PAD src0_sel:WORD_1 src1_sel:DWORD
	v_pk_mul_f16 v85, v81, v74
	v_pk_fma_f16 v54, v82, v74, v54
	v_pk_fma_f16 v53, v82, v75, v53
	;; [unrolled: 1-line block ×5, first 2 shown]
	v_pk_mul_f16 v80, v81, v75
	v_mul_u32_u24_sdwa v74, v87, v73 dst_sel:DWORD dst_unused:UNUSED_PAD src0_sel:WORD_0 src1_sel:DWORD
	v_mul_u32_u24_sdwa v75, v87, v73 dst_sel:DWORD dst_unused:UNUSED_PAD src0_sel:WORD_1 src1_sel:DWORD
	v_pk_fma_f16 v51, v81, v79, v51
	v_pk_fma_f16 v48, v48, v78, v80
	v_pk_mul_f16 v78, v81, v77
	v_mul_u32_u24_sdwa v77, v88, v73 dst_sel:DWORD dst_unused:UNUSED_PAD src0_sel:WORD_1 src1_sel:DWORD
	v_pk_fma_f16 v54, v84, v74, v54
	v_pk_fma_f16 v53, v84, v75, v53
	;; [unrolled: 1-line block ×4, first 2 shown]
	v_mul_u32_u24_sdwa v76, v88, v73 dst_sel:DWORD dst_unused:UNUSED_PAD src0_sel:WORD_0 src1_sel:DWORD
	v_pk_fma_f16 v78, v83, v74, v49
	v_pk_fma_f16 v74, v84, v77, v50
	;; [unrolled: 1-line block ×3, first 2 shown]
	s_waitcnt lgkmcnt(2)
	v_mul_u32_u24_sdwa v75, v89, v73 dst_sel:DWORD dst_unused:UNUSED_PAD src0_sel:WORD_0 src1_sel:DWORD
	v_pk_fma_f16 v80, v83, v76, v47
	ds_read2_b64 v[47:50], v37 offset0:64 offset1:96
	v_pk_fma_f16 v52, v84, v76, v52
	v_mul_u32_u24_sdwa v76, v89, v73 dst_sel:DWORD dst_unused:UNUSED_PAD src0_sel:WORD_1 src1_sel:DWORD
	v_mul_u32_u24_sdwa v77, v90, v73 dst_sel:DWORD dst_unused:UNUSED_PAD src0_sel:WORD_0 src1_sel:DWORD
	v_mul_u32_u24_sdwa v81, v90, v73 dst_sel:DWORD dst_unused:UNUSED_PAD src0_sel:WORD_1 src1_sel:DWORD
	s_waitcnt lgkmcnt(0)
	v_pk_fma_f16 v78, v47, v75, v78
	v_pk_fma_f16 v79, v47, v76, v79
	;; [unrolled: 1-line block ×8, first 2 shown]
	v_mul_u32_u24_sdwa v54, v91, v73 dst_sel:DWORD dst_unused:UNUSED_PAD src0_sel:WORD_0 src1_sel:DWORD
	v_mul_u32_u24_sdwa v74, v91, v73 dst_sel:DWORD dst_unused:UNUSED_PAD src0_sel:WORD_1 src1_sel:DWORD
	v_mul_u32_u24_sdwa v75, v92, v73 dst_sel:DWORD dst_unused:UNUSED_PAD src0_sel:WORD_0 src1_sel:DWORD
	v_mul_u32_u24_sdwa v76, v92, v73 dst_sel:DWORD dst_unused:UNUSED_PAD src0_sel:WORD_1 src1_sel:DWORD
	v_mul_u32_u24_sdwa v81, v94, v73 dst_sel:DWORD dst_unused:UNUSED_PAD src0_sel:WORD_1 src1_sel:DWORD
	v_pk_fma_f16 v77, v49, v54, v78
	v_pk_fma_f16 v78, v49, v74, v79
	;; [unrolled: 1-line block ×8, first 2 shown]
	ds_read2_b64 v[47:50], v37 offset0:128 offset1:160
	v_mul_u32_u24_sdwa v74, v93, v73 dst_sel:DWORD dst_unused:UNUSED_PAD src0_sel:WORD_0 src1_sel:DWORD
	v_mul_u32_u24_sdwa v75, v93, v73 dst_sel:DWORD dst_unused:UNUSED_PAD src0_sel:WORD_1 src1_sel:DWORD
	v_mul_u32_u24_sdwa v76, v94, v73 dst_sel:DWORD dst_unused:UNUSED_PAD src0_sel:WORD_0 src1_sel:DWORD
	s_waitcnt lgkmcnt(0)
	v_pk_fma_f16 v77, v47, v74, v77
	v_pk_fma_f16 v78, v47, v75, v78
	;; [unrolled: 1-line block ×8, first 2 shown]
	v_mul_u32_u24_sdwa v54, v95, v73 dst_sel:DWORD dst_unused:UNUSED_PAD src0_sel:WORD_0 src1_sel:DWORD
	v_mul_u32_u24_sdwa v74, v95, v73 dst_sel:DWORD dst_unused:UNUSED_PAD src0_sel:WORD_1 src1_sel:DWORD
	v_mul_u32_u24_sdwa v75, v96, v73 dst_sel:DWORD dst_unused:UNUSED_PAD src0_sel:WORD_0 src1_sel:DWORD
	v_mul_u32_u24_sdwa v76, v96, v73 dst_sel:DWORD dst_unused:UNUSED_PAD src0_sel:WORD_1 src1_sel:DWORD
	v_mul_u32_u24_sdwa v81, v98, v73 dst_sel:DWORD dst_unused:UNUSED_PAD src0_sel:WORD_1 src1_sel:DWORD
	v_pk_fma_f16 v77, v49, v54, v77
	v_pk_fma_f16 v78, v49, v74, v78
	;; [unrolled: 1-line block ×8, first 2 shown]
	ds_read2_b64 v[47:50], v37 offset0:192 offset1:224
	v_mul_u32_u24_sdwa v74, v97, v73 dst_sel:DWORD dst_unused:UNUSED_PAD src0_sel:WORD_0 src1_sel:DWORD
	v_mul_u32_u24_sdwa v75, v97, v73 dst_sel:DWORD dst_unused:UNUSED_PAD src0_sel:WORD_1 src1_sel:DWORD
	v_mul_u32_u24_sdwa v76, v98, v73 dst_sel:DWORD dst_unused:UNUSED_PAD src0_sel:WORD_0 src1_sel:DWORD
	s_waitcnt lgkmcnt(0)
	v_pk_fma_f16 v77, v47, v74, v77
	v_pk_fma_f16 v78, v47, v75, v78
	;; [unrolled: 1-line block ×8, first 2 shown]
	v_mul_u32_u24_sdwa v54, v99, v73 dst_sel:DWORD dst_unused:UNUSED_PAD src0_sel:WORD_0 src1_sel:DWORD
	v_mul_u32_u24_sdwa v74, v99, v73 dst_sel:DWORD dst_unused:UNUSED_PAD src0_sel:WORD_1 src1_sel:DWORD
	v_mul_u32_u24_sdwa v75, v100, v73 dst_sel:DWORD dst_unused:UNUSED_PAD src0_sel:WORD_0 src1_sel:DWORD
	v_mul_u32_u24_sdwa v76, v100, v73 dst_sel:DWORD dst_unused:UNUSED_PAD src0_sel:WORD_1 src1_sel:DWORD
	v_pk_fma_f16 v80, v49, v54, v77
	v_pk_fma_f16 v78, v49, v74, v78
	;; [unrolled: 1-line block ×8, first 2 shown]
	v_add_nc_u32_e32 v50, 0x800, v37
	ds_read2_b64 v[51:54], v50 offset1:32
	ds_read_b128 v[74:77], v41 offset:64
	s_waitcnt lgkmcnt(0)
	v_mul_u32_u24_sdwa v83, v74, v73 dst_sel:DWORD dst_unused:UNUSED_PAD src0_sel:WORD_0 src1_sel:DWORD
	v_mul_u32_u24_sdwa v74, v74, v73 dst_sel:DWORD dst_unused:UNUSED_PAD src0_sel:WORD_1 src1_sel:DWORD
	v_mul_u32_u24_sdwa v84, v75, v73 dst_sel:DWORD dst_unused:UNUSED_PAD src0_sel:WORD_0 src1_sel:DWORD
	v_mul_u32_u24_sdwa v75, v75, v73 dst_sel:DWORD dst_unused:UNUSED_PAD src0_sel:WORD_1 src1_sel:DWORD
	v_pk_fma_f16 v80, v51, v83, v80
	v_pk_fma_f16 v78, v51, v74, v78
	v_pk_fma_f16 v79, v51, v84, v79
	v_pk_fma_f16 v47, v51, v75, v47
	v_pk_fma_f16 v49, v52, v83, v49
	v_pk_fma_f16 v51, v52, v74, v81
	v_pk_fma_f16 v74, v52, v84, v82
	v_pk_fma_f16 v48, v52, v75, v48
	v_mul_u32_u24_sdwa v52, v76, v73 dst_sel:DWORD dst_unused:UNUSED_PAD src0_sel:WORD_0 src1_sel:DWORD
	v_mul_u32_u24_sdwa v75, v76, v73 dst_sel:DWORD dst_unused:UNUSED_PAD src0_sel:WORD_1 src1_sel:DWORD
	v_mul_u32_u24_sdwa v76, v77, v73 dst_sel:DWORD dst_unused:UNUSED_PAD src0_sel:WORD_0 src1_sel:DWORD
	v_mul_u32_u24_sdwa v77, v77, v73 dst_sel:DWORD dst_unused:UNUSED_PAD src0_sel:WORD_1 src1_sel:DWORD
	v_pk_fma_f16 v80, v53, v52, v80
	v_pk_fma_f16 v78, v53, v75, v78
	v_pk_fma_f16 v79, v53, v76, v79
	v_pk_fma_f16 v47, v53, v77, v47
	v_pk_fma_f16 v49, v54, v52, v49
	v_pk_fma_f16 v81, v54, v75, v51
	v_pk_fma_f16 v82, v54, v76, v74
	v_pk_fma_f16 v48, v54, v77, v48
	ds_read2_b64 v[51:54], v50 offset0:64 offset1:96
	ds_read_b128 v[74:77], v41 offset:80
	s_waitcnt lgkmcnt(0)
	v_mul_u32_u24_sdwa v83, v74, v73 dst_sel:DWORD dst_unused:UNUSED_PAD src0_sel:WORD_0 src1_sel:DWORD
	v_mul_u32_u24_sdwa v74, v74, v73 dst_sel:DWORD dst_unused:UNUSED_PAD src0_sel:WORD_1 src1_sel:DWORD
	v_mul_u32_u24_sdwa v84, v75, v73 dst_sel:DWORD dst_unused:UNUSED_PAD src0_sel:WORD_0 src1_sel:DWORD
	v_mul_u32_u24_sdwa v75, v75, v73 dst_sel:DWORD dst_unused:UNUSED_PAD src0_sel:WORD_1 src1_sel:DWORD
	v_pk_fma_f16 v80, v51, v83, v80
	v_pk_fma_f16 v78, v51, v74, v78
	v_pk_fma_f16 v79, v51, v84, v79
	v_pk_fma_f16 v47, v51, v75, v47
	v_pk_fma_f16 v49, v52, v83, v49
	v_pk_fma_f16 v51, v52, v74, v81
	v_pk_fma_f16 v74, v52, v84, v82
	v_pk_fma_f16 v48, v52, v75, v48
	v_mul_u32_u24_sdwa v52, v76, v73 dst_sel:DWORD dst_unused:UNUSED_PAD src0_sel:WORD_0 src1_sel:DWORD
	v_mul_u32_u24_sdwa v75, v76, v73 dst_sel:DWORD dst_unused:UNUSED_PAD src0_sel:WORD_1 src1_sel:DWORD
	v_mul_u32_u24_sdwa v76, v77, v73 dst_sel:DWORD dst_unused:UNUSED_PAD src0_sel:WORD_0 src1_sel:DWORD
	v_mul_u32_u24_sdwa v77, v77, v73 dst_sel:DWORD dst_unused:UNUSED_PAD src0_sel:WORD_1 src1_sel:DWORD
	v_pk_fma_f16 v80, v53, v52, v80
	v_pk_fma_f16 v78, v53, v75, v78
	v_pk_fma_f16 v79, v53, v76, v79
	v_pk_fma_f16 v47, v53, v77, v47
	v_pk_fma_f16 v49, v54, v52, v49
	v_pk_fma_f16 v81, v54, v75, v51
	v_pk_fma_f16 v82, v54, v76, v74
	v_pk_fma_f16 v48, v54, v77, v48
	ds_read2_b64 v[51:54], v50 offset0:128 offset1:160
	;; [unrolled: 27-line block ×3, first 2 shown]
	ds_read_b128 v[74:77], v41 offset:112
	s_waitcnt lgkmcnt(0)
	v_mul_u32_u24_sdwa v83, v74, v73 dst_sel:DWORD dst_unused:UNUSED_PAD src0_sel:WORD_0 src1_sel:DWORD
	v_mul_u32_u24_sdwa v74, v74, v73 dst_sel:DWORD dst_unused:UNUSED_PAD src0_sel:WORD_1 src1_sel:DWORD
	v_mul_u32_u24_sdwa v84, v75, v73 dst_sel:DWORD dst_unused:UNUSED_PAD src0_sel:WORD_0 src1_sel:DWORD
	v_mul_u32_u24_sdwa v75, v75, v73 dst_sel:DWORD dst_unused:UNUSED_PAD src0_sel:WORD_1 src1_sel:DWORD
	v_pk_fma_f16 v80, v51, v83, v80
	v_pk_fma_f16 v78, v51, v74, v78
	;; [unrolled: 1-line block ×8, first 2 shown]
	v_mul_u32_u24_sdwa v52, v76, v73 dst_sel:DWORD dst_unused:UNUSED_PAD src0_sel:WORD_0 src1_sel:DWORD
	v_mul_u32_u24_sdwa v75, v76, v73 dst_sel:DWORD dst_unused:UNUSED_PAD src0_sel:WORD_1 src1_sel:DWORD
	v_mul_u32_u24_sdwa v76, v77, v73 dst_sel:DWORD dst_unused:UNUSED_PAD src0_sel:WORD_0 src1_sel:DWORD
	v_mul_u32_u24_sdwa v77, v77, v73 dst_sel:DWORD dst_unused:UNUSED_PAD src0_sel:WORD_1 src1_sel:DWORD
	v_pk_fma_f16 v82, v53, v52, v80
	v_pk_fma_f16 v49, v54, v52, v49
	;; [unrolled: 1-line block ×3, first 2 shown]
	v_add_nc_u32_e32 v51, 0x1000, v37
	v_pk_fma_f16 v83, v53, v75, v78
	v_pk_fma_f16 v84, v53, v76, v79
	;; [unrolled: 1-line block ×5, first 2 shown]
	ds_read2_b64 v[74:77], v51 offset1:32
	ds_read_b128 v[78:81], v41 offset:128
	s_waitcnt lgkmcnt(0)
	v_mul_u32_u24_sdwa v54, v78, v73 dst_sel:DWORD dst_unused:UNUSED_PAD src0_sel:WORD_0 src1_sel:DWORD
	v_mul_u32_u24_sdwa v78, v78, v73 dst_sel:DWORD dst_unused:UNUSED_PAD src0_sel:WORD_1 src1_sel:DWORD
	v_mul_u32_u24_sdwa v85, v79, v73 dst_sel:DWORD dst_unused:UNUSED_PAD src0_sel:WORD_0 src1_sel:DWORD
	v_mul_u32_u24_sdwa v79, v79, v73 dst_sel:DWORD dst_unused:UNUSED_PAD src0_sel:WORD_1 src1_sel:DWORD
	v_pk_fma_f16 v82, v74, v54, v82
	v_pk_fma_f16 v83, v74, v78, v83
	v_pk_fma_f16 v84, v74, v85, v84
	v_pk_fma_f16 v47, v74, v79, v47
	v_pk_fma_f16 v49, v75, v54, v49
	v_pk_fma_f16 v52, v75, v78, v52
	v_pk_fma_f16 v53, v75, v85, v53
	v_pk_fma_f16 v48, v75, v79, v48
	v_mul_u32_u24_sdwa v54, v80, v73 dst_sel:DWORD dst_unused:UNUSED_PAD src0_sel:WORD_0 src1_sel:DWORD
	v_mul_u32_u24_sdwa v74, v80, v73 dst_sel:DWORD dst_unused:UNUSED_PAD src0_sel:WORD_1 src1_sel:DWORD
	v_mul_u32_u24_sdwa v75, v81, v73 dst_sel:DWORD dst_unused:UNUSED_PAD src0_sel:WORD_0 src1_sel:DWORD
	v_mul_u32_u24_sdwa v78, v81, v73 dst_sel:DWORD dst_unused:UNUSED_PAD src0_sel:WORD_1 src1_sel:DWORD
	v_pk_fma_f16 v82, v76, v54, v82
	v_pk_fma_f16 v83, v76, v74, v83
	v_pk_fma_f16 v84, v76, v75, v84
	v_pk_fma_f16 v47, v76, v78, v47
	v_pk_fma_f16 v49, v77, v54, v49
	v_pk_fma_f16 v52, v77, v74, v52
	v_pk_fma_f16 v53, v77, v75, v53
	v_pk_fma_f16 v48, v77, v78, v48
	ds_read2_b64 v[74:77], v51 offset0:64 offset1:96
	ds_read_b128 v[78:81], v41 offset:144
	s_waitcnt lgkmcnt(0)
	v_mul_u32_u24_sdwa v54, v78, v73 dst_sel:DWORD dst_unused:UNUSED_PAD src0_sel:WORD_0 src1_sel:DWORD
	v_mul_u32_u24_sdwa v78, v78, v73 dst_sel:DWORD dst_unused:UNUSED_PAD src0_sel:WORD_1 src1_sel:DWORD
	v_mul_u32_u24_sdwa v85, v79, v73 dst_sel:DWORD dst_unused:UNUSED_PAD src0_sel:WORD_0 src1_sel:DWORD
	v_mul_u32_u24_sdwa v79, v79, v73 dst_sel:DWORD dst_unused:UNUSED_PAD src0_sel:WORD_1 src1_sel:DWORD
	v_pk_fma_f16 v82, v74, v54, v82
	v_pk_fma_f16 v83, v74, v78, v83
	v_pk_fma_f16 v84, v74, v85, v84
	v_pk_fma_f16 v47, v74, v79, v47
	v_pk_fma_f16 v49, v75, v54, v49
	v_pk_fma_f16 v52, v75, v78, v52
	v_pk_fma_f16 v53, v75, v85, v53
	v_pk_fma_f16 v48, v75, v79, v48
	v_mul_u32_u24_sdwa v54, v80, v73 dst_sel:DWORD dst_unused:UNUSED_PAD src0_sel:WORD_0 src1_sel:DWORD
	v_mul_u32_u24_sdwa v74, v80, v73 dst_sel:DWORD dst_unused:UNUSED_PAD src0_sel:WORD_1 src1_sel:DWORD
	v_mul_u32_u24_sdwa v75, v81, v73 dst_sel:DWORD dst_unused:UNUSED_PAD src0_sel:WORD_0 src1_sel:DWORD
	v_mul_u32_u24_sdwa v78, v81, v73 dst_sel:DWORD dst_unused:UNUSED_PAD src0_sel:WORD_1 src1_sel:DWORD
	v_pk_fma_f16 v82, v76, v54, v82
	v_pk_fma_f16 v83, v76, v74, v83
	v_pk_fma_f16 v84, v76, v75, v84
	v_pk_fma_f16 v47, v76, v78, v47
	v_pk_fma_f16 v49, v77, v54, v49
	v_pk_fma_f16 v52, v77, v74, v52
	v_pk_fma_f16 v53, v77, v75, v53
	v_pk_fma_f16 v48, v77, v78, v48
	ds_read2_b64 v[74:77], v51 offset0:128 offset1:160
	;; [unrolled: 27-line block ×3, first 2 shown]
	ds_read_b128 v[78:81], v41 offset:176
	s_waitcnt lgkmcnt(0)
	v_mul_u32_u24_sdwa v54, v78, v73 dst_sel:DWORD dst_unused:UNUSED_PAD src0_sel:WORD_0 src1_sel:DWORD
	v_mul_u32_u24_sdwa v78, v78, v73 dst_sel:DWORD dst_unused:UNUSED_PAD src0_sel:WORD_1 src1_sel:DWORD
	v_mul_u32_u24_sdwa v85, v79, v73 dst_sel:DWORD dst_unused:UNUSED_PAD src0_sel:WORD_0 src1_sel:DWORD
	v_mul_u32_u24_sdwa v79, v79, v73 dst_sel:DWORD dst_unused:UNUSED_PAD src0_sel:WORD_1 src1_sel:DWORD
	v_pk_fma_f16 v82, v74, v54, v82
	v_pk_fma_f16 v83, v74, v78, v83
	;; [unrolled: 1-line block ×6, first 2 shown]
	v_mul_u32_u24_sdwa v54, v80, v73 dst_sel:DWORD dst_unused:UNUSED_PAD src0_sel:WORD_0 src1_sel:DWORD
	v_mul_u32_u24_sdwa v74, v80, v73 dst_sel:DWORD dst_unused:UNUSED_PAD src0_sel:WORD_1 src1_sel:DWORD
	v_pk_fma_f16 v53, v75, v85, v53
	v_pk_fma_f16 v48, v75, v79, v48
	v_mul_u32_u24_sdwa v75, v81, v73 dst_sel:DWORD dst_unused:UNUSED_PAD src0_sel:WORD_0 src1_sel:DWORD
	v_mul_u32_u24_sdwa v78, v81, v73 dst_sel:DWORD dst_unused:UNUSED_PAD src0_sel:WORD_1 src1_sel:DWORD
	v_pk_fma_f16 v82, v76, v54, v82
	v_pk_fma_f16 v49, v77, v54, v49
	;; [unrolled: 1-line block ×3, first 2 shown]
	v_add_nc_u32_e32 v52, 0x1800, v37
	v_pk_fma_f16 v83, v76, v74, v83
	v_pk_fma_f16 v84, v76, v75, v84
	;; [unrolled: 1-line block ×5, first 2 shown]
	ds_read2_b64 v[74:77], v52 offset1:32
	ds_read_b128 v[78:81], v41 offset:192
	s_waitcnt lgkmcnt(0)
	v_mul_u32_u24_sdwa v85, v78, v73 dst_sel:DWORD dst_unused:UNUSED_PAD src0_sel:WORD_0 src1_sel:DWORD
	v_mul_u32_u24_sdwa v78, v78, v73 dst_sel:DWORD dst_unused:UNUSED_PAD src0_sel:WORD_1 src1_sel:DWORD
	v_mul_u32_u24_sdwa v86, v79, v73 dst_sel:DWORD dst_unused:UNUSED_PAD src0_sel:WORD_0 src1_sel:DWORD
	v_mul_u32_u24_sdwa v79, v79, v73 dst_sel:DWORD dst_unused:UNUSED_PAD src0_sel:WORD_1 src1_sel:DWORD
	v_pk_fma_f16 v82, v74, v85, v82
	v_pk_fma_f16 v83, v74, v78, v83
	v_pk_fma_f16 v84, v74, v86, v84
	v_pk_fma_f16 v47, v74, v79, v47
	v_pk_fma_f16 v49, v75, v85, v49
	v_pk_fma_f16 v54, v75, v78, v54
	v_pk_fma_f16 v53, v75, v86, v53
	v_pk_fma_f16 v48, v75, v79, v48
	v_mul_u32_u24_sdwa v74, v80, v73 dst_sel:DWORD dst_unused:UNUSED_PAD src0_sel:WORD_0 src1_sel:DWORD
	v_mul_u32_u24_sdwa v75, v80, v73 dst_sel:DWORD dst_unused:UNUSED_PAD src0_sel:WORD_1 src1_sel:DWORD
	v_mul_u32_u24_sdwa v78, v81, v73 dst_sel:DWORD dst_unused:UNUSED_PAD src0_sel:WORD_0 src1_sel:DWORD
	v_mul_u32_u24_sdwa v79, v81, v73 dst_sel:DWORD dst_unused:UNUSED_PAD src0_sel:WORD_1 src1_sel:DWORD
	v_pk_fma_f16 v82, v76, v74, v82
	v_pk_fma_f16 v83, v76, v75, v83
	v_pk_fma_f16 v84, v76, v78, v84
	v_pk_fma_f16 v47, v76, v79, v47
	v_pk_fma_f16 v49, v77, v74, v49
	v_pk_fma_f16 v54, v77, v75, v54
	v_pk_fma_f16 v53, v77, v78, v53
	v_pk_fma_f16 v48, v77, v79, v48
	ds_read2_b64 v[74:77], v52 offset0:64 offset1:96
	ds_read_b128 v[78:81], v41 offset:208
	s_waitcnt lgkmcnt(0)
	v_mul_u32_u24_sdwa v85, v78, v73 dst_sel:DWORD dst_unused:UNUSED_PAD src0_sel:WORD_0 src1_sel:DWORD
	v_mul_u32_u24_sdwa v78, v78, v73 dst_sel:DWORD dst_unused:UNUSED_PAD src0_sel:WORD_1 src1_sel:DWORD
	v_mul_u32_u24_sdwa v86, v79, v73 dst_sel:DWORD dst_unused:UNUSED_PAD src0_sel:WORD_0 src1_sel:DWORD
	v_mul_u32_u24_sdwa v79, v79, v73 dst_sel:DWORD dst_unused:UNUSED_PAD src0_sel:WORD_1 src1_sel:DWORD
	v_pk_fma_f16 v82, v74, v85, v82
	v_pk_fma_f16 v83, v74, v78, v83
	v_pk_fma_f16 v84, v74, v86, v84
	v_pk_fma_f16 v47, v74, v79, v47
	v_pk_fma_f16 v49, v75, v85, v49
	v_pk_fma_f16 v54, v75, v78, v54
	v_pk_fma_f16 v53, v75, v86, v53
	v_pk_fma_f16 v48, v75, v79, v48
	v_mul_u32_u24_sdwa v74, v80, v73 dst_sel:DWORD dst_unused:UNUSED_PAD src0_sel:WORD_0 src1_sel:DWORD
	v_mul_u32_u24_sdwa v75, v80, v73 dst_sel:DWORD dst_unused:UNUSED_PAD src0_sel:WORD_1 src1_sel:DWORD
	v_mul_u32_u24_sdwa v78, v81, v73 dst_sel:DWORD dst_unused:UNUSED_PAD src0_sel:WORD_0 src1_sel:DWORD
	v_mul_u32_u24_sdwa v79, v81, v73 dst_sel:DWORD dst_unused:UNUSED_PAD src0_sel:WORD_1 src1_sel:DWORD
	v_pk_fma_f16 v82, v76, v74, v82
	v_pk_fma_f16 v83, v76, v75, v83
	v_pk_fma_f16 v84, v76, v78, v84
	v_pk_fma_f16 v47, v76, v79, v47
	v_pk_fma_f16 v49, v77, v74, v49
	v_pk_fma_f16 v54, v77, v75, v54
	v_pk_fma_f16 v53, v77, v78, v53
	v_pk_fma_f16 v48, v77, v79, v48
	ds_read2_b64 v[74:77], v52 offset0:128 offset1:160
	;; [unrolled: 27-line block ×3, first 2 shown]
	ds_read_b128 v[78:81], v41 offset:240
	s_waitcnt lgkmcnt(0)
	v_mul_u32_u24_sdwa v85, v78, v73 dst_sel:DWORD dst_unused:UNUSED_PAD src0_sel:WORD_0 src1_sel:DWORD
	v_mul_u32_u24_sdwa v78, v78, v73 dst_sel:DWORD dst_unused:UNUSED_PAD src0_sel:WORD_1 src1_sel:DWORD
	v_mul_u32_u24_sdwa v86, v79, v73 dst_sel:DWORD dst_unused:UNUSED_PAD src0_sel:WORD_0 src1_sel:DWORD
	v_mul_u32_u24_sdwa v79, v79, v73 dst_sel:DWORD dst_unused:UNUSED_PAD src0_sel:WORD_1 src1_sel:DWORD
	v_pk_fma_f16 v82, v74, v85, v82
	v_pk_fma_f16 v83, v74, v78, v83
	;; [unrolled: 1-line block ×4, first 2 shown]
	v_mul_u32_u24_sdwa v78, v81, v73 dst_sel:DWORD dst_unused:UNUSED_PAD src0_sel:WORD_0 src1_sel:DWORD
	v_pk_fma_f16 v84, v74, v86, v84
	v_pk_fma_f16 v47, v74, v79, v47
	;; [unrolled: 1-line block ×4, first 2 shown]
	v_mul_u32_u24_sdwa v74, v80, v73 dst_sel:DWORD dst_unused:UNUSED_PAD src0_sel:WORD_0 src1_sel:DWORD
	v_mul_u32_u24_sdwa v75, v80, v73 dst_sel:DWORD dst_unused:UNUSED_PAD src0_sel:WORD_1 src1_sel:DWORD
	v_mul_u32_u24_sdwa v79, v81, v73 dst_sel:DWORD dst_unused:UNUSED_PAD src0_sel:WORD_1 src1_sel:DWORD
	v_pk_fma_f16 v85, v77, v78, v53
	v_add_nc_u32_e32 v53, 0x2000, v37
	v_pk_fma_f16 v82, v76, v74, v82
	v_pk_fma_f16 v83, v76, v75, v83
	;; [unrolled: 1-line block ×7, first 2 shown]
	ds_read2_b64 v[74:77], v53 offset1:32
	ds_read_b128 v[78:81], v41 offset:256
	s_waitcnt lgkmcnt(0)
	v_mul_u32_u24_sdwa v86, v78, v73 dst_sel:DWORD dst_unused:UNUSED_PAD src0_sel:WORD_0 src1_sel:DWORD
	v_mul_u32_u24_sdwa v78, v78, v73 dst_sel:DWORD dst_unused:UNUSED_PAD src0_sel:WORD_1 src1_sel:DWORD
	v_mul_u32_u24_sdwa v87, v79, v73 dst_sel:DWORD dst_unused:UNUSED_PAD src0_sel:WORD_0 src1_sel:DWORD
	v_mul_u32_u24_sdwa v79, v79, v73 dst_sel:DWORD dst_unused:UNUSED_PAD src0_sel:WORD_1 src1_sel:DWORD
	v_pk_fma_f16 v82, v74, v86, v82
	v_pk_fma_f16 v83, v74, v78, v83
	v_pk_fma_f16 v84, v74, v87, v84
	v_pk_fma_f16 v47, v74, v79, v47
	v_pk_fma_f16 v49, v75, v86, v49
	v_pk_fma_f16 v54, v75, v78, v54
	v_pk_fma_f16 v74, v75, v87, v85
	v_pk_fma_f16 v48, v75, v79, v48
	v_mul_u32_u24_sdwa v75, v80, v73 dst_sel:DWORD dst_unused:UNUSED_PAD src0_sel:WORD_0 src1_sel:DWORD
	v_mul_u32_u24_sdwa v78, v80, v73 dst_sel:DWORD dst_unused:UNUSED_PAD src0_sel:WORD_1 src1_sel:DWORD
	v_mul_u32_u24_sdwa v79, v81, v73 dst_sel:DWORD dst_unused:UNUSED_PAD src0_sel:WORD_0 src1_sel:DWORD
	v_mul_u32_u24_sdwa v80, v81, v73 dst_sel:DWORD dst_unused:UNUSED_PAD src0_sel:WORD_1 src1_sel:DWORD
	v_pk_fma_f16 v82, v76, v75, v82
	v_pk_fma_f16 v83, v76, v78, v83
	v_pk_fma_f16 v84, v76, v79, v84
	v_pk_fma_f16 v47, v76, v80, v47
	v_pk_fma_f16 v49, v77, v75, v49
	v_pk_fma_f16 v54, v77, v78, v54
	v_pk_fma_f16 v85, v77, v79, v74
	v_pk_fma_f16 v48, v77, v80, v48
	ds_read2_b64 v[74:77], v53 offset0:64 offset1:96
	ds_read_b128 v[78:81], v41 offset:272
	s_waitcnt lgkmcnt(0)
	v_mul_u32_u24_sdwa v86, v78, v73 dst_sel:DWORD dst_unused:UNUSED_PAD src0_sel:WORD_0 src1_sel:DWORD
	v_mul_u32_u24_sdwa v78, v78, v73 dst_sel:DWORD dst_unused:UNUSED_PAD src0_sel:WORD_1 src1_sel:DWORD
	v_mul_u32_u24_sdwa v87, v79, v73 dst_sel:DWORD dst_unused:UNUSED_PAD src0_sel:WORD_0 src1_sel:DWORD
	v_mul_u32_u24_sdwa v79, v79, v73 dst_sel:DWORD dst_unused:UNUSED_PAD src0_sel:WORD_1 src1_sel:DWORD
	v_pk_fma_f16 v82, v74, v86, v82
	v_pk_fma_f16 v83, v74, v78, v83
	v_pk_fma_f16 v84, v74, v87, v84
	v_pk_fma_f16 v47, v74, v79, v47
	v_pk_fma_f16 v49, v75, v86, v49
	v_pk_fma_f16 v54, v75, v78, v54
	v_pk_fma_f16 v74, v75, v87, v85
	v_pk_fma_f16 v48, v75, v79, v48
	v_mul_u32_u24_sdwa v75, v80, v73 dst_sel:DWORD dst_unused:UNUSED_PAD src0_sel:WORD_0 src1_sel:DWORD
	v_mul_u32_u24_sdwa v78, v80, v73 dst_sel:DWORD dst_unused:UNUSED_PAD src0_sel:WORD_1 src1_sel:DWORD
	v_mul_u32_u24_sdwa v79, v81, v73 dst_sel:DWORD dst_unused:UNUSED_PAD src0_sel:WORD_0 src1_sel:DWORD
	v_mul_u32_u24_sdwa v80, v81, v73 dst_sel:DWORD dst_unused:UNUSED_PAD src0_sel:WORD_1 src1_sel:DWORD
	v_pk_fma_f16 v82, v76, v75, v82
	v_pk_fma_f16 v83, v76, v78, v83
	v_pk_fma_f16 v84, v76, v79, v84
	v_pk_fma_f16 v47, v76, v80, v47
	v_pk_fma_f16 v49, v77, v75, v49
	v_pk_fma_f16 v54, v77, v78, v54
	v_pk_fma_f16 v85, v77, v79, v74
	v_pk_fma_f16 v48, v77, v80, v48
	ds_read2_b64 v[74:77], v53 offset0:128 offset1:160
	;; [unrolled: 27-line block ×3, first 2 shown]
	ds_read_b128 v[78:81], v41 offset:304
	s_waitcnt lgkmcnt(0)
	v_mul_u32_u24_sdwa v86, v78, v73 dst_sel:DWORD dst_unused:UNUSED_PAD src0_sel:WORD_0 src1_sel:DWORD
	v_mul_u32_u24_sdwa v78, v78, v73 dst_sel:DWORD dst_unused:UNUSED_PAD src0_sel:WORD_1 src1_sel:DWORD
	v_mul_u32_u24_sdwa v87, v79, v73 dst_sel:DWORD dst_unused:UNUSED_PAD src0_sel:WORD_0 src1_sel:DWORD
	v_mul_u32_u24_sdwa v79, v79, v73 dst_sel:DWORD dst_unused:UNUSED_PAD src0_sel:WORD_1 src1_sel:DWORD
	v_pk_fma_f16 v82, v74, v86, v82
	v_pk_fma_f16 v83, v74, v78, v83
	;; [unrolled: 1-line block ×8, first 2 shown]
	v_mul_u32_u24_sdwa v75, v80, v73 dst_sel:DWORD dst_unused:UNUSED_PAD src0_sel:WORD_0 src1_sel:DWORD
	v_mul_u32_u24_sdwa v78, v80, v73 dst_sel:DWORD dst_unused:UNUSED_PAD src0_sel:WORD_1 src1_sel:DWORD
	v_mul_u32_u24_sdwa v79, v81, v73 dst_sel:DWORD dst_unused:UNUSED_PAD src0_sel:WORD_0 src1_sel:DWORD
	v_mul_u32_u24_sdwa v80, v81, v73 dst_sel:DWORD dst_unused:UNUSED_PAD src0_sel:WORD_1 src1_sel:DWORD
	v_pk_fma_f16 v85, v77, v75, v49
	v_add_nc_u32_e32 v49, 0x2800, v37
	v_pk_fma_f16 v82, v76, v75, v82
	v_pk_fma_f16 v83, v76, v78, v83
	;; [unrolled: 1-line block ×7, first 2 shown]
	ds_read2_b64 v[74:77], v49 offset1:32
	ds_read_b128 v[78:81], v41 offset:320
	s_waitcnt lgkmcnt(0)
	v_mul_u32_u24_sdwa v87, v78, v73 dst_sel:DWORD dst_unused:UNUSED_PAD src0_sel:WORD_0 src1_sel:DWORD
	v_mul_u32_u24_sdwa v78, v78, v73 dst_sel:DWORD dst_unused:UNUSED_PAD src0_sel:WORD_1 src1_sel:DWORD
	v_mul_u32_u24_sdwa v88, v79, v73 dst_sel:DWORD dst_unused:UNUSED_PAD src0_sel:WORD_0 src1_sel:DWORD
	v_mul_u32_u24_sdwa v79, v79, v73 dst_sel:DWORD dst_unused:UNUSED_PAD src0_sel:WORD_1 src1_sel:DWORD
	v_pk_fma_f16 v82, v74, v87, v82
	v_pk_fma_f16 v83, v74, v78, v83
	v_pk_fma_f16 v84, v74, v88, v84
	v_pk_fma_f16 v47, v74, v79, v47
	v_pk_fma_f16 v74, v75, v87, v85
	v_pk_fma_f16 v54, v75, v78, v54
	v_pk_fma_f16 v78, v75, v88, v86
	v_pk_fma_f16 v48, v75, v79, v48
	v_mul_u32_u24_sdwa v75, v80, v73 dst_sel:DWORD dst_unused:UNUSED_PAD src0_sel:WORD_0 src1_sel:DWORD
	v_mul_u32_u24_sdwa v79, v80, v73 dst_sel:DWORD dst_unused:UNUSED_PAD src0_sel:WORD_1 src1_sel:DWORD
	v_mul_u32_u24_sdwa v80, v81, v73 dst_sel:DWORD dst_unused:UNUSED_PAD src0_sel:WORD_0 src1_sel:DWORD
	v_mul_u32_u24_sdwa v81, v81, v73 dst_sel:DWORD dst_unused:UNUSED_PAD src0_sel:WORD_1 src1_sel:DWORD
	v_pk_fma_f16 v82, v76, v75, v82
	v_pk_fma_f16 v83, v76, v79, v83
	v_pk_fma_f16 v84, v76, v80, v84
	v_pk_fma_f16 v47, v76, v81, v47
	v_pk_fma_f16 v85, v77, v75, v74
	v_pk_fma_f16 v54, v77, v79, v54
	v_pk_fma_f16 v86, v77, v80, v78
	v_pk_fma_f16 v48, v77, v81, v48
	ds_read2_b64 v[74:77], v49 offset0:64 offset1:96
	ds_read_b128 v[78:81], v41 offset:336
	s_waitcnt lgkmcnt(0)
	v_mul_u32_u24_sdwa v87, v78, v73 dst_sel:DWORD dst_unused:UNUSED_PAD src0_sel:WORD_0 src1_sel:DWORD
	v_mul_u32_u24_sdwa v78, v78, v73 dst_sel:DWORD dst_unused:UNUSED_PAD src0_sel:WORD_1 src1_sel:DWORD
	v_mul_u32_u24_sdwa v88, v79, v73 dst_sel:DWORD dst_unused:UNUSED_PAD src0_sel:WORD_0 src1_sel:DWORD
	v_mul_u32_u24_sdwa v79, v79, v73 dst_sel:DWORD dst_unused:UNUSED_PAD src0_sel:WORD_1 src1_sel:DWORD
	v_pk_fma_f16 v82, v74, v87, v82
	v_pk_fma_f16 v83, v74, v78, v83
	v_pk_fma_f16 v84, v74, v88, v84
	v_pk_fma_f16 v47, v74, v79, v47
	v_pk_fma_f16 v74, v75, v87, v85
	v_pk_fma_f16 v54, v75, v78, v54
	v_pk_fma_f16 v78, v75, v88, v86
	v_pk_fma_f16 v48, v75, v79, v48
	v_mul_u32_u24_sdwa v75, v80, v73 dst_sel:DWORD dst_unused:UNUSED_PAD src0_sel:WORD_0 src1_sel:DWORD
	v_mul_u32_u24_sdwa v79, v80, v73 dst_sel:DWORD dst_unused:UNUSED_PAD src0_sel:WORD_1 src1_sel:DWORD
	v_mul_u32_u24_sdwa v80, v81, v73 dst_sel:DWORD dst_unused:UNUSED_PAD src0_sel:WORD_0 src1_sel:DWORD
	v_mul_u32_u24_sdwa v81, v81, v73 dst_sel:DWORD dst_unused:UNUSED_PAD src0_sel:WORD_1 src1_sel:DWORD
	v_pk_fma_f16 v82, v76, v75, v82
	v_pk_fma_f16 v83, v76, v79, v83
	v_pk_fma_f16 v84, v76, v80, v84
	v_pk_fma_f16 v47, v76, v81, v47
	v_pk_fma_f16 v85, v77, v75, v74
	v_pk_fma_f16 v54, v77, v79, v54
	v_pk_fma_f16 v86, v77, v80, v78
	v_pk_fma_f16 v48, v77, v81, v48
	ds_read2_b64 v[74:77], v49 offset0:128 offset1:160
	;; [unrolled: 27-line block ×3, first 2 shown]
	ds_read_b128 v[78:81], v41 offset:368
	s_waitcnt lgkmcnt(0)
	v_mul_u32_u24_sdwa v87, v78, v73 dst_sel:DWORD dst_unused:UNUSED_PAD src0_sel:WORD_0 src1_sel:DWORD
	v_mul_u32_u24_sdwa v78, v78, v73 dst_sel:DWORD dst_unused:UNUSED_PAD src0_sel:WORD_1 src1_sel:DWORD
	v_mul_u32_u24_sdwa v88, v79, v73 dst_sel:DWORD dst_unused:UNUSED_PAD src0_sel:WORD_0 src1_sel:DWORD
	v_mul_u32_u24_sdwa v79, v79, v73 dst_sel:DWORD dst_unused:UNUSED_PAD src0_sel:WORD_1 src1_sel:DWORD
	v_pk_fma_f16 v82, v74, v87, v82
	v_pk_fma_f16 v83, v74, v78, v83
	;; [unrolled: 1-line block ×8, first 2 shown]
	v_mul_u32_u24_sdwa v75, v80, v73 dst_sel:DWORD dst_unused:UNUSED_PAD src0_sel:WORD_0 src1_sel:DWORD
	v_mul_u32_u24_sdwa v79, v80, v73 dst_sel:DWORD dst_unused:UNUSED_PAD src0_sel:WORD_1 src1_sel:DWORD
	v_mul_u32_u24_sdwa v80, v81, v73 dst_sel:DWORD dst_unused:UNUSED_PAD src0_sel:WORD_0 src1_sel:DWORD
	v_mul_u32_u24_sdwa v81, v81, v73 dst_sel:DWORD dst_unused:UNUSED_PAD src0_sel:WORD_1 src1_sel:DWORD
	v_pk_fma_f16 v82, v76, v75, v82
	v_pk_fma_f16 v83, v76, v79, v83
	;; [unrolled: 1-line block ×4, first 2 shown]
	v_add_nc_u32_e32 v48, 0x3000, v37
	v_pk_fma_f16 v47, v76, v81, v47
	v_pk_fma_f16 v85, v77, v75, v74
	;; [unrolled: 1-line block ×4, first 2 shown]
	ds_read2_b64 v[74:77], v48 offset1:32
	ds_read_b128 v[78:81], v41 offset:384
	s_waitcnt lgkmcnt(0)
	v_mul_u32_u24_sdwa v88, v78, v73 dst_sel:DWORD dst_unused:UNUSED_PAD src0_sel:WORD_0 src1_sel:DWORD
	v_mul_u32_u24_sdwa v78, v78, v73 dst_sel:DWORD dst_unused:UNUSED_PAD src0_sel:WORD_1 src1_sel:DWORD
	v_mul_u32_u24_sdwa v89, v79, v73 dst_sel:DWORD dst_unused:UNUSED_PAD src0_sel:WORD_0 src1_sel:DWORD
	v_mul_u32_u24_sdwa v79, v79, v73 dst_sel:DWORD dst_unused:UNUSED_PAD src0_sel:WORD_1 src1_sel:DWORD
	v_pk_fma_f16 v82, v74, v88, v82
	v_pk_fma_f16 v83, v74, v78, v83
	v_pk_fma_f16 v84, v74, v89, v84
	v_pk_fma_f16 v47, v74, v79, v47
	v_pk_fma_f16 v74, v75, v88, v85
	v_pk_fma_f16 v54, v75, v78, v54
	v_pk_fma_f16 v78, v75, v89, v86
	v_pk_fma_f16 v75, v75, v79, v87
	v_mul_u32_u24_sdwa v79, v80, v73 dst_sel:DWORD dst_unused:UNUSED_PAD src0_sel:WORD_0 src1_sel:DWORD
	v_mul_u32_u24_sdwa v80, v80, v73 dst_sel:DWORD dst_unused:UNUSED_PAD src0_sel:WORD_1 src1_sel:DWORD
	v_mul_u32_u24_sdwa v85, v81, v73 dst_sel:DWORD dst_unused:UNUSED_PAD src0_sel:WORD_0 src1_sel:DWORD
	v_mul_u32_u24_sdwa v81, v81, v73 dst_sel:DWORD dst_unused:UNUSED_PAD src0_sel:WORD_1 src1_sel:DWORD
	v_pk_fma_f16 v82, v76, v79, v82
	v_pk_fma_f16 v83, v76, v80, v83
	v_pk_fma_f16 v84, v76, v85, v84
	v_pk_fma_f16 v47, v76, v81, v47
	v_pk_fma_f16 v86, v77, v79, v74
	v_pk_fma_f16 v54, v77, v80, v54
	v_pk_fma_f16 v85, v77, v85, v78
	v_pk_fma_f16 v87, v77, v81, v75
	ds_read2_b64 v[74:77], v48 offset0:64 offset1:96
	ds_read_b128 v[78:81], v41 offset:400
	s_waitcnt lgkmcnt(0)
	v_mul_u32_u24_sdwa v88, v78, v73 dst_sel:DWORD dst_unused:UNUSED_PAD src0_sel:WORD_0 src1_sel:DWORD
	v_mul_u32_u24_sdwa v78, v78, v73 dst_sel:DWORD dst_unused:UNUSED_PAD src0_sel:WORD_1 src1_sel:DWORD
	v_mul_u32_u24_sdwa v89, v79, v73 dst_sel:DWORD dst_unused:UNUSED_PAD src0_sel:WORD_0 src1_sel:DWORD
	v_mul_u32_u24_sdwa v79, v79, v73 dst_sel:DWORD dst_unused:UNUSED_PAD src0_sel:WORD_1 src1_sel:DWORD
	v_pk_fma_f16 v82, v74, v88, v82
	v_pk_fma_f16 v83, v74, v78, v83
	v_pk_fma_f16 v84, v74, v89, v84
	v_pk_fma_f16 v47, v74, v79, v47
	v_pk_fma_f16 v74, v75, v88, v86
	v_pk_fma_f16 v54, v75, v78, v54
	v_pk_fma_f16 v78, v75, v89, v85
	v_pk_fma_f16 v75, v75, v79, v87
	v_mul_u32_u24_sdwa v79, v80, v73 dst_sel:DWORD dst_unused:UNUSED_PAD src0_sel:WORD_0 src1_sel:DWORD
	v_mul_u32_u24_sdwa v80, v80, v73 dst_sel:DWORD dst_unused:UNUSED_PAD src0_sel:WORD_1 src1_sel:DWORD
	v_mul_u32_u24_sdwa v85, v81, v73 dst_sel:DWORD dst_unused:UNUSED_PAD src0_sel:WORD_0 src1_sel:DWORD
	v_mul_u32_u24_sdwa v81, v81, v73 dst_sel:DWORD dst_unused:UNUSED_PAD src0_sel:WORD_1 src1_sel:DWORD
	v_pk_fma_f16 v82, v76, v79, v82
	v_pk_fma_f16 v83, v76, v80, v83
	v_pk_fma_f16 v84, v76, v85, v84
	v_pk_fma_f16 v47, v76, v81, v47
	v_pk_fma_f16 v86, v77, v79, v74
	v_pk_fma_f16 v54, v77, v80, v54
	v_pk_fma_f16 v85, v77, v85, v78
	v_pk_fma_f16 v87, v77, v81, v75
	ds_read2_b64 v[74:77], v48 offset0:128 offset1:160
	;; [unrolled: 27-line block ×3, first 2 shown]
	ds_read_b128 v[78:81], v41 offset:432
	s_waitcnt lgkmcnt(0)
	v_mul_u32_u24_sdwa v88, v78, v73 dst_sel:DWORD dst_unused:UNUSED_PAD src0_sel:WORD_0 src1_sel:DWORD
	v_mul_u32_u24_sdwa v78, v78, v73 dst_sel:DWORD dst_unused:UNUSED_PAD src0_sel:WORD_1 src1_sel:DWORD
	v_mul_u32_u24_sdwa v89, v79, v73 dst_sel:DWORD dst_unused:UNUSED_PAD src0_sel:WORD_0 src1_sel:DWORD
	v_mul_u32_u24_sdwa v79, v79, v73 dst_sel:DWORD dst_unused:UNUSED_PAD src0_sel:WORD_1 src1_sel:DWORD
	v_pk_fma_f16 v82, v74, v88, v82
	v_pk_fma_f16 v83, v74, v78, v83
	;; [unrolled: 1-line block ×5, first 2 shown]
	v_mul_u32_u24_sdwa v85, v81, v73 dst_sel:DWORD dst_unused:UNUSED_PAD src0_sel:WORD_0 src1_sel:DWORD
	v_mul_u32_u24_sdwa v81, v81, v73 dst_sel:DWORD dst_unused:UNUSED_PAD src0_sel:WORD_1 src1_sel:DWORD
	v_pk_fma_f16 v84, v74, v89, v84
	v_pk_fma_f16 v74, v75, v88, v86
	;; [unrolled: 1-line block ×3, first 2 shown]
	v_mul_u32_u24_sdwa v79, v80, v73 dst_sel:DWORD dst_unused:UNUSED_PAD src0_sel:WORD_0 src1_sel:DWORD
	v_mul_u32_u24_sdwa v80, v80, v73 dst_sel:DWORD dst_unused:UNUSED_PAD src0_sel:WORD_1 src1_sel:DWORD
	v_pk_fma_f16 v86, v76, v81, v47
	v_add_nc_u32_e32 v47, 0x3800, v37
	v_pk_fma_f16 v84, v76, v85, v84
	v_pk_fma_f16 v82, v76, v79, v82
	;; [unrolled: 1-line block ×7, first 2 shown]
	ds_read2_b64 v[74:77], v47 offset1:32
	ds_read_b128 v[78:81], v41 offset:448
	s_waitcnt lgkmcnt(0)
	v_mul_u32_u24_sdwa v89, v78, v73 dst_sel:DWORD dst_unused:UNUSED_PAD src0_sel:WORD_0 src1_sel:DWORD
	v_mul_u32_u24_sdwa v78, v78, v73 dst_sel:DWORD dst_unused:UNUSED_PAD src0_sel:WORD_1 src1_sel:DWORD
	v_mul_u32_u24_sdwa v90, v79, v73 dst_sel:DWORD dst_unused:UNUSED_PAD src0_sel:WORD_0 src1_sel:DWORD
	v_mul_u32_u24_sdwa v79, v79, v73 dst_sel:DWORD dst_unused:UNUSED_PAD src0_sel:WORD_1 src1_sel:DWORD
	v_pk_fma_f16 v82, v74, v89, v82
	v_pk_fma_f16 v83, v74, v78, v83
	v_pk_fma_f16 v84, v74, v90, v84
	v_pk_fma_f16 v74, v74, v79, v86
	v_pk_fma_f16 v86, v75, v89, v87
	v_pk_fma_f16 v54, v75, v78, v54
	v_pk_fma_f16 v78, v75, v90, v85
	v_pk_fma_f16 v75, v75, v79, v88
	v_mul_u32_u24_sdwa v79, v80, v73 dst_sel:DWORD dst_unused:UNUSED_PAD src0_sel:WORD_0 src1_sel:DWORD
	v_mul_u32_u24_sdwa v80, v80, v73 dst_sel:DWORD dst_unused:UNUSED_PAD src0_sel:WORD_1 src1_sel:DWORD
	v_mul_u32_u24_sdwa v85, v81, v73 dst_sel:DWORD dst_unused:UNUSED_PAD src0_sel:WORD_0 src1_sel:DWORD
	v_mul_u32_u24_sdwa v81, v81, v73 dst_sel:DWORD dst_unused:UNUSED_PAD src0_sel:WORD_1 src1_sel:DWORD
	v_pk_fma_f16 v82, v76, v79, v82
	v_pk_fma_f16 v83, v76, v80, v83
	v_pk_fma_f16 v84, v76, v85, v84
	v_pk_fma_f16 v87, v76, v81, v74
	v_pk_fma_f16 v86, v77, v79, v86
	v_pk_fma_f16 v54, v77, v80, v54
	v_pk_fma_f16 v85, v77, v85, v78
	v_pk_fma_f16 v88, v77, v81, v75
	ds_read2_b64 v[74:77], v47 offset0:64 offset1:96
	ds_read_b128 v[78:81], v41 offset:464
	s_waitcnt lgkmcnt(0)
	v_mul_u32_u24_sdwa v89, v78, v73 dst_sel:DWORD dst_unused:UNUSED_PAD src0_sel:WORD_0 src1_sel:DWORD
	v_mul_u32_u24_sdwa v78, v78, v73 dst_sel:DWORD dst_unused:UNUSED_PAD src0_sel:WORD_1 src1_sel:DWORD
	v_mul_u32_u24_sdwa v90, v79, v73 dst_sel:DWORD dst_unused:UNUSED_PAD src0_sel:WORD_0 src1_sel:DWORD
	v_mul_u32_u24_sdwa v79, v79, v73 dst_sel:DWORD dst_unused:UNUSED_PAD src0_sel:WORD_1 src1_sel:DWORD
	v_pk_fma_f16 v82, v74, v89, v82
	v_pk_fma_f16 v83, v74, v78, v83
	v_pk_fma_f16 v84, v74, v90, v84
	v_pk_fma_f16 v74, v74, v79, v87
	v_pk_fma_f16 v86, v75, v89, v86
	v_pk_fma_f16 v54, v75, v78, v54
	v_pk_fma_f16 v78, v75, v90, v85
	v_pk_fma_f16 v75, v75, v79, v88
	v_mul_u32_u24_sdwa v79, v80, v73 dst_sel:DWORD dst_unused:UNUSED_PAD src0_sel:WORD_0 src1_sel:DWORD
	v_mul_u32_u24_sdwa v80, v80, v73 dst_sel:DWORD dst_unused:UNUSED_PAD src0_sel:WORD_1 src1_sel:DWORD
	v_mul_u32_u24_sdwa v85, v81, v73 dst_sel:DWORD dst_unused:UNUSED_PAD src0_sel:WORD_0 src1_sel:DWORD
	v_mul_u32_u24_sdwa v81, v81, v73 dst_sel:DWORD dst_unused:UNUSED_PAD src0_sel:WORD_1 src1_sel:DWORD
	v_pk_fma_f16 v82, v76, v79, v82
	v_pk_fma_f16 v83, v76, v80, v83
	v_pk_fma_f16 v84, v76, v85, v84
	v_pk_fma_f16 v87, v76, v81, v74
	v_pk_fma_f16 v86, v77, v79, v86
	v_pk_fma_f16 v54, v77, v80, v54
	v_pk_fma_f16 v85, v77, v85, v78
	v_pk_fma_f16 v88, v77, v81, v75
	ds_read2_b64 v[74:77], v47 offset0:128 offset1:160
	;; [unrolled: 27-line block ×3, first 2 shown]
	ds_read_b128 v[78:81], v41 offset:496
	s_waitcnt lgkmcnt(0)
	s_barrier
	buffer_gl0_inv
	v_mul_u32_u24_sdwa v89, v78, v73 dst_sel:DWORD dst_unused:UNUSED_PAD src0_sel:WORD_0 src1_sel:DWORD
	v_mul_u32_u24_sdwa v78, v78, v73 dst_sel:DWORD dst_unused:UNUSED_PAD src0_sel:WORD_1 src1_sel:DWORD
	v_mul_u32_u24_sdwa v90, v79, v73 dst_sel:DWORD dst_unused:UNUSED_PAD src0_sel:WORD_0 src1_sel:DWORD
	v_mul_u32_u24_sdwa v79, v79, v73 dst_sel:DWORD dst_unused:UNUSED_PAD src0_sel:WORD_1 src1_sel:DWORD
	v_pk_fma_f16 v82, v74, v89, v82
	v_pk_fma_f16 v83, v74, v78, v83
	;; [unrolled: 1-line block ×6, first 2 shown]
	v_mul_u32_u24_sdwa v85, v81, v73 dst_sel:DWORD dst_unused:UNUSED_PAD src0_sel:WORD_0 src1_sel:DWORD
	v_mul_u32_u24_sdwa v81, v81, v73 dst_sel:DWORD dst_unused:UNUSED_PAD src0_sel:WORD_1 src1_sel:DWORD
	v_pk_fma_f16 v86, v75, v89, v86
	v_pk_fma_f16 v75, v75, v79, v88
	v_mul_u32_u24_sdwa v79, v80, v73 dst_sel:DWORD dst_unused:UNUSED_PAD src0_sel:WORD_0 src1_sel:DWORD
	v_mul_u32_u24_sdwa v80, v80, v73 dst_sel:DWORD dst_unused:UNUSED_PAD src0_sel:WORD_1 src1_sel:DWORD
	v_pk_fma_f16 v97, v76, v81, v74
	v_add_co_u32 v74, vcc_lo, s15, v14
	v_pk_fma_f16 v100, v77, v81, v75
	v_add_co_ci_u32_e64 v75, null, s16, v15, vcc_lo
	v_add_co_u32 v74, vcc_lo, v74, v71
	v_pk_fma_f16 v94, v76, v79, v82
	v_add_co_ci_u32_e64 v75, null, 0, v75, vcc_lo
	v_pk_fma_f16 v95, v76, v80, v83
	v_pk_fma_f16 v96, v76, v85, v84
	;; [unrolled: 1-line block ×5, first 2 shown]
	global_load_dwordx4 v[74:77], v[74:75], off
	s_waitcnt vmcnt(0)
	ds_write_b128 v64, v[74:77]
	v_add_co_u32 v74, vcc_lo, s15, v16
	v_add_co_ci_u32_e64 v75, null, s16, v17, vcc_lo
	v_add_co_u32 v74, vcc_lo, v74, v71
	v_add_co_ci_u32_e64 v75, null, 0, v75, vcc_lo
	global_load_dwordx4 v[74:77], v[74:75], off
	s_waitcnt vmcnt(0)
	ds_write_b128 v67, v[74:77]
	v_add_co_u32 v74, vcc_lo, s15, v18
	v_add_co_ci_u32_e64 v75, null, s16, v19, vcc_lo
	v_add_co_u32 v74, vcc_lo, v74, v71
	v_add_co_ci_u32_e64 v75, null, 0, v75, vcc_lo
	global_load_dwordx4 v[74:77], v[74:75], off
	s_waitcnt vmcnt(0)
	ds_write_b128 v68, v[74:77]
	v_add_co_u32 v74, vcc_lo, s15, v20
	v_add_co_ci_u32_e64 v75, null, s16, v21, vcc_lo
	v_add_co_u32 v74, vcc_lo, v74, v71
	v_add_co_ci_u32_e64 v75, null, 0, v75, vcc_lo
	global_load_dwordx4 v[74:77], v[74:75], off
	s_waitcnt vmcnt(0)
	ds_write_b128 v69, v[74:77]
	s_waitcnt lgkmcnt(0)
	s_barrier
	buffer_gl0_inv
	ds_read2_b64 v[74:77], v37 offset1:32
	ds_read_b128 v[78:81], v41 offset:512
	ds_read_b128 v[82:85], v41 offset:528
	ds_read_b128 v[86:89], v41 offset:544
	ds_read_b128 v[90:93], v41 offset:560
	s_waitcnt lgkmcnt(3)
	v_mul_u32_u24_sdwa v101, v78, v73 dst_sel:DWORD dst_unused:UNUSED_PAD src0_sel:WORD_0 src1_sel:DWORD
	v_mul_u32_u24_sdwa v78, v78, v73 dst_sel:DWORD dst_unused:UNUSED_PAD src0_sel:WORD_1 src1_sel:DWORD
	v_mul_u32_u24_sdwa v102, v79, v73 dst_sel:DWORD dst_unused:UNUSED_PAD src0_sel:WORD_0 src1_sel:DWORD
	v_mul_u32_u24_sdwa v79, v79, v73 dst_sel:DWORD dst_unused:UNUSED_PAD src0_sel:WORD_1 src1_sel:DWORD
	v_pk_fma_f16 v94, v74, v101, v94
	v_pk_fma_f16 v95, v74, v78, v95
	;; [unrolled: 1-line block ×8, first 2 shown]
	v_mul_u32_u24_sdwa v79, v80, v73 dst_sel:DWORD dst_unused:UNUSED_PAD src0_sel:WORD_0 src1_sel:DWORD
	v_mul_u32_u24_sdwa v80, v80, v73 dst_sel:DWORD dst_unused:UNUSED_PAD src0_sel:WORD_1 src1_sel:DWORD
	v_mul_u32_u24_sdwa v98, v81, v73 dst_sel:DWORD dst_unused:UNUSED_PAD src0_sel:WORD_0 src1_sel:DWORD
	v_mul_u32_u24_sdwa v81, v81, v73 dst_sel:DWORD dst_unused:UNUSED_PAD src0_sel:WORD_1 src1_sel:DWORD
	v_pk_fma_f16 v94, v76, v79, v94
	v_pk_fma_f16 v95, v76, v80, v95
	;; [unrolled: 1-line block ×8, first 2 shown]
	ds_read2_b64 v[74:77], v37 offset0:64 offset1:96
	s_waitcnt lgkmcnt(3)
	v_mul_u32_u24_sdwa v81, v82, v73 dst_sel:DWORD dst_unused:UNUSED_PAD src0_sel:WORD_0 src1_sel:DWORD
	v_mul_u32_u24_sdwa v82, v82, v73 dst_sel:DWORD dst_unused:UNUSED_PAD src0_sel:WORD_1 src1_sel:DWORD
	v_mul_u32_u24_sdwa v97, v83, v73 dst_sel:DWORD dst_unused:UNUSED_PAD src0_sel:WORD_0 src1_sel:DWORD
	v_mul_u32_u24_sdwa v83, v83, v73 dst_sel:DWORD dst_unused:UNUSED_PAD src0_sel:WORD_1 src1_sel:DWORD
	s_waitcnt lgkmcnt(0)
	v_pk_fma_f16 v94, v74, v81, v94
	v_pk_fma_f16 v95, v74, v82, v95
	;; [unrolled: 1-line block ×8, first 2 shown]
	v_mul_u32_u24_sdwa v80, v84, v73 dst_sel:DWORD dst_unused:UNUSED_PAD src0_sel:WORD_0 src1_sel:DWORD
	v_mul_u32_u24_sdwa v81, v84, v73 dst_sel:DWORD dst_unused:UNUSED_PAD src0_sel:WORD_1 src1_sel:DWORD
	v_mul_u32_u24_sdwa v82, v85, v73 dst_sel:DWORD dst_unused:UNUSED_PAD src0_sel:WORD_0 src1_sel:DWORD
	v_mul_u32_u24_sdwa v83, v85, v73 dst_sel:DWORD dst_unused:UNUSED_PAD src0_sel:WORD_1 src1_sel:DWORD
	v_pk_fma_f16 v84, v76, v80, v94
	v_pk_fma_f16 v85, v76, v81, v95
	;; [unrolled: 1-line block ×8, first 2 shown]
	ds_read2_b64 v[74:77], v37 offset0:128 offset1:160
	v_mul_u32_u24_sdwa v81, v86, v73 dst_sel:DWORD dst_unused:UNUSED_PAD src0_sel:WORD_0 src1_sel:DWORD
	v_mul_u32_u24_sdwa v82, v86, v73 dst_sel:DWORD dst_unused:UNUSED_PAD src0_sel:WORD_1 src1_sel:DWORD
	v_mul_u32_u24_sdwa v83, v87, v73 dst_sel:DWORD dst_unused:UNUSED_PAD src0_sel:WORD_0 src1_sel:DWORD
	v_mul_u32_u24_sdwa v86, v87, v73 dst_sel:DWORD dst_unused:UNUSED_PAD src0_sel:WORD_1 src1_sel:DWORD
	s_waitcnt lgkmcnt(0)
	v_pk_fma_f16 v84, v74, v81, v84
	v_pk_fma_f16 v85, v74, v82, v85
	;; [unrolled: 1-line block ×8, first 2 shown]
	v_mul_u32_u24_sdwa v80, v88, v73 dst_sel:DWORD dst_unused:UNUSED_PAD src0_sel:WORD_0 src1_sel:DWORD
	v_mul_u32_u24_sdwa v81, v88, v73 dst_sel:DWORD dst_unused:UNUSED_PAD src0_sel:WORD_1 src1_sel:DWORD
	v_mul_u32_u24_sdwa v82, v89, v73 dst_sel:DWORD dst_unused:UNUSED_PAD src0_sel:WORD_0 src1_sel:DWORD
	v_mul_u32_u24_sdwa v83, v89, v73 dst_sel:DWORD dst_unused:UNUSED_PAD src0_sel:WORD_1 src1_sel:DWORD
	v_mul_u32_u24_sdwa v88, v91, v73 dst_sel:DWORD dst_unused:UNUSED_PAD src0_sel:WORD_1 src1_sel:DWORD
	v_pk_fma_f16 v84, v76, v80, v84
	v_pk_fma_f16 v85, v76, v81, v85
	;; [unrolled: 1-line block ×8, first 2 shown]
	ds_read2_b64 v[74:77], v37 offset0:192 offset1:224
	v_mul_u32_u24_sdwa v81, v90, v73 dst_sel:DWORD dst_unused:UNUSED_PAD src0_sel:WORD_0 src1_sel:DWORD
	v_mul_u32_u24_sdwa v82, v90, v73 dst_sel:DWORD dst_unused:UNUSED_PAD src0_sel:WORD_1 src1_sel:DWORD
	v_mul_u32_u24_sdwa v83, v91, v73 dst_sel:DWORD dst_unused:UNUSED_PAD src0_sel:WORD_0 src1_sel:DWORD
	s_waitcnt lgkmcnt(0)
	v_pk_fma_f16 v84, v74, v81, v84
	v_pk_fma_f16 v85, v74, v82, v85
	;; [unrolled: 1-line block ×8, first 2 shown]
	v_mul_u32_u24_sdwa v80, v92, v73 dst_sel:DWORD dst_unused:UNUSED_PAD src0_sel:WORD_0 src1_sel:DWORD
	v_mul_u32_u24_sdwa v81, v92, v73 dst_sel:DWORD dst_unused:UNUSED_PAD src0_sel:WORD_1 src1_sel:DWORD
	v_mul_u32_u24_sdwa v82, v93, v73 dst_sel:DWORD dst_unused:UNUSED_PAD src0_sel:WORD_0 src1_sel:DWORD
	v_mul_u32_u24_sdwa v83, v93, v73 dst_sel:DWORD dst_unused:UNUSED_PAD src0_sel:WORD_1 src1_sel:DWORD
	v_pk_fma_f16 v84, v76, v80, v84
	v_pk_fma_f16 v85, v76, v81, v85
	;; [unrolled: 1-line block ×8, first 2 shown]
	ds_read2_b64 v[74:77], v50 offset1:32
	ds_read_b128 v[78:81], v41 offset:576
	s_waitcnt lgkmcnt(0)
	v_mul_u32_u24_sdwa v89, v78, v73 dst_sel:DWORD dst_unused:UNUSED_PAD src0_sel:WORD_0 src1_sel:DWORD
	v_mul_u32_u24_sdwa v78, v78, v73 dst_sel:DWORD dst_unused:UNUSED_PAD src0_sel:WORD_1 src1_sel:DWORD
	v_mul_u32_u24_sdwa v90, v79, v73 dst_sel:DWORD dst_unused:UNUSED_PAD src0_sel:WORD_0 src1_sel:DWORD
	v_mul_u32_u24_sdwa v79, v79, v73 dst_sel:DWORD dst_unused:UNUSED_PAD src0_sel:WORD_1 src1_sel:DWORD
	v_pk_fma_f16 v84, v74, v89, v84
	v_pk_fma_f16 v85, v74, v78, v85
	v_pk_fma_f16 v86, v74, v90, v86
	v_pk_fma_f16 v74, v74, v79, v87
	v_pk_fma_f16 v87, v75, v89, v88
	v_pk_fma_f16 v54, v75, v78, v54
	v_pk_fma_f16 v78, v75, v90, v82
	v_pk_fma_f16 v75, v75, v79, v83
	v_mul_u32_u24_sdwa v79, v80, v73 dst_sel:DWORD dst_unused:UNUSED_PAD src0_sel:WORD_0 src1_sel:DWORD
	v_mul_u32_u24_sdwa v80, v80, v73 dst_sel:DWORD dst_unused:UNUSED_PAD src0_sel:WORD_1 src1_sel:DWORD
	v_mul_u32_u24_sdwa v82, v81, v73 dst_sel:DWORD dst_unused:UNUSED_PAD src0_sel:WORD_0 src1_sel:DWORD
	v_mul_u32_u24_sdwa v81, v81, v73 dst_sel:DWORD dst_unused:UNUSED_PAD src0_sel:WORD_1 src1_sel:DWORD
	v_pk_fma_f16 v83, v76, v79, v84
	v_pk_fma_f16 v84, v76, v80, v85
	v_pk_fma_f16 v85, v76, v82, v86
	v_pk_fma_f16 v86, v76, v81, v74
	v_pk_fma_f16 v87, v77, v79, v87
	v_pk_fma_f16 v54, v77, v80, v54
	v_pk_fma_f16 v82, v77, v82, v78
	v_pk_fma_f16 v88, v77, v81, v75
	ds_read2_b64 v[74:77], v50 offset0:64 offset1:96
	ds_read_b128 v[78:81], v41 offset:592
	s_waitcnt lgkmcnt(0)
	v_mul_u32_u24_sdwa v89, v78, v73 dst_sel:DWORD dst_unused:UNUSED_PAD src0_sel:WORD_0 src1_sel:DWORD
	v_mul_u32_u24_sdwa v78, v78, v73 dst_sel:DWORD dst_unused:UNUSED_PAD src0_sel:WORD_1 src1_sel:DWORD
	v_mul_u32_u24_sdwa v90, v79, v73 dst_sel:DWORD dst_unused:UNUSED_PAD src0_sel:WORD_0 src1_sel:DWORD
	v_mul_u32_u24_sdwa v79, v79, v73 dst_sel:DWORD dst_unused:UNUSED_PAD src0_sel:WORD_1 src1_sel:DWORD
	v_pk_fma_f16 v83, v74, v89, v83
	v_pk_fma_f16 v84, v74, v78, v84
	v_pk_fma_f16 v85, v74, v90, v85
	v_pk_fma_f16 v74, v74, v79, v86
	v_pk_fma_f16 v86, v75, v89, v87
	v_pk_fma_f16 v54, v75, v78, v54
	v_pk_fma_f16 v78, v75, v90, v82
	v_pk_fma_f16 v75, v75, v79, v88
	v_mul_u32_u24_sdwa v79, v80, v73 dst_sel:DWORD dst_unused:UNUSED_PAD src0_sel:WORD_0 src1_sel:DWORD
	v_mul_u32_u24_sdwa v80, v80, v73 dst_sel:DWORD dst_unused:UNUSED_PAD src0_sel:WORD_1 src1_sel:DWORD
	v_mul_u32_u24_sdwa v82, v81, v73 dst_sel:DWORD dst_unused:UNUSED_PAD src0_sel:WORD_0 src1_sel:DWORD
	v_mul_u32_u24_sdwa v81, v81, v73 dst_sel:DWORD dst_unused:UNUSED_PAD src0_sel:WORD_1 src1_sel:DWORD
	v_pk_fma_f16 v83, v76, v79, v83
	v_pk_fma_f16 v84, v76, v80, v84
	v_pk_fma_f16 v85, v76, v82, v85
	v_pk_fma_f16 v87, v76, v81, v74
	v_pk_fma_f16 v86, v77, v79, v86
	v_pk_fma_f16 v54, v77, v80, v54
	v_pk_fma_f16 v82, v77, v82, v78
	v_pk_fma_f16 v88, v77, v81, v75
	ds_read2_b64 v[74:77], v50 offset0:128 offset1:160
	ds_read_b128 v[78:81], v41 offset:608
	s_waitcnt lgkmcnt(0)
	v_mul_u32_u24_sdwa v89, v78, v73 dst_sel:DWORD dst_unused:UNUSED_PAD src0_sel:WORD_0 src1_sel:DWORD
	v_mul_u32_u24_sdwa v78, v78, v73 dst_sel:DWORD dst_unused:UNUSED_PAD src0_sel:WORD_1 src1_sel:DWORD
	v_mul_u32_u24_sdwa v90, v79, v73 dst_sel:DWORD dst_unused:UNUSED_PAD src0_sel:WORD_0 src1_sel:DWORD
	v_mul_u32_u24_sdwa v79, v79, v73 dst_sel:DWORD dst_unused:UNUSED_PAD src0_sel:WORD_1 src1_sel:DWORD
	v_pk_fma_f16 v83, v74, v89, v83
	v_pk_fma_f16 v84, v74, v78, v84
	v_pk_fma_f16 v85, v74, v90, v85
	v_pk_fma_f16 v74, v74, v79, v87
	v_pk_fma_f16 v86, v75, v89, v86
	v_pk_fma_f16 v54, v75, v78, v54
	v_pk_fma_f16 v78, v75, v90, v82
	v_pk_fma_f16 v75, v75, v79, v88
	v_mul_u32_u24_sdwa v79, v80, v73 dst_sel:DWORD dst_unused:UNUSED_PAD src0_sel:WORD_0 src1_sel:DWORD
	v_mul_u32_u24_sdwa v80, v80, v73 dst_sel:DWORD dst_unused:UNUSED_PAD src0_sel:WORD_1 src1_sel:DWORD
	v_mul_u32_u24_sdwa v82, v81, v73 dst_sel:DWORD dst_unused:UNUSED_PAD src0_sel:WORD_0 src1_sel:DWORD
	v_mul_u32_u24_sdwa v81, v81, v73 dst_sel:DWORD dst_unused:UNUSED_PAD src0_sel:WORD_1 src1_sel:DWORD
	v_pk_fma_f16 v83, v76, v79, v83
	v_pk_fma_f16 v84, v76, v80, v84
	v_pk_fma_f16 v85, v76, v82, v85
	v_pk_fma_f16 v87, v76, v81, v74
	v_pk_fma_f16 v86, v77, v79, v86
	v_pk_fma_f16 v54, v77, v80, v54
	v_pk_fma_f16 v82, v77, v82, v78
	v_pk_fma_f16 v88, v77, v81, v75
	ds_read2_b64 v[74:77], v50 offset0:192 offset1:224
	ds_read_b128 v[78:81], v41 offset:624
	s_waitcnt lgkmcnt(0)
	v_mul_u32_u24_sdwa v50, v78, v73 dst_sel:DWORD dst_unused:UNUSED_PAD src0_sel:WORD_0 src1_sel:DWORD
	v_mul_u32_u24_sdwa v78, v78, v73 dst_sel:DWORD dst_unused:UNUSED_PAD src0_sel:WORD_1 src1_sel:DWORD
	v_mul_u32_u24_sdwa v89, v79, v73 dst_sel:DWORD dst_unused:UNUSED_PAD src0_sel:WORD_0 src1_sel:DWORD
	v_mul_u32_u24_sdwa v79, v79, v73 dst_sel:DWORD dst_unused:UNUSED_PAD src0_sel:WORD_1 src1_sel:DWORD
	v_pk_fma_f16 v83, v74, v50, v83
	v_pk_fma_f16 v84, v74, v78, v84
	;; [unrolled: 1-line block ×8, first 2 shown]
	v_mul_u32_u24_sdwa v79, v80, v73 dst_sel:DWORD dst_unused:UNUSED_PAD src0_sel:WORD_0 src1_sel:DWORD
	v_mul_u32_u24_sdwa v80, v80, v73 dst_sel:DWORD dst_unused:UNUSED_PAD src0_sel:WORD_1 src1_sel:DWORD
	v_mul_u32_u24_sdwa v82, v81, v73 dst_sel:DWORD dst_unused:UNUSED_PAD src0_sel:WORD_0 src1_sel:DWORD
	v_mul_u32_u24_sdwa v81, v81, v73 dst_sel:DWORD dst_unused:UNUSED_PAD src0_sel:WORD_1 src1_sel:DWORD
	v_pk_fma_f16 v83, v76, v79, v83
	v_pk_fma_f16 v84, v76, v80, v84
	;; [unrolled: 1-line block ×8, first 2 shown]
	ds_read2_b64 v[74:77], v51 offset1:32
	ds_read_b128 v[78:81], v41 offset:640
	s_waitcnt lgkmcnt(0)
	v_mul_u32_u24_sdwa v88, v78, v73 dst_sel:DWORD dst_unused:UNUSED_PAD src0_sel:WORD_0 src1_sel:DWORD
	v_mul_u32_u24_sdwa v78, v78, v73 dst_sel:DWORD dst_unused:UNUSED_PAD src0_sel:WORD_1 src1_sel:DWORD
	v_mul_u32_u24_sdwa v89, v79, v73 dst_sel:DWORD dst_unused:UNUSED_PAD src0_sel:WORD_0 src1_sel:DWORD
	v_mul_u32_u24_sdwa v79, v79, v73 dst_sel:DWORD dst_unused:UNUSED_PAD src0_sel:WORD_1 src1_sel:DWORD
	v_pk_fma_f16 v83, v74, v88, v83
	v_pk_fma_f16 v84, v74, v78, v84
	v_pk_fma_f16 v85, v74, v89, v85
	v_pk_fma_f16 v74, v74, v79, v86
	v_pk_fma_f16 v50, v75, v88, v50
	v_pk_fma_f16 v54, v75, v78, v54
	v_pk_fma_f16 v78, v75, v89, v82
	v_pk_fma_f16 v75, v75, v79, v87
	v_mul_u32_u24_sdwa v79, v80, v73 dst_sel:DWORD dst_unused:UNUSED_PAD src0_sel:WORD_0 src1_sel:DWORD
	v_mul_u32_u24_sdwa v80, v80, v73 dst_sel:DWORD dst_unused:UNUSED_PAD src0_sel:WORD_1 src1_sel:DWORD
	v_mul_u32_u24_sdwa v82, v81, v73 dst_sel:DWORD dst_unused:UNUSED_PAD src0_sel:WORD_0 src1_sel:DWORD
	v_mul_u32_u24_sdwa v81, v81, v73 dst_sel:DWORD dst_unused:UNUSED_PAD src0_sel:WORD_1 src1_sel:DWORD
	v_pk_fma_f16 v83, v76, v79, v83
	v_pk_fma_f16 v84, v76, v80, v84
	v_pk_fma_f16 v85, v76, v82, v85
	v_pk_fma_f16 v86, v76, v81, v74
	v_pk_fma_f16 v50, v77, v79, v50
	v_pk_fma_f16 v54, v77, v80, v54
	v_pk_fma_f16 v82, v77, v82, v78
	v_pk_fma_f16 v87, v77, v81, v75
	ds_read2_b64 v[74:77], v51 offset0:64 offset1:96
	ds_read_b128 v[78:81], v41 offset:656
	s_waitcnt lgkmcnt(0)
	v_mul_u32_u24_sdwa v88, v78, v73 dst_sel:DWORD dst_unused:UNUSED_PAD src0_sel:WORD_0 src1_sel:DWORD
	v_mul_u32_u24_sdwa v78, v78, v73 dst_sel:DWORD dst_unused:UNUSED_PAD src0_sel:WORD_1 src1_sel:DWORD
	v_mul_u32_u24_sdwa v89, v79, v73 dst_sel:DWORD dst_unused:UNUSED_PAD src0_sel:WORD_0 src1_sel:DWORD
	v_mul_u32_u24_sdwa v79, v79, v73 dst_sel:DWORD dst_unused:UNUSED_PAD src0_sel:WORD_1 src1_sel:DWORD
	v_pk_fma_f16 v83, v74, v88, v83
	v_pk_fma_f16 v84, v74, v78, v84
	v_pk_fma_f16 v85, v74, v89, v85
	v_pk_fma_f16 v74, v74, v79, v86
	v_pk_fma_f16 v50, v75, v88, v50
	v_pk_fma_f16 v54, v75, v78, v54
	v_pk_fma_f16 v78, v75, v89, v82
	v_pk_fma_f16 v75, v75, v79, v87
	v_mul_u32_u24_sdwa v79, v80, v73 dst_sel:DWORD dst_unused:UNUSED_PAD src0_sel:WORD_0 src1_sel:DWORD
	v_mul_u32_u24_sdwa v80, v80, v73 dst_sel:DWORD dst_unused:UNUSED_PAD src0_sel:WORD_1 src1_sel:DWORD
	v_mul_u32_u24_sdwa v82, v81, v73 dst_sel:DWORD dst_unused:UNUSED_PAD src0_sel:WORD_0 src1_sel:DWORD
	v_mul_u32_u24_sdwa v81, v81, v73 dst_sel:DWORD dst_unused:UNUSED_PAD src0_sel:WORD_1 src1_sel:DWORD
	v_pk_fma_f16 v83, v76, v79, v83
	v_pk_fma_f16 v84, v76, v80, v84
	v_pk_fma_f16 v85, v76, v82, v85
	v_pk_fma_f16 v86, v76, v81, v74
	v_pk_fma_f16 v50, v77, v79, v50
	v_pk_fma_f16 v54, v77, v80, v54
	v_pk_fma_f16 v82, v77, v82, v78
	v_pk_fma_f16 v87, v77, v81, v75
	ds_read2_b64 v[74:77], v51 offset0:128 offset1:160
	;; [unrolled: 27-line block ×3, first 2 shown]
	ds_read_b128 v[78:81], v41 offset:688
	s_waitcnt lgkmcnt(0)
	v_mul_u32_u24_sdwa v51, v78, v73 dst_sel:DWORD dst_unused:UNUSED_PAD src0_sel:WORD_0 src1_sel:DWORD
	v_mul_u32_u24_sdwa v78, v78, v73 dst_sel:DWORD dst_unused:UNUSED_PAD src0_sel:WORD_1 src1_sel:DWORD
	v_mul_u32_u24_sdwa v88, v79, v73 dst_sel:DWORD dst_unused:UNUSED_PAD src0_sel:WORD_0 src1_sel:DWORD
	v_mul_u32_u24_sdwa v79, v79, v73 dst_sel:DWORD dst_unused:UNUSED_PAD src0_sel:WORD_1 src1_sel:DWORD
	v_pk_fma_f16 v83, v74, v51, v83
	v_pk_fma_f16 v84, v74, v78, v84
	;; [unrolled: 1-line block ×8, first 2 shown]
	v_mul_u32_u24_sdwa v78, v80, v73 dst_sel:DWORD dst_unused:UNUSED_PAD src0_sel:WORD_0 src1_sel:DWORD
	v_mul_u32_u24_sdwa v79, v80, v73 dst_sel:DWORD dst_unused:UNUSED_PAD src0_sel:WORD_1 src1_sel:DWORD
	v_mul_u32_u24_sdwa v80, v81, v73 dst_sel:DWORD dst_unused:UNUSED_PAD src0_sel:WORD_0 src1_sel:DWORD
	v_mul_u32_u24_sdwa v81, v81, v73 dst_sel:DWORD dst_unused:UNUSED_PAD src0_sel:WORD_1 src1_sel:DWORD
	v_pk_fma_f16 v82, v76, v78, v83
	v_pk_fma_f16 v83, v76, v79, v84
	;; [unrolled: 1-line block ×8, first 2 shown]
	ds_read2_b64 v[74:77], v52 offset1:32
	ds_read_b128 v[78:81], v41 offset:704
	s_waitcnt lgkmcnt(0)
	v_mul_u32_u24_sdwa v87, v78, v73 dst_sel:DWORD dst_unused:UNUSED_PAD src0_sel:WORD_0 src1_sel:DWORD
	v_mul_u32_u24_sdwa v78, v78, v73 dst_sel:DWORD dst_unused:UNUSED_PAD src0_sel:WORD_1 src1_sel:DWORD
	v_mul_u32_u24_sdwa v88, v79, v73 dst_sel:DWORD dst_unused:UNUSED_PAD src0_sel:WORD_0 src1_sel:DWORD
	v_mul_u32_u24_sdwa v79, v79, v73 dst_sel:DWORD dst_unused:UNUSED_PAD src0_sel:WORD_1 src1_sel:DWORD
	v_pk_fma_f16 v82, v74, v87, v82
	v_pk_fma_f16 v83, v74, v78, v83
	v_pk_fma_f16 v84, v74, v88, v84
	v_pk_fma_f16 v74, v74, v79, v85
	v_pk_fma_f16 v50, v75, v87, v50
	v_pk_fma_f16 v51, v75, v78, v51
	v_pk_fma_f16 v54, v75, v88, v54
	v_pk_fma_f16 v75, v75, v79, v86
	v_mul_u32_u24_sdwa v78, v80, v73 dst_sel:DWORD dst_unused:UNUSED_PAD src0_sel:WORD_0 src1_sel:DWORD
	v_mul_u32_u24_sdwa v79, v80, v73 dst_sel:DWORD dst_unused:UNUSED_PAD src0_sel:WORD_1 src1_sel:DWORD
	v_mul_u32_u24_sdwa v80, v81, v73 dst_sel:DWORD dst_unused:UNUSED_PAD src0_sel:WORD_0 src1_sel:DWORD
	v_mul_u32_u24_sdwa v81, v81, v73 dst_sel:DWORD dst_unused:UNUSED_PAD src0_sel:WORD_1 src1_sel:DWORD
	v_pk_fma_f16 v82, v76, v78, v82
	v_pk_fma_f16 v83, v76, v79, v83
	v_pk_fma_f16 v84, v76, v80, v84
	v_pk_fma_f16 v85, v76, v81, v74
	v_pk_fma_f16 v50, v77, v78, v50
	v_pk_fma_f16 v51, v77, v79, v51
	v_pk_fma_f16 v54, v77, v80, v54
	v_pk_fma_f16 v86, v77, v81, v75
	ds_read2_b64 v[74:77], v52 offset0:64 offset1:96
	ds_read_b128 v[78:81], v41 offset:720
	s_waitcnt lgkmcnt(0)
	v_mul_u32_u24_sdwa v87, v78, v73 dst_sel:DWORD dst_unused:UNUSED_PAD src0_sel:WORD_0 src1_sel:DWORD
	v_mul_u32_u24_sdwa v78, v78, v73 dst_sel:DWORD dst_unused:UNUSED_PAD src0_sel:WORD_1 src1_sel:DWORD
	v_mul_u32_u24_sdwa v88, v79, v73 dst_sel:DWORD dst_unused:UNUSED_PAD src0_sel:WORD_0 src1_sel:DWORD
	v_mul_u32_u24_sdwa v79, v79, v73 dst_sel:DWORD dst_unused:UNUSED_PAD src0_sel:WORD_1 src1_sel:DWORD
	v_pk_fma_f16 v82, v74, v87, v82
	v_pk_fma_f16 v83, v74, v78, v83
	v_pk_fma_f16 v84, v74, v88, v84
	v_pk_fma_f16 v74, v74, v79, v85
	v_pk_fma_f16 v50, v75, v87, v50
	v_pk_fma_f16 v51, v75, v78, v51
	v_pk_fma_f16 v54, v75, v88, v54
	v_pk_fma_f16 v75, v75, v79, v86
	v_mul_u32_u24_sdwa v78, v80, v73 dst_sel:DWORD dst_unused:UNUSED_PAD src0_sel:WORD_0 src1_sel:DWORD
	v_mul_u32_u24_sdwa v79, v80, v73 dst_sel:DWORD dst_unused:UNUSED_PAD src0_sel:WORD_1 src1_sel:DWORD
	v_mul_u32_u24_sdwa v80, v81, v73 dst_sel:DWORD dst_unused:UNUSED_PAD src0_sel:WORD_0 src1_sel:DWORD
	v_mul_u32_u24_sdwa v81, v81, v73 dst_sel:DWORD dst_unused:UNUSED_PAD src0_sel:WORD_1 src1_sel:DWORD
	v_pk_fma_f16 v82, v76, v78, v82
	v_pk_fma_f16 v83, v76, v79, v83
	v_pk_fma_f16 v84, v76, v80, v84
	v_pk_fma_f16 v85, v76, v81, v74
	v_pk_fma_f16 v50, v77, v78, v50
	v_pk_fma_f16 v51, v77, v79, v51
	v_pk_fma_f16 v54, v77, v80, v54
	v_pk_fma_f16 v86, v77, v81, v75
	ds_read2_b64 v[74:77], v52 offset0:128 offset1:160
	;; [unrolled: 27-line block ×3, first 2 shown]
	ds_read_b128 v[78:81], v41 offset:752
	s_waitcnt lgkmcnt(0)
	v_mul_u32_u24_sdwa v52, v78, v73 dst_sel:DWORD dst_unused:UNUSED_PAD src0_sel:WORD_0 src1_sel:DWORD
	v_mul_u32_u24_sdwa v78, v78, v73 dst_sel:DWORD dst_unused:UNUSED_PAD src0_sel:WORD_1 src1_sel:DWORD
	v_mul_u32_u24_sdwa v87, v79, v73 dst_sel:DWORD dst_unused:UNUSED_PAD src0_sel:WORD_0 src1_sel:DWORD
	v_mul_u32_u24_sdwa v79, v79, v73 dst_sel:DWORD dst_unused:UNUSED_PAD src0_sel:WORD_1 src1_sel:DWORD
	v_pk_fma_f16 v82, v74, v52, v82
	v_pk_fma_f16 v83, v74, v78, v83
	;; [unrolled: 1-line block ×8, first 2 shown]
	v_mul_u32_u24_sdwa v75, v80, v73 dst_sel:DWORD dst_unused:UNUSED_PAD src0_sel:WORD_0 src1_sel:DWORD
	v_mul_u32_u24_sdwa v78, v80, v73 dst_sel:DWORD dst_unused:UNUSED_PAD src0_sel:WORD_1 src1_sel:DWORD
	v_mul_u32_u24_sdwa v79, v81, v73 dst_sel:DWORD dst_unused:UNUSED_PAD src0_sel:WORD_0 src1_sel:DWORD
	v_mul_u32_u24_sdwa v80, v81, v73 dst_sel:DWORD dst_unused:UNUSED_PAD src0_sel:WORD_1 src1_sel:DWORD
	v_pk_fma_f16 v82, v76, v75, v82
	v_pk_fma_f16 v83, v76, v78, v83
	;; [unrolled: 1-line block ×8, first 2 shown]
	ds_read2_b64 v[74:77], v53 offset1:32
	ds_read_b128 v[78:81], v41 offset:768
	s_waitcnt lgkmcnt(0)
	v_mul_u32_u24_sdwa v86, v78, v73 dst_sel:DWORD dst_unused:UNUSED_PAD src0_sel:WORD_0 src1_sel:DWORD
	v_mul_u32_u24_sdwa v78, v78, v73 dst_sel:DWORD dst_unused:UNUSED_PAD src0_sel:WORD_1 src1_sel:DWORD
	v_mul_u32_u24_sdwa v87, v79, v73 dst_sel:DWORD dst_unused:UNUSED_PAD src0_sel:WORD_0 src1_sel:DWORD
	v_mul_u32_u24_sdwa v79, v79, v73 dst_sel:DWORD dst_unused:UNUSED_PAD src0_sel:WORD_1 src1_sel:DWORD
	v_pk_fma_f16 v82, v74, v86, v82
	v_pk_fma_f16 v83, v74, v78, v83
	v_pk_fma_f16 v84, v74, v87, v84
	v_pk_fma_f16 v74, v74, v79, v85
	v_pk_fma_f16 v50, v75, v86, v50
	v_pk_fma_f16 v51, v75, v78, v51
	v_pk_fma_f16 v52, v75, v87, v52
	v_pk_fma_f16 v54, v75, v79, v54
	v_mul_u32_u24_sdwa v75, v80, v73 dst_sel:DWORD dst_unused:UNUSED_PAD src0_sel:WORD_0 src1_sel:DWORD
	v_mul_u32_u24_sdwa v78, v80, v73 dst_sel:DWORD dst_unused:UNUSED_PAD src0_sel:WORD_1 src1_sel:DWORD
	v_mul_u32_u24_sdwa v79, v81, v73 dst_sel:DWORD dst_unused:UNUSED_PAD src0_sel:WORD_0 src1_sel:DWORD
	v_mul_u32_u24_sdwa v80, v81, v73 dst_sel:DWORD dst_unused:UNUSED_PAD src0_sel:WORD_1 src1_sel:DWORD
	v_pk_fma_f16 v82, v76, v75, v82
	v_pk_fma_f16 v83, v76, v78, v83
	v_pk_fma_f16 v84, v76, v79, v84
	v_pk_fma_f16 v85, v76, v80, v74
	v_pk_fma_f16 v50, v77, v75, v50
	v_pk_fma_f16 v51, v77, v78, v51
	v_pk_fma_f16 v52, v77, v79, v52
	v_pk_fma_f16 v54, v77, v80, v54
	ds_read2_b64 v[74:77], v53 offset0:64 offset1:96
	ds_read_b128 v[78:81], v41 offset:784
	s_waitcnt lgkmcnt(0)
	v_mul_u32_u24_sdwa v86, v78, v73 dst_sel:DWORD dst_unused:UNUSED_PAD src0_sel:WORD_0 src1_sel:DWORD
	v_mul_u32_u24_sdwa v78, v78, v73 dst_sel:DWORD dst_unused:UNUSED_PAD src0_sel:WORD_1 src1_sel:DWORD
	v_mul_u32_u24_sdwa v87, v79, v73 dst_sel:DWORD dst_unused:UNUSED_PAD src0_sel:WORD_0 src1_sel:DWORD
	v_mul_u32_u24_sdwa v79, v79, v73 dst_sel:DWORD dst_unused:UNUSED_PAD src0_sel:WORD_1 src1_sel:DWORD
	v_pk_fma_f16 v82, v74, v86, v82
	v_pk_fma_f16 v83, v74, v78, v83
	v_pk_fma_f16 v84, v74, v87, v84
	v_pk_fma_f16 v74, v74, v79, v85
	v_pk_fma_f16 v50, v75, v86, v50
	v_pk_fma_f16 v51, v75, v78, v51
	v_pk_fma_f16 v52, v75, v87, v52
	v_pk_fma_f16 v54, v75, v79, v54
	v_mul_u32_u24_sdwa v75, v80, v73 dst_sel:DWORD dst_unused:UNUSED_PAD src0_sel:WORD_0 src1_sel:DWORD
	v_mul_u32_u24_sdwa v78, v80, v73 dst_sel:DWORD dst_unused:UNUSED_PAD src0_sel:WORD_1 src1_sel:DWORD
	v_mul_u32_u24_sdwa v79, v81, v73 dst_sel:DWORD dst_unused:UNUSED_PAD src0_sel:WORD_0 src1_sel:DWORD
	v_mul_u32_u24_sdwa v80, v81, v73 dst_sel:DWORD dst_unused:UNUSED_PAD src0_sel:WORD_1 src1_sel:DWORD
	v_pk_fma_f16 v82, v76, v75, v82
	v_pk_fma_f16 v83, v76, v78, v83
	v_pk_fma_f16 v84, v76, v79, v84
	v_pk_fma_f16 v85, v76, v80, v74
	v_pk_fma_f16 v50, v77, v75, v50
	v_pk_fma_f16 v51, v77, v78, v51
	v_pk_fma_f16 v52, v77, v79, v52
	v_pk_fma_f16 v54, v77, v80, v54
	ds_read2_b64 v[74:77], v53 offset0:128 offset1:160
	;; [unrolled: 27-line block ×3, first 2 shown]
	ds_read_b128 v[74:77], v41 offset:816
	s_waitcnt lgkmcnt(0)
	v_mul_u32_u24_sdwa v80, v74, v73 dst_sel:DWORD dst_unused:UNUSED_PAD src0_sel:WORD_0 src1_sel:DWORD
	v_mul_u32_u24_sdwa v74, v74, v73 dst_sel:DWORD dst_unused:UNUSED_PAD src0_sel:WORD_1 src1_sel:DWORD
	v_mul_u32_u24_sdwa v86, v75, v73 dst_sel:DWORD dst_unused:UNUSED_PAD src0_sel:WORD_0 src1_sel:DWORD
	v_mul_u32_u24_sdwa v75, v75, v73 dst_sel:DWORD dst_unused:UNUSED_PAD src0_sel:WORD_1 src1_sel:DWORD
	v_pk_fma_f16 v81, v50, v80, v81
	v_pk_fma_f16 v82, v50, v74, v82
	;; [unrolled: 1-line block ×8, first 2 shown]
	v_mul_u32_u24_sdwa v54, v76, v73 dst_sel:DWORD dst_unused:UNUSED_PAD src0_sel:WORD_0 src1_sel:DWORD
	v_mul_u32_u24_sdwa v75, v76, v73 dst_sel:DWORD dst_unused:UNUSED_PAD src0_sel:WORD_1 src1_sel:DWORD
	v_mul_u32_u24_sdwa v76, v77, v73 dst_sel:DWORD dst_unused:UNUSED_PAD src0_sel:WORD_0 src1_sel:DWORD
	v_mul_u32_u24_sdwa v77, v77, v73 dst_sel:DWORD dst_unused:UNUSED_PAD src0_sel:WORD_1 src1_sel:DWORD
	v_pk_fma_f16 v79, v52, v54, v81
	v_pk_fma_f16 v81, v52, v75, v82
	;; [unrolled: 1-line block ×8, first 2 shown]
	ds_read2_b64 v[50:53], v49 offset1:32
	ds_read_b128 v[74:77], v41 offset:832
	s_waitcnt lgkmcnt(0)
	v_mul_u32_u24_sdwa v85, v74, v73 dst_sel:DWORD dst_unused:UNUSED_PAD src0_sel:WORD_0 src1_sel:DWORD
	v_mul_u32_u24_sdwa v74, v74, v73 dst_sel:DWORD dst_unused:UNUSED_PAD src0_sel:WORD_1 src1_sel:DWORD
	v_mul_u32_u24_sdwa v86, v75, v73 dst_sel:DWORD dst_unused:UNUSED_PAD src0_sel:WORD_0 src1_sel:DWORD
	v_mul_u32_u24_sdwa v75, v75, v73 dst_sel:DWORD dst_unused:UNUSED_PAD src0_sel:WORD_1 src1_sel:DWORD
	v_pk_fma_f16 v79, v50, v85, v79
	v_pk_fma_f16 v81, v50, v74, v81
	v_pk_fma_f16 v82, v50, v86, v82
	v_pk_fma_f16 v50, v50, v75, v83
	v_pk_fma_f16 v54, v51, v85, v54
	v_pk_fma_f16 v74, v51, v74, v80
	v_pk_fma_f16 v78, v51, v86, v78
	v_pk_fma_f16 v51, v51, v75, v84
	v_mul_u32_u24_sdwa v75, v76, v73 dst_sel:DWORD dst_unused:UNUSED_PAD src0_sel:WORD_0 src1_sel:DWORD
	v_mul_u32_u24_sdwa v76, v76, v73 dst_sel:DWORD dst_unused:UNUSED_PAD src0_sel:WORD_1 src1_sel:DWORD
	v_mul_u32_u24_sdwa v80, v77, v73 dst_sel:DWORD dst_unused:UNUSED_PAD src0_sel:WORD_0 src1_sel:DWORD
	v_mul_u32_u24_sdwa v77, v77, v73 dst_sel:DWORD dst_unused:UNUSED_PAD src0_sel:WORD_1 src1_sel:DWORD
	v_pk_fma_f16 v79, v52, v75, v79
	v_pk_fma_f16 v81, v52, v76, v81
	v_pk_fma_f16 v82, v52, v80, v82
	v_pk_fma_f16 v83, v52, v77, v50
	v_pk_fma_f16 v54, v53, v75, v54
	v_pk_fma_f16 v84, v53, v76, v74
	v_pk_fma_f16 v78, v53, v80, v78
	v_pk_fma_f16 v80, v53, v77, v51
	ds_read2_b64 v[50:53], v49 offset0:64 offset1:96
	ds_read_b128 v[74:77], v41 offset:848
	s_waitcnt lgkmcnt(0)
	v_mul_u32_u24_sdwa v85, v74, v73 dst_sel:DWORD dst_unused:UNUSED_PAD src0_sel:WORD_0 src1_sel:DWORD
	v_mul_u32_u24_sdwa v74, v74, v73 dst_sel:DWORD dst_unused:UNUSED_PAD src0_sel:WORD_1 src1_sel:DWORD
	v_mul_u32_u24_sdwa v86, v75, v73 dst_sel:DWORD dst_unused:UNUSED_PAD src0_sel:WORD_0 src1_sel:DWORD
	v_mul_u32_u24_sdwa v75, v75, v73 dst_sel:DWORD dst_unused:UNUSED_PAD src0_sel:WORD_1 src1_sel:DWORD
	v_pk_fma_f16 v79, v50, v85, v79
	v_pk_fma_f16 v81, v50, v74, v81
	v_pk_fma_f16 v82, v50, v86, v82
	v_pk_fma_f16 v50, v50, v75, v83
	v_pk_fma_f16 v54, v51, v85, v54
	v_pk_fma_f16 v74, v51, v74, v84
	v_pk_fma_f16 v78, v51, v86, v78
	v_pk_fma_f16 v51, v51, v75, v80
	v_mul_u32_u24_sdwa v75, v76, v73 dst_sel:DWORD dst_unused:UNUSED_PAD src0_sel:WORD_0 src1_sel:DWORD
	v_mul_u32_u24_sdwa v76, v76, v73 dst_sel:DWORD dst_unused:UNUSED_PAD src0_sel:WORD_1 src1_sel:DWORD
	v_mul_u32_u24_sdwa v80, v77, v73 dst_sel:DWORD dst_unused:UNUSED_PAD src0_sel:WORD_0 src1_sel:DWORD
	v_mul_u32_u24_sdwa v77, v77, v73 dst_sel:DWORD dst_unused:UNUSED_PAD src0_sel:WORD_1 src1_sel:DWORD
	v_pk_fma_f16 v79, v52, v75, v79
	v_pk_fma_f16 v81, v52, v76, v81
	v_pk_fma_f16 v82, v52, v80, v82
	v_pk_fma_f16 v83, v52, v77, v50
	v_pk_fma_f16 v54, v53, v75, v54
	v_pk_fma_f16 v84, v53, v76, v74
	v_pk_fma_f16 v78, v53, v80, v78
	v_pk_fma_f16 v80, v53, v77, v51
	ds_read2_b64 v[50:53], v49 offset0:128 offset1:160
	;; [unrolled: 27-line block ×3, first 2 shown]
	ds_read_b128 v[74:77], v41 offset:880
	s_waitcnt lgkmcnt(0)
	v_mul_u32_u24_sdwa v80, v74, v73 dst_sel:DWORD dst_unused:UNUSED_PAD src0_sel:WORD_0 src1_sel:DWORD
	v_mul_u32_u24_sdwa v74, v74, v73 dst_sel:DWORD dst_unused:UNUSED_PAD src0_sel:WORD_1 src1_sel:DWORD
	v_mul_u32_u24_sdwa v85, v75, v73 dst_sel:DWORD dst_unused:UNUSED_PAD src0_sel:WORD_0 src1_sel:DWORD
	v_mul_u32_u24_sdwa v75, v75, v73 dst_sel:DWORD dst_unused:UNUSED_PAD src0_sel:WORD_1 src1_sel:DWORD
	v_pk_fma_f16 v79, v49, v80, v79
	v_pk_fma_f16 v81, v49, v74, v81
	;; [unrolled: 1-line block ×8, first 2 shown]
	v_mul_u32_u24_sdwa v53, v76, v73 dst_sel:DWORD dst_unused:UNUSED_PAD src0_sel:WORD_0 src1_sel:DWORD
	v_mul_u32_u24_sdwa v75, v76, v73 dst_sel:DWORD dst_unused:UNUSED_PAD src0_sel:WORD_1 src1_sel:DWORD
	v_mul_u32_u24_sdwa v76, v77, v73 dst_sel:DWORD dst_unused:UNUSED_PAD src0_sel:WORD_0 src1_sel:DWORD
	v_mul_u32_u24_sdwa v77, v77, v73 dst_sel:DWORD dst_unused:UNUSED_PAD src0_sel:WORD_1 src1_sel:DWORD
	v_pk_fma_f16 v79, v51, v53, v79
	v_pk_fma_f16 v80, v51, v75, v81
	;; [unrolled: 1-line block ×8, first 2 shown]
	ds_read2_b64 v[49:52], v48 offset1:32
	ds_read_b128 v[74:77], v41 offset:896
	s_waitcnt lgkmcnt(0)
	v_mul_u32_u24_sdwa v84, v74, v73 dst_sel:DWORD dst_unused:UNUSED_PAD src0_sel:WORD_0 src1_sel:DWORD
	v_mul_u32_u24_sdwa v74, v74, v73 dst_sel:DWORD dst_unused:UNUSED_PAD src0_sel:WORD_1 src1_sel:DWORD
	v_mul_u32_u24_sdwa v85, v75, v73 dst_sel:DWORD dst_unused:UNUSED_PAD src0_sel:WORD_0 src1_sel:DWORD
	v_mul_u32_u24_sdwa v75, v75, v73 dst_sel:DWORD dst_unused:UNUSED_PAD src0_sel:WORD_1 src1_sel:DWORD
	v_pk_fma_f16 v79, v49, v84, v79
	v_pk_fma_f16 v80, v49, v74, v80
	v_pk_fma_f16 v81, v49, v85, v81
	v_pk_fma_f16 v49, v49, v75, v82
	v_pk_fma_f16 v53, v50, v84, v53
	v_pk_fma_f16 v54, v50, v74, v54
	v_pk_fma_f16 v74, v50, v85, v78
	v_pk_fma_f16 v50, v50, v75, v83
	v_mul_u32_u24_sdwa v75, v76, v73 dst_sel:DWORD dst_unused:UNUSED_PAD src0_sel:WORD_0 src1_sel:DWORD
	v_mul_u32_u24_sdwa v76, v76, v73 dst_sel:DWORD dst_unused:UNUSED_PAD src0_sel:WORD_1 src1_sel:DWORD
	v_mul_u32_u24_sdwa v78, v77, v73 dst_sel:DWORD dst_unused:UNUSED_PAD src0_sel:WORD_0 src1_sel:DWORD
	v_mul_u32_u24_sdwa v77, v77, v73 dst_sel:DWORD dst_unused:UNUSED_PAD src0_sel:WORD_1 src1_sel:DWORD
	v_pk_fma_f16 v79, v51, v75, v79
	v_pk_fma_f16 v80, v51, v76, v80
	v_pk_fma_f16 v81, v51, v78, v81
	v_pk_fma_f16 v82, v51, v77, v49
	v_pk_fma_f16 v53, v52, v75, v53
	v_pk_fma_f16 v54, v52, v76, v54
	v_pk_fma_f16 v78, v52, v78, v74
	v_pk_fma_f16 v83, v52, v77, v50
	ds_read2_b64 v[49:52], v48 offset0:64 offset1:96
	ds_read_b128 v[74:77], v41 offset:912
	s_waitcnt lgkmcnt(0)
	v_mul_u32_u24_sdwa v84, v74, v73 dst_sel:DWORD dst_unused:UNUSED_PAD src0_sel:WORD_0 src1_sel:DWORD
	v_mul_u32_u24_sdwa v74, v74, v73 dst_sel:DWORD dst_unused:UNUSED_PAD src0_sel:WORD_1 src1_sel:DWORD
	v_mul_u32_u24_sdwa v85, v75, v73 dst_sel:DWORD dst_unused:UNUSED_PAD src0_sel:WORD_0 src1_sel:DWORD
	v_mul_u32_u24_sdwa v75, v75, v73 dst_sel:DWORD dst_unused:UNUSED_PAD src0_sel:WORD_1 src1_sel:DWORD
	v_pk_fma_f16 v79, v49, v84, v79
	v_pk_fma_f16 v80, v49, v74, v80
	v_pk_fma_f16 v81, v49, v85, v81
	v_pk_fma_f16 v49, v49, v75, v82
	v_pk_fma_f16 v53, v50, v84, v53
	v_pk_fma_f16 v54, v50, v74, v54
	v_pk_fma_f16 v74, v50, v85, v78
	v_pk_fma_f16 v50, v50, v75, v83
	v_mul_u32_u24_sdwa v75, v76, v73 dst_sel:DWORD dst_unused:UNUSED_PAD src0_sel:WORD_0 src1_sel:DWORD
	v_mul_u32_u24_sdwa v76, v76, v73 dst_sel:DWORD dst_unused:UNUSED_PAD src0_sel:WORD_1 src1_sel:DWORD
	v_mul_u32_u24_sdwa v78, v77, v73 dst_sel:DWORD dst_unused:UNUSED_PAD src0_sel:WORD_0 src1_sel:DWORD
	v_mul_u32_u24_sdwa v77, v77, v73 dst_sel:DWORD dst_unused:UNUSED_PAD src0_sel:WORD_1 src1_sel:DWORD
	v_pk_fma_f16 v79, v51, v75, v79
	v_pk_fma_f16 v80, v51, v76, v80
	v_pk_fma_f16 v81, v51, v78, v81
	v_pk_fma_f16 v82, v51, v77, v49
	v_pk_fma_f16 v53, v52, v75, v53
	v_pk_fma_f16 v54, v52, v76, v54
	v_pk_fma_f16 v78, v52, v78, v74
	v_pk_fma_f16 v83, v52, v77, v50
	ds_read2_b64 v[49:52], v48 offset0:128 offset1:160
	;; [unrolled: 27-line block ×3, first 2 shown]
	ds_read_b128 v[74:77], v41 offset:944
	s_waitcnt lgkmcnt(0)
	v_mul_u32_u24_sdwa v83, v74, v73 dst_sel:DWORD dst_unused:UNUSED_PAD src0_sel:WORD_0 src1_sel:DWORD
	v_mul_u32_u24_sdwa v74, v74, v73 dst_sel:DWORD dst_unused:UNUSED_PAD src0_sel:WORD_1 src1_sel:DWORD
	v_mul_u32_u24_sdwa v84, v75, v73 dst_sel:DWORD dst_unused:UNUSED_PAD src0_sel:WORD_0 src1_sel:DWORD
	v_mul_u32_u24_sdwa v75, v75, v73 dst_sel:DWORD dst_unused:UNUSED_PAD src0_sel:WORD_1 src1_sel:DWORD
	v_pk_fma_f16 v79, v48, v83, v79
	v_pk_fma_f16 v80, v48, v74, v80
	;; [unrolled: 1-line block ×8, first 2 shown]
	v_mul_u32_u24_sdwa v52, v76, v73 dst_sel:DWORD dst_unused:UNUSED_PAD src0_sel:WORD_0 src1_sel:DWORD
	v_mul_u32_u24_sdwa v75, v76, v73 dst_sel:DWORD dst_unused:UNUSED_PAD src0_sel:WORD_1 src1_sel:DWORD
	v_mul_u32_u24_sdwa v76, v77, v73 dst_sel:DWORD dst_unused:UNUSED_PAD src0_sel:WORD_0 src1_sel:DWORD
	v_mul_u32_u24_sdwa v77, v77, v73 dst_sel:DWORD dst_unused:UNUSED_PAD src0_sel:WORD_1 src1_sel:DWORD
	v_pk_fma_f16 v78, v50, v52, v79
	v_pk_fma_f16 v79, v50, v75, v80
	;; [unrolled: 1-line block ×8, first 2 shown]
	ds_read2_b64 v[48:51], v47 offset1:32
	ds_read_b128 v[74:77], v41 offset:960
	s_waitcnt lgkmcnt(0)
	v_mul_u32_u24_sdwa v83, v74, v73 dst_sel:DWORD dst_unused:UNUSED_PAD src0_sel:WORD_0 src1_sel:DWORD
	v_mul_u32_u24_sdwa v74, v74, v73 dst_sel:DWORD dst_unused:UNUSED_PAD src0_sel:WORD_1 src1_sel:DWORD
	v_mul_u32_u24_sdwa v84, v75, v73 dst_sel:DWORD dst_unused:UNUSED_PAD src0_sel:WORD_0 src1_sel:DWORD
	v_mul_u32_u24_sdwa v75, v75, v73 dst_sel:DWORD dst_unused:UNUSED_PAD src0_sel:WORD_1 src1_sel:DWORD
	v_pk_fma_f16 v78, v48, v83, v78
	v_pk_fma_f16 v79, v48, v74, v79
	v_pk_fma_f16 v80, v48, v84, v80
	v_pk_fma_f16 v48, v48, v75, v81
	v_pk_fma_f16 v52, v49, v83, v52
	v_pk_fma_f16 v53, v49, v74, v53
	v_pk_fma_f16 v54, v49, v84, v54
	v_pk_fma_f16 v49, v49, v75, v82
	v_mul_u32_u24_sdwa v74, v76, v73 dst_sel:DWORD dst_unused:UNUSED_PAD src0_sel:WORD_0 src1_sel:DWORD
	v_mul_u32_u24_sdwa v75, v76, v73 dst_sel:DWORD dst_unused:UNUSED_PAD src0_sel:WORD_1 src1_sel:DWORD
	v_mul_u32_u24_sdwa v76, v77, v73 dst_sel:DWORD dst_unused:UNUSED_PAD src0_sel:WORD_0 src1_sel:DWORD
	v_mul_u32_u24_sdwa v77, v77, v73 dst_sel:DWORD dst_unused:UNUSED_PAD src0_sel:WORD_1 src1_sel:DWORD
	v_pk_fma_f16 v78, v50, v74, v78
	v_pk_fma_f16 v79, v50, v75, v79
	v_pk_fma_f16 v80, v50, v76, v80
	v_pk_fma_f16 v81, v50, v77, v48
	v_pk_fma_f16 v52, v51, v74, v52
	v_pk_fma_f16 v53, v51, v75, v53
	v_pk_fma_f16 v54, v51, v76, v54
	v_pk_fma_f16 v82, v51, v77, v49
	ds_read2_b64 v[48:51], v47 offset0:64 offset1:96
	ds_read_b128 v[74:77], v41 offset:976
	s_waitcnt lgkmcnt(0)
	v_mul_u32_u24_sdwa v83, v74, v73 dst_sel:DWORD dst_unused:UNUSED_PAD src0_sel:WORD_0 src1_sel:DWORD
	v_mul_u32_u24_sdwa v74, v74, v73 dst_sel:DWORD dst_unused:UNUSED_PAD src0_sel:WORD_1 src1_sel:DWORD
	v_mul_u32_u24_sdwa v84, v75, v73 dst_sel:DWORD dst_unused:UNUSED_PAD src0_sel:WORD_0 src1_sel:DWORD
	v_mul_u32_u24_sdwa v75, v75, v73 dst_sel:DWORD dst_unused:UNUSED_PAD src0_sel:WORD_1 src1_sel:DWORD
	v_pk_fma_f16 v78, v48, v83, v78
	v_pk_fma_f16 v79, v48, v74, v79
	v_pk_fma_f16 v80, v48, v84, v80
	v_pk_fma_f16 v48, v48, v75, v81
	v_pk_fma_f16 v52, v49, v83, v52
	v_pk_fma_f16 v53, v49, v74, v53
	v_pk_fma_f16 v54, v49, v84, v54
	v_pk_fma_f16 v49, v49, v75, v82
	v_mul_u32_u24_sdwa v74, v76, v73 dst_sel:DWORD dst_unused:UNUSED_PAD src0_sel:WORD_0 src1_sel:DWORD
	v_mul_u32_u24_sdwa v75, v76, v73 dst_sel:DWORD dst_unused:UNUSED_PAD src0_sel:WORD_1 src1_sel:DWORD
	v_mul_u32_u24_sdwa v76, v77, v73 dst_sel:DWORD dst_unused:UNUSED_PAD src0_sel:WORD_0 src1_sel:DWORD
	v_mul_u32_u24_sdwa v77, v77, v73 dst_sel:DWORD dst_unused:UNUSED_PAD src0_sel:WORD_1 src1_sel:DWORD
	v_pk_fma_f16 v78, v50, v74, v78
	v_pk_fma_f16 v79, v50, v75, v79
	v_pk_fma_f16 v80, v50, v76, v80
	v_pk_fma_f16 v81, v50, v77, v48
	v_pk_fma_f16 v52, v51, v74, v52
	v_pk_fma_f16 v53, v51, v75, v53
	v_pk_fma_f16 v54, v51, v76, v54
	v_pk_fma_f16 v82, v51, v77, v49
	ds_read2_b64 v[48:51], v47 offset0:128 offset1:160
	ds_read_b128 v[74:77], v41 offset:992
	s_waitcnt lgkmcnt(0)
	v_mul_u32_u24_sdwa v83, v74, v73 dst_sel:DWORD dst_unused:UNUSED_PAD src0_sel:WORD_0 src1_sel:DWORD
	v_mul_u32_u24_sdwa v74, v74, v73 dst_sel:DWORD dst_unused:UNUSED_PAD src0_sel:WORD_1 src1_sel:DWORD
	v_mul_u32_u24_sdwa v84, v75, v73 dst_sel:DWORD dst_unused:UNUSED_PAD src0_sel:WORD_0 src1_sel:DWORD
	v_mul_u32_u24_sdwa v75, v75, v73 dst_sel:DWORD dst_unused:UNUSED_PAD src0_sel:WORD_1 src1_sel:DWORD
	v_pk_fma_f16 v78, v48, v83, v78
	v_pk_fma_f16 v79, v48, v74, v79
	v_pk_fma_f16 v80, v48, v84, v80
	v_pk_fma_f16 v48, v48, v75, v81
	v_pk_fma_f16 v52, v49, v83, v52
	v_pk_fma_f16 v53, v49, v74, v53
	v_pk_fma_f16 v54, v49, v84, v54
	v_pk_fma_f16 v49, v49, v75, v82
	v_mul_u32_u24_sdwa v74, v76, v73 dst_sel:DWORD dst_unused:UNUSED_PAD src0_sel:WORD_0 src1_sel:DWORD
	v_mul_u32_u24_sdwa v75, v76, v73 dst_sel:DWORD dst_unused:UNUSED_PAD src0_sel:WORD_1 src1_sel:DWORD
	v_mul_u32_u24_sdwa v76, v77, v73 dst_sel:DWORD dst_unused:UNUSED_PAD src0_sel:WORD_0 src1_sel:DWORD
	v_mul_u32_u24_sdwa v77, v77, v73 dst_sel:DWORD dst_unused:UNUSED_PAD src0_sel:WORD_1 src1_sel:DWORD
	v_pk_fma_f16 v78, v50, v74, v78
	v_pk_fma_f16 v79, v50, v75, v79
	v_pk_fma_f16 v80, v50, v76, v80
	v_pk_fma_f16 v81, v50, v77, v48
	v_pk_fma_f16 v52, v51, v74, v52
	v_pk_fma_f16 v53, v51, v75, v53
	v_pk_fma_f16 v54, v51, v76, v54
	v_pk_fma_f16 v51, v51, v77, v49
	ds_read2_b64 v[74:77], v47 offset0:192 offset1:224
	ds_read_b128 v[47:50], v41 offset:1008
	s_waitcnt lgkmcnt(0)
	s_barrier
	buffer_gl0_inv
	s_load_dword s15, s[6:7], 0x4
	v_mul_u32_u24_sdwa v82, v47, v73 dst_sel:DWORD dst_unused:UNUSED_PAD src0_sel:WORD_0 src1_sel:DWORD
	v_mul_u32_u24_sdwa v47, v47, v73 dst_sel:DWORD dst_unused:UNUSED_PAD src0_sel:WORD_1 src1_sel:DWORD
	v_mul_u32_u24_sdwa v83, v48, v73 dst_sel:DWORD dst_unused:UNUSED_PAD src0_sel:WORD_0 src1_sel:DWORD
	v_mul_u32_u24_sdwa v48, v48, v73 dst_sel:DWORD dst_unused:UNUSED_PAD src0_sel:WORD_1 src1_sel:DWORD
	s_waitcnt lgkmcnt(0)
	s_lshl_b32 s15, s15, 7
	v_pk_fma_f16 v78, v74, v82, v78
	v_pk_fma_f16 v79, v74, v47, v79
	;; [unrolled: 1-line block ×8, first 2 shown]
	v_mul_u32_u24_sdwa v54, v49, v73 dst_sel:DWORD dst_unused:UNUSED_PAD src0_sel:WORD_0 src1_sel:DWORD
	v_mul_u32_u24_sdwa v82, v49, v73 dst_sel:DWORD dst_unused:UNUSED_PAD src0_sel:WORD_1 src1_sel:DWORD
	v_mul_u32_u24_sdwa v83, v50, v73 dst_sel:DWORD dst_unused:UNUSED_PAD src0_sel:WORD_0 src1_sel:DWORD
	v_mul_u32_u24_sdwa v50, v50, v73 dst_sel:DWORD dst_unused:UNUSED_PAD src0_sel:WORD_1 src1_sel:DWORD
	s_add_i32 s10, s15, s10
	v_pk_fma_f16 v49, v76, v54, v78
	v_pk_fma_f16 v48, v76, v82, v79
	;; [unrolled: 1-line block ×8, first 2 shown]
	s_cmp_lt_i32 s10, s12
	s_cbranch_scc0 .LBB56_44
; %bb.42:                               ;   in Loop: Header=BB56_8 Depth=1
	v_mov_b32_e32 v81, v2
	v_mov_b32_e32 v79, v3
	;; [unrolled: 1-line block ×8, first 2 shown]
	s_branch .LBB56_8
.LBB56_43:
	v_mov_b32_e32 v2, 0xfeffffff
	v_mov_b32_e32 v49, 0
	;; [unrolled: 1-line block ×15, first 2 shown]
.LBB56_44:
	s_cmp_gt_i32 s48, s10
	s_cbranch_scc1 .LBB56_47
; %bb.45:
	v_mbcnt_lo_u32_b32 v6, -1, 0
	v_mov_b32_e32 v18, 32
	v_xor_b32_e32 v19, 16, v6
	v_xor_b32_e32 v17, 8, v6
	;; [unrolled: 1-line block ×5, first 2 shown]
	s_cbranch_execz .LBB56_48
; %bb.46:
	v_mov_b32_e32 v35, v6
	s_branch .LBB56_128
.LBB56_47:
                                        ; implicit-def: $vgpr6
                                        ; implicit-def: $vgpr18
                                        ; implicit-def: $vgpr19
                                        ; implicit-def: $vgpr17
                                        ; implicit-def: $vgpr16
                                        ; implicit-def: $vgpr15
                                        ; implicit-def: $vgpr14
.LBB56_48:
	v_add_nc_u32_e32 v15, v56, v31
	s_mul_hi_i32 s7, s10, s23
	s_mul_i32 s6, s10, s23
	s_mov_b64 s[12:13], src_private_base
	s_lshl_b64 s[6:7], s[6:7], 2
	v_mul_lo_u32 v6, s23, v15
	s_sub_i32 s12, s48, s10
	s_add_u32 s15, s8, s6
	v_lshlrev_b32_e32 v57, 2, v55
	s_addc_u32 s9, s9, s7
	v_cmp_gt_i32_e64 s8, s12, v15
	v_mov_b32_e32 v14, 0
	buffer_store_dword v14, off, s[0:3], 0
	buffer_store_dword v14, off, s[0:3], 0 offset:4
	buffer_store_dword v14, off, s[0:3], 0 offset:8
	;; [unrolled: 1-line block ×3, first 2 shown]
	v_ashrrev_i32_e32 v7, 31, v6
	s_lshl_b32 s7, s23, 5
	v_add_nc_u32_e32 v13, 32, v15
	v_add_nc_u32_e32 v55, s7, v6
	v_mov_b32_e32 v63, 0
	v_lshlrev_b64 v[7:8], 2, v[6:7]
	v_mov_b32_e32 v60, 0
	v_mov_b32_e32 v65, 0
	v_ashrrev_i32_e32 v56, 31, v55
	v_mov_b32_e32 v62, 0
	v_mov_b32_e32 v66, 0
	v_add_co_u32 v7, vcc_lo, s15, v7
	v_add_co_ci_u32_e64 v8, null, s9, v8, vcc_lo
	v_mov_b32_e32 v64, 0
	v_add_co_u32 v16, vcc_lo, v7, v57
	v_add_co_ci_u32_e64 v17, null, 0, v8, vcc_lo
	v_mov_b32_e32 v61, 0
	v_cndmask_b32_e64 v7, 0, v16, s8
	s_cmp_lg_u64 s[46:47], 0
	v_cndmask_b32_e64 v8, s13, v17, s8
	flat_load_dwordx4 v[9:12], v[7:8]
	v_lshlrev_b64 v[6:7], 2, v[55:56]
	buffer_store_dword v14, off, s[0:3], 0
	buffer_store_dword v14, off, s[0:3], 0 offset:4
	buffer_store_dword v14, off, s[0:3], 0 offset:8
	;; [unrolled: 1-line block ×3, first 2 shown]
	v_add_co_u32 v6, vcc_lo, s15, v6
	v_add_co_ci_u32_e64 v8, null, s9, v7, vcc_lo
	v_add_co_u32 v7, vcc_lo, v6, v57
	v_add_co_ci_u32_e64 v8, null, 0, v8, vcc_lo
	v_cmp_gt_i32_e32 vcc_lo, s12, v13
	v_mad_u32_u24 v6, 0x90, v15, v57
	v_cndmask_b32_e32 v19, s13, v8, vcc_lo
	v_cndmask_b32_e32 v18, 0, v7, vcc_lo
	s_waitcnt vmcnt(0) lgkmcnt(0)
	ds_write_b128 v6, v[9:12]
	flat_load_dwordx4 v[18:21], v[18:19]
	v_add_nc_u32_e32 v11, s7, v55
	buffer_store_dword v14, off, s[0:3], 0
	buffer_store_dword v14, off, s[0:3], 0 offset:4
	buffer_store_dword v14, off, s[0:3], 0 offset:8
	;; [unrolled: 1-line block ×3, first 2 shown]
	v_mov_b32_e32 v55, 0
	v_ashrrev_i32_e32 v12, 31, v11
	v_lshlrev_b64 v[9:10], 2, v[11:12]
	v_add_nc_u32_e32 v12, 64, v15
	v_add_nc_u32_e32 v11, s7, v11
	v_add_co_u32 v9, s6, s15, v9
	v_add_co_ci_u32_e64 v10, null, s9, v10, s6
	v_add_co_u32 v9, s6, v9, v57
	v_add_co_ci_u32_e64 v10, null, 0, v10, s6
	v_cmp_gt_i32_e64 s6, s12, v12
	v_cndmask_b32_e64 v13, s13, v10, s6
	v_cndmask_b32_e64 v12, 0, v9, s6
	s_waitcnt vmcnt(0) lgkmcnt(0)
	ds_write_b128 v6, v[18:21] offset:4608
	flat_load_dwordx4 v[18:21], v[12:13]
	v_ashrrev_i32_e32 v12, 31, v11
	v_add_nc_u32_e32 v13, 0x60, v15
	buffer_store_dword v14, off, s[0:3], 0
	buffer_store_dword v14, off, s[0:3], 0 offset:4
	buffer_store_dword v14, off, s[0:3], 0 offset:8
	;; [unrolled: 1-line block ×3, first 2 shown]
	v_lshlrev_b64 v[11:12], 2, v[11:12]
	v_add_co_u32 v11, s7, s15, v11
	v_add_co_ci_u32_e64 v12, null, s9, v12, s7
	v_add_co_u32 v11, s7, v11, v57
	v_add_co_ci_u32_e64 v15, null, 0, v12, s7
	v_cmp_gt_i32_e64 s7, s12, v13
	v_cndmask_b32_e64 v13, s13, v15, s7
	v_cndmask_b32_e64 v12, 0, v11, s7
	s_waitcnt vmcnt(0) lgkmcnt(0)
	ds_write_b128 v6, v[18:21] offset:9216
	flat_load_dwordx4 v[56:59], v[12:13]
	v_mov_b32_e32 v20, 0
	v_mov_b32_e32 v21, 0
	;; [unrolled: 1-line block ×4, first 2 shown]
	s_waitcnt vmcnt(0) lgkmcnt(0)
	ds_write_b128 v6, v[56:59] offset:13824
	s_waitcnt lgkmcnt(0)
	s_waitcnt_vscnt null, 0x0
	s_barrier
	buffer_gl0_inv
	ds_read_b128 v[67:70], v46
	ds_read_b128 v[71:74], v36 offset:26624
	ds_read_b128 v[75:78], v36 offset:26880
	;; [unrolled: 1-line block ×7, first 2 shown]
	v_mov_b32_e32 v57, 0
	v_mov_b32_e32 v59, 0
	;; [unrolled: 1-line block ×4, first 2 shown]
	s_waitcnt lgkmcnt(6)
	;;#ASMSTART
	v_dot2_f32_f16 v20, v67, v71, v20
	;;#ASMEND
	;;#ASMSTART
	v_dot2_f32_f16 v20, v68, v72, v20
	;;#ASMEND
	;;#ASMSTART
	v_dot2_f32_f16 v20, v69, v73, v20
	;;#ASMEND
	;;#ASMSTART
	v_dot2_f32_f16 v20, v70, v74, v20
	;;#ASMEND
	s_waitcnt lgkmcnt(5)
	;;#ASMSTART
	v_dot2_f32_f16 v21, v67, v75, v21
	;;#ASMEND
	;;#ASMSTART
	v_dot2_f32_f16 v21, v68, v76, v21
	;;#ASMEND
	;;#ASMSTART
	v_dot2_f32_f16 v21, v69, v77, v21
	;;#ASMEND
	;;#ASMSTART
	v_dot2_f32_f16 v21, v70, v78, v21
	;;#ASMEND
	s_waitcnt lgkmcnt(4)
	;;#ASMSTART
	v_dot2_f32_f16 v55, v67, v79, v55
	;;#ASMEND
	;;#ASMSTART
	v_dot2_f32_f16 v55, v68, v80, v55
	;;#ASMEND
	;;#ASMSTART
	v_dot2_f32_f16 v55, v69, v81, v55
	;;#ASMEND
	;;#ASMSTART
	v_dot2_f32_f16 v55, v70, v82, v55
	;;#ASMEND
	s_waitcnt lgkmcnt(3)
	;;#ASMSTART
	v_dot2_f32_f16 v12, v67, v83, v12
	;;#ASMEND
	;;#ASMSTART
	v_dot2_f32_f16 v12, v68, v84, v12
	;;#ASMEND
	;;#ASMSTART
	v_dot2_f32_f16 v12, v69, v85, v12
	;;#ASMEND
	;;#ASMSTART
	v_dot2_f32_f16 v12, v70, v86, v12
	;;#ASMEND
	s_waitcnt lgkmcnt(2)
	;;#ASMSTART
	v_dot2_f32_f16 v63, v87, v71, v63
	;;#ASMEND
	;;#ASMSTART
	v_dot2_f32_f16 v63, v88, v72, v63
	;;#ASMEND
	;;#ASMSTART
	v_dot2_f32_f16 v63, v89, v73, v63
	;;#ASMEND
	;;#ASMSTART
	v_dot2_f32_f16 v63, v90, v74, v63
	;;#ASMEND
	;;#ASMSTART
	v_dot2_f32_f16 v60, v87, v75, v60
	;;#ASMEND
	;;#ASMSTART
	v_dot2_f32_f16 v60, v88, v76, v60
	;;#ASMEND
	;; [unrolled: 3-line block ×12, first 2 shown]
	s_waitcnt lgkmcnt(1)
	;;#ASMSTART
	v_dot2_f32_f16 v65, v91, v71, v65
	;;#ASMEND
	;;#ASMSTART
	v_dot2_f32_f16 v65, v92, v72, v65
	;;#ASMEND
	;; [unrolled: 3-line block ×16, first 2 shown]
	s_waitcnt lgkmcnt(0)
	;;#ASMSTART
	v_dot2_f32_f16 v66, v95, v71, v66
	;;#ASMEND
	;;#ASMSTART
	v_dot2_f32_f16 v66, v96, v72, v66
	;;#ASMEND
	;; [unrolled: 3-line block ×16, first 2 shown]
	ds_read_b128 v[67:70], v46 offset:16
	ds_read_b128 v[71:74], v36 offset:26640
	ds_read_b128 v[75:78], v36 offset:26896
	ds_read_b128 v[79:82], v36 offset:27152
	ds_read_b128 v[83:86], v36 offset:27408
	ds_read_b128 v[87:90], v46 offset:4624
	ds_read_b128 v[91:94], v46 offset:9232
	ds_read_b128 v[95:98], v46 offset:13840
	s_waitcnt lgkmcnt(6)
	;;#ASMSTART
	v_dot2_f32_f16 v20, v67, v71, v20
	;;#ASMEND
	;;#ASMSTART
	v_dot2_f32_f16 v20, v68, v72, v20
	;;#ASMEND
	;;#ASMSTART
	v_dot2_f32_f16 v20, v69, v73, v20
	;;#ASMEND
	;;#ASMSTART
	v_dot2_f32_f16 v20, v70, v74, v20
	;;#ASMEND
	s_waitcnt lgkmcnt(5)
	;;#ASMSTART
	v_dot2_f32_f16 v21, v67, v75, v21
	;;#ASMEND
	;;#ASMSTART
	v_dot2_f32_f16 v21, v68, v76, v21
	;;#ASMEND
	;;#ASMSTART
	v_dot2_f32_f16 v21, v69, v77, v21
	;;#ASMEND
	;;#ASMSTART
	v_dot2_f32_f16 v21, v70, v78, v21
	;;#ASMEND
	;; [unrolled: 13-line block ×5, first 2 shown]
	;;#ASMSTART
	v_dot2_f32_f16 v60, v87, v75, v60
	;;#ASMEND
	;;#ASMSTART
	v_dot2_f32_f16 v60, v88, v76, v60
	;;#ASMEND
	;; [unrolled: 3-line block ×12, first 2 shown]
	s_waitcnt lgkmcnt(1)
	;;#ASMSTART
	v_dot2_f32_f16 v65, v91, v71, v65
	;;#ASMEND
	;;#ASMSTART
	v_dot2_f32_f16 v65, v92, v72, v65
	;;#ASMEND
	;; [unrolled: 3-line block ×16, first 2 shown]
	s_waitcnt lgkmcnt(0)
	;;#ASMSTART
	v_dot2_f32_f16 v66, v95, v71, v66
	;;#ASMEND
	;;#ASMSTART
	v_dot2_f32_f16 v66, v96, v72, v66
	;;#ASMEND
	;; [unrolled: 3-line block ×16, first 2 shown]
	ds_read_b128 v[67:70], v46 offset:32
	ds_read_b128 v[71:74], v36 offset:26656
	;; [unrolled: 1-line block ×8, first 2 shown]
	s_waitcnt lgkmcnt(6)
	;;#ASMSTART
	v_dot2_f32_f16 v20, v67, v71, v20
	;;#ASMEND
	;;#ASMSTART
	v_dot2_f32_f16 v20, v68, v72, v20
	;;#ASMEND
	;;#ASMSTART
	v_dot2_f32_f16 v20, v69, v73, v20
	;;#ASMEND
	;;#ASMSTART
	v_dot2_f32_f16 v20, v70, v74, v20
	;;#ASMEND
	s_waitcnt lgkmcnt(5)
	;;#ASMSTART
	v_dot2_f32_f16 v21, v67, v75, v21
	;;#ASMEND
	;;#ASMSTART
	v_dot2_f32_f16 v21, v68, v76, v21
	;;#ASMEND
	;;#ASMSTART
	v_dot2_f32_f16 v21, v69, v77, v21
	;;#ASMEND
	;;#ASMSTART
	v_dot2_f32_f16 v21, v70, v78, v21
	;;#ASMEND
	;; [unrolled: 13-line block ×5, first 2 shown]
	;;#ASMSTART
	v_dot2_f32_f16 v60, v87, v75, v60
	;;#ASMEND
	;;#ASMSTART
	v_dot2_f32_f16 v60, v88, v76, v60
	;;#ASMEND
	;; [unrolled: 3-line block ×12, first 2 shown]
	s_waitcnt lgkmcnt(1)
	;;#ASMSTART
	v_dot2_f32_f16 v65, v91, v71, v65
	;;#ASMEND
	;;#ASMSTART
	v_dot2_f32_f16 v65, v92, v72, v65
	;;#ASMEND
	;; [unrolled: 3-line block ×16, first 2 shown]
	s_waitcnt lgkmcnt(0)
	;;#ASMSTART
	v_dot2_f32_f16 v66, v95, v71, v66
	;;#ASMEND
	;;#ASMSTART
	v_dot2_f32_f16 v66, v96, v72, v66
	;;#ASMEND
	;; [unrolled: 3-line block ×16, first 2 shown]
	ds_read_b128 v[67:70], v46 offset:48
	ds_read_b128 v[71:74], v36 offset:26672
	;; [unrolled: 1-line block ×8, first 2 shown]
	s_waitcnt lgkmcnt(6)
	;;#ASMSTART
	v_dot2_f32_f16 v20, v67, v71, v20
	;;#ASMEND
	;;#ASMSTART
	v_dot2_f32_f16 v20, v68, v72, v20
	;;#ASMEND
	;;#ASMSTART
	v_dot2_f32_f16 v20, v69, v73, v20
	;;#ASMEND
	;;#ASMSTART
	v_dot2_f32_f16 v20, v70, v74, v20
	;;#ASMEND
	s_waitcnt lgkmcnt(5)
	;;#ASMSTART
	v_dot2_f32_f16 v21, v67, v75, v21
	;;#ASMEND
	;;#ASMSTART
	v_dot2_f32_f16 v21, v68, v76, v21
	;;#ASMEND
	;;#ASMSTART
	v_dot2_f32_f16 v21, v69, v77, v21
	;;#ASMEND
	;;#ASMSTART
	v_dot2_f32_f16 v21, v70, v78, v21
	;;#ASMEND
	;; [unrolled: 13-line block ×5, first 2 shown]
	;;#ASMSTART
	v_dot2_f32_f16 v60, v87, v75, v60
	;;#ASMEND
	;;#ASMSTART
	v_dot2_f32_f16 v60, v88, v76, v60
	;;#ASMEND
	;; [unrolled: 3-line block ×12, first 2 shown]
	s_waitcnt lgkmcnt(1)
	;;#ASMSTART
	v_dot2_f32_f16 v65, v91, v71, v65
	;;#ASMEND
	;;#ASMSTART
	v_dot2_f32_f16 v65, v92, v72, v65
	;;#ASMEND
	;; [unrolled: 3-line block ×16, first 2 shown]
	s_waitcnt lgkmcnt(0)
	;;#ASMSTART
	v_dot2_f32_f16 v66, v95, v71, v66
	;;#ASMEND
	;;#ASMSTART
	v_dot2_f32_f16 v66, v96, v72, v66
	;;#ASMEND
	;; [unrolled: 3-line block ×16, first 2 shown]
	ds_read_b128 v[67:70], v46 offset:64
	ds_read_b128 v[71:74], v36 offset:26688
	;; [unrolled: 1-line block ×8, first 2 shown]
	s_waitcnt lgkmcnt(6)
	;;#ASMSTART
	v_dot2_f32_f16 v20, v67, v71, v20
	;;#ASMEND
	;;#ASMSTART
	v_dot2_f32_f16 v20, v68, v72, v20
	;;#ASMEND
	;;#ASMSTART
	v_dot2_f32_f16 v20, v69, v73, v20
	;;#ASMEND
	;;#ASMSTART
	v_dot2_f32_f16 v20, v70, v74, v20
	;;#ASMEND
	s_waitcnt lgkmcnt(5)
	;;#ASMSTART
	v_dot2_f32_f16 v21, v67, v75, v21
	;;#ASMEND
	;;#ASMSTART
	v_dot2_f32_f16 v21, v68, v76, v21
	;;#ASMEND
	;;#ASMSTART
	v_dot2_f32_f16 v21, v69, v77, v21
	;;#ASMEND
	;;#ASMSTART
	v_dot2_f32_f16 v21, v70, v78, v21
	;;#ASMEND
	;; [unrolled: 13-line block ×5, first 2 shown]
	;;#ASMSTART
	v_dot2_f32_f16 v60, v87, v75, v60
	;;#ASMEND
	;;#ASMSTART
	v_dot2_f32_f16 v60, v88, v76, v60
	;;#ASMEND
	;; [unrolled: 3-line block ×12, first 2 shown]
	s_waitcnt lgkmcnt(1)
	;;#ASMSTART
	v_dot2_f32_f16 v65, v91, v71, v65
	;;#ASMEND
	;;#ASMSTART
	v_dot2_f32_f16 v65, v92, v72, v65
	;;#ASMEND
	;; [unrolled: 3-line block ×16, first 2 shown]
	s_waitcnt lgkmcnt(0)
	;;#ASMSTART
	v_dot2_f32_f16 v66, v95, v71, v66
	;;#ASMEND
	;;#ASMSTART
	v_dot2_f32_f16 v66, v96, v72, v66
	;;#ASMEND
	;; [unrolled: 3-line block ×16, first 2 shown]
	ds_read_b128 v[67:70], v46 offset:80
	ds_read_b128 v[71:74], v36 offset:26704
	;; [unrolled: 1-line block ×8, first 2 shown]
	s_waitcnt lgkmcnt(6)
	;;#ASMSTART
	v_dot2_f32_f16 v20, v67, v71, v20
	;;#ASMEND
	;;#ASMSTART
	v_dot2_f32_f16 v20, v68, v72, v20
	;;#ASMEND
	;;#ASMSTART
	v_dot2_f32_f16 v20, v69, v73, v20
	;;#ASMEND
	;;#ASMSTART
	v_dot2_f32_f16 v20, v70, v74, v20
	;;#ASMEND
	s_waitcnt lgkmcnt(5)
	;;#ASMSTART
	v_dot2_f32_f16 v21, v67, v75, v21
	;;#ASMEND
	;;#ASMSTART
	v_dot2_f32_f16 v21, v68, v76, v21
	;;#ASMEND
	;;#ASMSTART
	v_dot2_f32_f16 v21, v69, v77, v21
	;;#ASMEND
	;;#ASMSTART
	v_dot2_f32_f16 v21, v70, v78, v21
	;;#ASMEND
	;; [unrolled: 13-line block ×5, first 2 shown]
	;;#ASMSTART
	v_dot2_f32_f16 v60, v87, v75, v60
	;;#ASMEND
	;;#ASMSTART
	v_dot2_f32_f16 v60, v88, v76, v60
	;;#ASMEND
	;; [unrolled: 3-line block ×12, first 2 shown]
	s_waitcnt lgkmcnt(1)
	;;#ASMSTART
	v_dot2_f32_f16 v65, v91, v71, v65
	;;#ASMEND
	;;#ASMSTART
	v_dot2_f32_f16 v65, v92, v72, v65
	;;#ASMEND
	;; [unrolled: 3-line block ×16, first 2 shown]
	s_waitcnt lgkmcnt(0)
	;;#ASMSTART
	v_dot2_f32_f16 v66, v95, v71, v66
	;;#ASMEND
	;;#ASMSTART
	v_dot2_f32_f16 v66, v96, v72, v66
	;;#ASMEND
	;; [unrolled: 3-line block ×16, first 2 shown]
	ds_read_b128 v[67:70], v46 offset:96
	ds_read_b128 v[71:74], v36 offset:26720
	ds_read_b128 v[75:78], v36 offset:26976
	ds_read_b128 v[79:82], v36 offset:27232
	ds_read_b128 v[83:86], v36 offset:27488
	ds_read_b128 v[87:90], v46 offset:4704
	ds_read_b128 v[91:94], v46 offset:9312
	ds_read_b128 v[95:98], v46 offset:13920
	s_waitcnt lgkmcnt(6)
	;;#ASMSTART
	v_dot2_f32_f16 v20, v67, v71, v20
	;;#ASMEND
	;;#ASMSTART
	v_dot2_f32_f16 v20, v68, v72, v20
	;;#ASMEND
	;;#ASMSTART
	v_dot2_f32_f16 v20, v69, v73, v20
	;;#ASMEND
	;;#ASMSTART
	v_dot2_f32_f16 v20, v70, v74, v20
	;;#ASMEND
	s_waitcnt lgkmcnt(5)
	;;#ASMSTART
	v_dot2_f32_f16 v21, v67, v75, v21
	;;#ASMEND
	;;#ASMSTART
	v_dot2_f32_f16 v21, v68, v76, v21
	;;#ASMEND
	;;#ASMSTART
	v_dot2_f32_f16 v21, v69, v77, v21
	;;#ASMEND
	;;#ASMSTART
	v_dot2_f32_f16 v21, v70, v78, v21
	;;#ASMEND
	;; [unrolled: 13-line block ×5, first 2 shown]
	;;#ASMSTART
	v_dot2_f32_f16 v60, v87, v75, v60
	;;#ASMEND
	;;#ASMSTART
	v_dot2_f32_f16 v60, v88, v76, v60
	;;#ASMEND
	;; [unrolled: 3-line block ×12, first 2 shown]
	s_waitcnt lgkmcnt(1)
	;;#ASMSTART
	v_dot2_f32_f16 v65, v91, v71, v65
	;;#ASMEND
	;;#ASMSTART
	v_dot2_f32_f16 v65, v92, v72, v65
	;;#ASMEND
	;; [unrolled: 3-line block ×16, first 2 shown]
	s_waitcnt lgkmcnt(0)
	;;#ASMSTART
	v_dot2_f32_f16 v66, v95, v71, v66
	;;#ASMEND
	;;#ASMSTART
	v_dot2_f32_f16 v66, v96, v72, v66
	;;#ASMEND
	;; [unrolled: 3-line block ×16, first 2 shown]
	ds_read_b128 v[67:70], v46 offset:112
	ds_read_b128 v[71:74], v36 offset:26736
	;; [unrolled: 1-line block ×4, first 2 shown]
	v_add_co_u32 v87, s9, 0x80, v16
	v_add_co_ci_u32_e64 v83, null, 0, v17, s9
	ds_read_b128 v[16:19], v36 offset:27504
	v_cndmask_b32_e64 v95, 0, v87, s8
	v_cndmask_b32_e64 v96, s13, v83, s8
	ds_read_b128 v[83:86], v46 offset:4720
	ds_read_b128 v[87:90], v46 offset:9328
	ds_read_b128 v[91:94], v46 offset:13936
	s_waitcnt lgkmcnt(6)
	;;#ASMSTART
	v_dot2_f32_f16 v20, v67, v71, v20
	;;#ASMEND
	;;#ASMSTART
	v_dot2_f32_f16 v20, v68, v72, v20
	;;#ASMEND
	;;#ASMSTART
	v_dot2_f32_f16 v20, v69, v73, v20
	;;#ASMEND
	;;#ASMSTART
	v_dot2_f32_f16 v20, v70, v74, v20
	;;#ASMEND
	s_waitcnt lgkmcnt(5)
	;;#ASMSTART
	v_dot2_f32_f16 v21, v67, v75, v21
	;;#ASMEND
	;;#ASMSTART
	v_dot2_f32_f16 v21, v68, v76, v21
	;;#ASMEND
	;;#ASMSTART
	v_dot2_f32_f16 v21, v69, v77, v21
	;;#ASMEND
	;;#ASMSTART
	v_dot2_f32_f16 v21, v70, v78, v21
	;;#ASMEND
	s_waitcnt lgkmcnt(4)
	;;#ASMSTART
	v_dot2_f32_f16 v55, v67, v79, v55
	;;#ASMEND
	;;#ASMSTART
	v_dot2_f32_f16 v55, v68, v80, v55
	;;#ASMEND
	;;#ASMSTART
	v_dot2_f32_f16 v55, v69, v81, v55
	;;#ASMEND
	;;#ASMSTART
	v_dot2_f32_f16 v55, v70, v82, v55
	;;#ASMEND
	s_waitcnt lgkmcnt(3)
	;;#ASMSTART
	v_dot2_f32_f16 v12, v67, v16, v12
	;;#ASMEND
	;;#ASMSTART
	v_dot2_f32_f16 v12, v68, v17, v12
	;;#ASMEND
	;;#ASMSTART
	v_dot2_f32_f16 v12, v69, v18, v12
	;;#ASMEND
	;;#ASMSTART
	v_dot2_f32_f16 v12, v70, v19, v12
	;;#ASMEND
	s_waitcnt lgkmcnt(2)
	;;#ASMSTART
	v_dot2_f32_f16 v63, v83, v71, v63
	;;#ASMEND
	;;#ASMSTART
	v_dot2_f32_f16 v63, v84, v72, v63
	;;#ASMEND
	;;#ASMSTART
	v_dot2_f32_f16 v63, v85, v73, v63
	;;#ASMEND
	;;#ASMSTART
	v_dot2_f32_f16 v63, v86, v74, v63
	;;#ASMEND
	;;#ASMSTART
	v_dot2_f32_f16 v60, v83, v75, v60
	;;#ASMEND
	;;#ASMSTART
	v_dot2_f32_f16 v60, v84, v76, v60
	;;#ASMEND
	;; [unrolled: 3-line block ×12, first 2 shown]
	s_waitcnt lgkmcnt(1)
	;;#ASMSTART
	v_dot2_f32_f16 v65, v87, v71, v65
	;;#ASMEND
	;;#ASMSTART
	v_dot2_f32_f16 v65, v88, v72, v65
	;;#ASMEND
	;; [unrolled: 3-line block ×16, first 2 shown]
	s_waitcnt lgkmcnt(0)
	;;#ASMSTART
	v_dot2_f32_f16 v66, v91, v71, v66
	;;#ASMEND
	;;#ASMSTART
	v_dot2_f32_f16 v66, v92, v72, v66
	;;#ASMEND
	;; [unrolled: 3-line block ×16, first 2 shown]
	s_barrier
	buffer_gl0_inv
	buffer_store_dword v14, off, s[0:3], 0
	buffer_store_dword v14, off, s[0:3], 0 offset:4
	buffer_store_dword v14, off, s[0:3], 0 offset:8
	;; [unrolled: 1-line block ×3, first 2 shown]
	flat_load_dwordx4 v[16:19], v[95:96]
	v_add_co_u32 v7, s8, 0x80, v7
	v_add_co_ci_u32_e64 v8, null, 0, v8, s8
	buffer_store_dword v14, off, s[0:3], 0
	buffer_store_dword v14, off, s[0:3], 0 offset:4
	buffer_store_dword v14, off, s[0:3], 0 offset:8
	;; [unrolled: 1-line block ×3, first 2 shown]
	v_cndmask_b32_e32 v7, 0, v7, vcc_lo
	v_cndmask_b32_e32 v8, s13, v8, vcc_lo
	s_waitcnt vmcnt(0) lgkmcnt(0)
	ds_write_b128 v6, v[16:19]
	flat_load_dwordx4 v[16:19], v[7:8]
	v_add_co_u32 v7, vcc_lo, 0x80, v9
	v_add_co_ci_u32_e64 v8, null, 0, v10, vcc_lo
	buffer_store_dword v14, off, s[0:3], 0
	buffer_store_dword v14, off, s[0:3], 0 offset:4
	buffer_store_dword v14, off, s[0:3], 0 offset:8
	;; [unrolled: 1-line block ×3, first 2 shown]
	v_cndmask_b32_e64 v7, 0, v7, s6
	v_add_co_u32 v11, vcc_lo, 0x80, v11
	v_cndmask_b32_e64 v8, s13, v8, s6
	v_add_co_ci_u32_e64 v15, null, 0, v15, vcc_lo
	v_cmp_gt_i32_e64 s6, s12, v0
	s_waitcnt vmcnt(0) lgkmcnt(0)
	ds_write_b128 v6, v[16:19] offset:4608
	flat_load_dwordx4 v[7:10], v[7:8]
	v_cndmask_b32_e64 v16, s13, v15, s7
	v_cndmask_b32_e64 v15, 0, v11, s7
	buffer_store_dword v14, off, s[0:3], 0
	buffer_store_dword v14, off, s[0:3], 0 offset:4
	buffer_store_dword v14, off, s[0:3], 0 offset:8
	;; [unrolled: 1-line block ×3, first 2 shown]
	s_cselect_b32 s7, -1, 0
	s_waitcnt vmcnt(0) lgkmcnt(0)
	ds_write_b128 v6, v[7:10] offset:9216
	flat_load_dwordx4 v[7:10], v[15:16]
	s_waitcnt vmcnt(0) lgkmcnt(0)
	ds_write_b128 v6, v[7:10] offset:13824
	s_waitcnt lgkmcnt(0)
	s_waitcnt_vscnt null, 0x0
	s_barrier
	buffer_gl0_inv
	ds_read_b128 v[6:9], v46
	ds_read_b128 v[15:18], v36 offset:26752
	ds_read_b128 v[67:70], v36 offset:27008
	;; [unrolled: 1-line block ×7, first 2 shown]
	s_waitcnt lgkmcnt(6)
	;;#ASMSTART
	v_dot2_f32_f16 v20, v6, v15, v20
	;;#ASMEND
	;;#ASMSTART
	v_dot2_f32_f16 v20, v7, v16, v20
	;;#ASMEND
	;;#ASMSTART
	v_dot2_f32_f16 v20, v8, v17, v20
	;;#ASMEND
	;;#ASMSTART
	v_dot2_f32_f16 v20, v9, v18, v20
	;;#ASMEND
	s_waitcnt lgkmcnt(5)
	;;#ASMSTART
	v_dot2_f32_f16 v21, v6, v67, v21
	;;#ASMEND
	;;#ASMSTART
	v_dot2_f32_f16 v21, v7, v68, v21
	;;#ASMEND
	;;#ASMSTART
	v_dot2_f32_f16 v21, v8, v69, v21
	;;#ASMEND
	;;#ASMSTART
	v_dot2_f32_f16 v21, v9, v70, v21
	;;#ASMEND
	;; [unrolled: 13-line block ×5, first 2 shown]
	;;#ASMSTART
	v_dot2_f32_f16 v60, v79, v67, v60
	;;#ASMEND
	;;#ASMSTART
	v_dot2_f32_f16 v60, v80, v68, v60
	;;#ASMEND
	;; [unrolled: 3-line block ×12, first 2 shown]
	s_waitcnt lgkmcnt(1)
	;;#ASMSTART
	v_dot2_f32_f16 v65, v83, v15, v65
	;;#ASMEND
	;;#ASMSTART
	v_dot2_f32_f16 v65, v84, v16, v65
	;;#ASMEND
	;; [unrolled: 3-line block ×16, first 2 shown]
	s_waitcnt lgkmcnt(0)
	;;#ASMSTART
	v_dot2_f32_f16 v66, v87, v15, v66
	;;#ASMEND
	;;#ASMSTART
	v_dot2_f32_f16 v66, v88, v16, v66
	;;#ASMEND
	;; [unrolled: 3-line block ×16, first 2 shown]
	ds_read_b128 v[6:9], v46 offset:16
	ds_read_b128 v[15:18], v36 offset:26768
	;; [unrolled: 1-line block ×8, first 2 shown]
	s_waitcnt lgkmcnt(6)
	;;#ASMSTART
	v_dot2_f32_f16 v20, v6, v15, v20
	;;#ASMEND
	;;#ASMSTART
	v_dot2_f32_f16 v20, v7, v16, v20
	;;#ASMEND
	;;#ASMSTART
	v_dot2_f32_f16 v20, v8, v17, v20
	;;#ASMEND
	;;#ASMSTART
	v_dot2_f32_f16 v20, v9, v18, v20
	;;#ASMEND
	s_waitcnt lgkmcnt(5)
	;;#ASMSTART
	v_dot2_f32_f16 v21, v6, v67, v21
	;;#ASMEND
	;;#ASMSTART
	v_dot2_f32_f16 v21, v7, v68, v21
	;;#ASMEND
	;;#ASMSTART
	v_dot2_f32_f16 v21, v8, v69, v21
	;;#ASMEND
	;;#ASMSTART
	v_dot2_f32_f16 v21, v9, v70, v21
	;;#ASMEND
	;; [unrolled: 13-line block ×5, first 2 shown]
	;;#ASMSTART
	v_dot2_f32_f16 v60, v79, v67, v60
	;;#ASMEND
	;;#ASMSTART
	v_dot2_f32_f16 v60, v80, v68, v60
	;;#ASMEND
	;;#ASMSTART
	v_dot2_f32_f16 v60, v81, v69, v60
	;;#ASMEND
	;;#ASMSTART
	v_dot2_f32_f16 v60, v82, v70, v60
	;;#ASMEND
	;;#ASMSTART
	v_dot2_f32_f16 v57, v79, v71, v57
	;;#ASMEND
	;;#ASMSTART
	v_dot2_f32_f16 v57, v80, v72, v57
	;;#ASMEND
	;;#ASMSTART
	v_dot2_f32_f16 v57, v81, v73, v57
	;;#ASMEND
	;;#ASMSTART
	v_dot2_f32_f16 v57, v82, v74, v57
	;;#ASMEND
	;;#ASMSTART
	v_dot2_f32_f16 v13, v79, v75, v13
	;;#ASMEND
	;;#ASMSTART
	v_dot2_f32_f16 v13, v80, v76, v13
	;;#ASMEND
	;;#ASMSTART
	v_dot2_f32_f16 v13, v81, v77, v13
	;;#ASMEND
	;;#ASMSTART
	v_dot2_f32_f16 v13, v82, v78, v13
	;;#ASMEND
	s_waitcnt lgkmcnt(1)
	;;#ASMSTART
	v_dot2_f32_f16 v65, v83, v15, v65
	;;#ASMEND
	;;#ASMSTART
	v_dot2_f32_f16 v65, v84, v16, v65
	;;#ASMEND
	;; [unrolled: 3-line block ×16, first 2 shown]
	s_waitcnt lgkmcnt(0)
	;;#ASMSTART
	v_dot2_f32_f16 v66, v87, v15, v66
	;;#ASMEND
	;;#ASMSTART
	v_dot2_f32_f16 v66, v88, v16, v66
	;;#ASMEND
	;;#ASMSTART
	v_dot2_f32_f16 v66, v89, v17, v66
	;;#ASMEND
	;;#ASMSTART
	v_dot2_f32_f16 v66, v90, v18, v66
	;;#ASMEND
	;;#ASMSTART
	v_dot2_f32_f16 v64, v87, v67, v64
	;;#ASMEND
	;;#ASMSTART
	v_dot2_f32_f16 v64, v88, v68, v64
	;;#ASMEND
	;;#ASMSTART
	v_dot2_f32_f16 v64, v89, v69, v64
	;;#ASMEND
	;;#ASMSTART
	v_dot2_f32_f16 v64, v90, v70, v64
	;;#ASMEND
	;;#ASMSTART
	v_dot2_f32_f16 v61, v87, v71, v61
	;;#ASMEND
	;;#ASMSTART
	v_dot2_f32_f16 v61, v88, v72, v61
	;;#ASMEND
	;;#ASMSTART
	v_dot2_f32_f16 v61, v89, v73, v61
	;;#ASMEND
	;;#ASMSTART
	v_dot2_f32_f16 v61, v90, v74, v61
	;;#ASMEND
	;;#ASMSTART
	v_dot2_f32_f16 v58, v87, v75, v58
	;;#ASMEND
	;;#ASMSTART
	v_dot2_f32_f16 v58, v88, v76, v58
	;;#ASMEND
	;;#ASMSTART
	v_dot2_f32_f16 v58, v89, v77, v58
	;;#ASMEND
	;;#ASMSTART
	v_dot2_f32_f16 v58, v90, v78, v58
	;;#ASMEND
	ds_read_b128 v[6:9], v46 offset:32
	ds_read_b128 v[15:18], v36 offset:26784
	ds_read_b128 v[67:70], v36 offset:27040
	ds_read_b128 v[71:74], v36 offset:27296
	ds_read_b128 v[75:78], v36 offset:27552
	ds_read_b128 v[79:82], v46 offset:4640
	ds_read_b128 v[83:86], v46 offset:9248
	ds_read_b128 v[87:90], v46 offset:13856
	s_waitcnt lgkmcnt(6)
	;;#ASMSTART
	v_dot2_f32_f16 v20, v6, v15, v20
	;;#ASMEND
	;;#ASMSTART
	v_dot2_f32_f16 v20, v7, v16, v20
	;;#ASMEND
	;;#ASMSTART
	v_dot2_f32_f16 v20, v8, v17, v20
	;;#ASMEND
	;;#ASMSTART
	v_dot2_f32_f16 v20, v9, v18, v20
	;;#ASMEND
	s_waitcnt lgkmcnt(5)
	;;#ASMSTART
	v_dot2_f32_f16 v21, v6, v67, v21
	;;#ASMEND
	;;#ASMSTART
	v_dot2_f32_f16 v21, v7, v68, v21
	;;#ASMEND
	;;#ASMSTART
	v_dot2_f32_f16 v21, v8, v69, v21
	;;#ASMEND
	;;#ASMSTART
	v_dot2_f32_f16 v21, v9, v70, v21
	;;#ASMEND
	s_waitcnt lgkmcnt(4)
	;;#ASMSTART
	v_dot2_f32_f16 v55, v6, v71, v55
	;;#ASMEND
	;;#ASMSTART
	v_dot2_f32_f16 v55, v7, v72, v55
	;;#ASMEND
	;;#ASMSTART
	v_dot2_f32_f16 v55, v8, v73, v55
	;;#ASMEND
	;;#ASMSTART
	v_dot2_f32_f16 v55, v9, v74, v55
	;;#ASMEND
	s_waitcnt lgkmcnt(3)
	;;#ASMSTART
	v_dot2_f32_f16 v12, v6, v75, v12
	;;#ASMEND
	;;#ASMSTART
	v_dot2_f32_f16 v12, v7, v76, v12
	;;#ASMEND
	;;#ASMSTART
	v_dot2_f32_f16 v12, v8, v77, v12
	;;#ASMEND
	;;#ASMSTART
	v_dot2_f32_f16 v12, v9, v78, v12
	;;#ASMEND
	s_waitcnt lgkmcnt(2)
	;;#ASMSTART
	v_dot2_f32_f16 v63, v79, v15, v63
	;;#ASMEND
	;;#ASMSTART
	v_dot2_f32_f16 v63, v80, v16, v63
	;;#ASMEND
	;;#ASMSTART
	v_dot2_f32_f16 v63, v81, v17, v63
	;;#ASMEND
	;;#ASMSTART
	v_dot2_f32_f16 v63, v82, v18, v63
	;;#ASMEND
	;;#ASMSTART
	v_dot2_f32_f16 v60, v79, v67, v60
	;;#ASMEND
	;;#ASMSTART
	v_dot2_f32_f16 v60, v80, v68, v60
	;;#ASMEND
	;; [unrolled: 3-line block ×12, first 2 shown]
	s_waitcnt lgkmcnt(1)
	;;#ASMSTART
	v_dot2_f32_f16 v65, v83, v15, v65
	;;#ASMEND
	;;#ASMSTART
	v_dot2_f32_f16 v65, v84, v16, v65
	;;#ASMEND
	;;#ASMSTART
	v_dot2_f32_f16 v65, v85, v17, v65
	;;#ASMEND
	;;#ASMSTART
	v_dot2_f32_f16 v65, v86, v18, v65
	;;#ASMEND
	;;#ASMSTART
	v_dot2_f32_f16 v62, v83, v67, v62
	;;#ASMEND
	;;#ASMSTART
	v_dot2_f32_f16 v62, v84, v68, v62
	;;#ASMEND
	;;#ASMSTART
	v_dot2_f32_f16 v62, v85, v69, v62
	;;#ASMEND
	;;#ASMSTART
	v_dot2_f32_f16 v62, v86, v70, v62
	;;#ASMEND
	;;#ASMSTART
	v_dot2_f32_f16 v59, v83, v71, v59
	;;#ASMEND
	;;#ASMSTART
	v_dot2_f32_f16 v59, v84, v72, v59
	;;#ASMEND
	;;#ASMSTART
	v_dot2_f32_f16 v59, v85, v73, v59
	;;#ASMEND
	;;#ASMSTART
	v_dot2_f32_f16 v59, v86, v74, v59
	;;#ASMEND
	;;#ASMSTART
	v_dot2_f32_f16 v56, v83, v75, v56
	;;#ASMEND
	;;#ASMSTART
	v_dot2_f32_f16 v56, v84, v76, v56
	;;#ASMEND
	;;#ASMSTART
	v_dot2_f32_f16 v56, v85, v77, v56
	;;#ASMEND
	;;#ASMSTART
	v_dot2_f32_f16 v56, v86, v78, v56
	;;#ASMEND
	s_waitcnt lgkmcnt(0)
	;;#ASMSTART
	v_dot2_f32_f16 v66, v87, v15, v66
	;;#ASMEND
	;;#ASMSTART
	v_dot2_f32_f16 v66, v88, v16, v66
	;;#ASMEND
	;; [unrolled: 3-line block ×16, first 2 shown]
	ds_read_b128 v[6:9], v46 offset:48
	ds_read_b128 v[15:18], v36 offset:26800
	;; [unrolled: 1-line block ×8, first 2 shown]
	s_waitcnt lgkmcnt(6)
	;;#ASMSTART
	v_dot2_f32_f16 v20, v6, v15, v20
	;;#ASMEND
	;;#ASMSTART
	v_dot2_f32_f16 v20, v7, v16, v20
	;;#ASMEND
	;;#ASMSTART
	v_dot2_f32_f16 v20, v8, v17, v20
	;;#ASMEND
	;;#ASMSTART
	v_dot2_f32_f16 v20, v9, v18, v20
	;;#ASMEND
	s_waitcnt lgkmcnt(5)
	;;#ASMSTART
	v_dot2_f32_f16 v21, v6, v67, v21
	;;#ASMEND
	;;#ASMSTART
	v_dot2_f32_f16 v21, v7, v68, v21
	;;#ASMEND
	;;#ASMSTART
	v_dot2_f32_f16 v21, v8, v69, v21
	;;#ASMEND
	;;#ASMSTART
	v_dot2_f32_f16 v21, v9, v70, v21
	;;#ASMEND
	;; [unrolled: 13-line block ×5, first 2 shown]
	;;#ASMSTART
	v_dot2_f32_f16 v60, v79, v67, v60
	;;#ASMEND
	;;#ASMSTART
	v_dot2_f32_f16 v60, v80, v68, v60
	;;#ASMEND
	;; [unrolled: 3-line block ×12, first 2 shown]
	s_waitcnt lgkmcnt(1)
	;;#ASMSTART
	v_dot2_f32_f16 v65, v83, v15, v65
	;;#ASMEND
	;;#ASMSTART
	v_dot2_f32_f16 v65, v84, v16, v65
	;;#ASMEND
	;; [unrolled: 3-line block ×16, first 2 shown]
	s_waitcnt lgkmcnt(0)
	;;#ASMSTART
	v_dot2_f32_f16 v66, v87, v15, v66
	;;#ASMEND
	;;#ASMSTART
	v_dot2_f32_f16 v66, v88, v16, v66
	;;#ASMEND
	;; [unrolled: 3-line block ×16, first 2 shown]
	ds_read_b128 v[6:9], v46 offset:64
	ds_read_b128 v[15:18], v36 offset:26816
	;; [unrolled: 1-line block ×8, first 2 shown]
	s_waitcnt lgkmcnt(6)
	;;#ASMSTART
	v_dot2_f32_f16 v20, v6, v15, v20
	;;#ASMEND
	;;#ASMSTART
	v_dot2_f32_f16 v20, v7, v16, v20
	;;#ASMEND
	;;#ASMSTART
	v_dot2_f32_f16 v20, v8, v17, v20
	;;#ASMEND
	;;#ASMSTART
	v_dot2_f32_f16 v20, v9, v18, v20
	;;#ASMEND
	s_waitcnt lgkmcnt(5)
	;;#ASMSTART
	v_dot2_f32_f16 v21, v6, v67, v21
	;;#ASMEND
	;;#ASMSTART
	v_dot2_f32_f16 v21, v7, v68, v21
	;;#ASMEND
	;;#ASMSTART
	v_dot2_f32_f16 v21, v8, v69, v21
	;;#ASMEND
	;;#ASMSTART
	v_dot2_f32_f16 v21, v9, v70, v21
	;;#ASMEND
	;; [unrolled: 13-line block ×5, first 2 shown]
	;;#ASMSTART
	v_dot2_f32_f16 v60, v79, v67, v60
	;;#ASMEND
	;;#ASMSTART
	v_dot2_f32_f16 v60, v80, v68, v60
	;;#ASMEND
	;; [unrolled: 3-line block ×12, first 2 shown]
	s_waitcnt lgkmcnt(1)
	;;#ASMSTART
	v_dot2_f32_f16 v65, v83, v15, v65
	;;#ASMEND
	;;#ASMSTART
	v_dot2_f32_f16 v65, v84, v16, v65
	;;#ASMEND
	;; [unrolled: 3-line block ×16, first 2 shown]
	s_waitcnt lgkmcnt(0)
	;;#ASMSTART
	v_dot2_f32_f16 v66, v87, v15, v66
	;;#ASMEND
	;;#ASMSTART
	v_dot2_f32_f16 v66, v88, v16, v66
	;;#ASMEND
	;; [unrolled: 3-line block ×16, first 2 shown]
	ds_read_b128 v[6:9], v46 offset:80
	ds_read_b128 v[15:18], v36 offset:26832
	;; [unrolled: 1-line block ×8, first 2 shown]
	s_waitcnt lgkmcnt(6)
	;;#ASMSTART
	v_dot2_f32_f16 v20, v6, v15, v20
	;;#ASMEND
	;;#ASMSTART
	v_dot2_f32_f16 v20, v7, v16, v20
	;;#ASMEND
	;;#ASMSTART
	v_dot2_f32_f16 v20, v8, v17, v20
	;;#ASMEND
	;;#ASMSTART
	v_dot2_f32_f16 v20, v9, v18, v20
	;;#ASMEND
	s_waitcnt lgkmcnt(5)
	;;#ASMSTART
	v_dot2_f32_f16 v21, v6, v67, v21
	;;#ASMEND
	;;#ASMSTART
	v_dot2_f32_f16 v21, v7, v68, v21
	;;#ASMEND
	;;#ASMSTART
	v_dot2_f32_f16 v21, v8, v69, v21
	;;#ASMEND
	;;#ASMSTART
	v_dot2_f32_f16 v21, v9, v70, v21
	;;#ASMEND
	;; [unrolled: 13-line block ×5, first 2 shown]
	;;#ASMSTART
	v_dot2_f32_f16 v60, v79, v67, v60
	;;#ASMEND
	;;#ASMSTART
	v_dot2_f32_f16 v60, v80, v68, v60
	;;#ASMEND
	;; [unrolled: 3-line block ×12, first 2 shown]
	s_waitcnt lgkmcnt(1)
	;;#ASMSTART
	v_dot2_f32_f16 v65, v83, v15, v65
	;;#ASMEND
	;;#ASMSTART
	v_dot2_f32_f16 v65, v84, v16, v65
	;;#ASMEND
	;; [unrolled: 3-line block ×16, first 2 shown]
	s_waitcnt lgkmcnt(0)
	;;#ASMSTART
	v_dot2_f32_f16 v66, v87, v15, v66
	;;#ASMEND
	;;#ASMSTART
	v_dot2_f32_f16 v66, v88, v16, v66
	;;#ASMEND
	;; [unrolled: 3-line block ×16, first 2 shown]
	ds_read_b128 v[6:9], v46 offset:96
	ds_read_b128 v[15:18], v36 offset:26848
	;; [unrolled: 1-line block ×8, first 2 shown]
	s_waitcnt lgkmcnt(6)
	;;#ASMSTART
	v_dot2_f32_f16 v20, v6, v15, v20
	;;#ASMEND
	;;#ASMSTART
	v_dot2_f32_f16 v20, v7, v16, v20
	;;#ASMEND
	;;#ASMSTART
	v_dot2_f32_f16 v20, v8, v17, v20
	;;#ASMEND
	;;#ASMSTART
	v_dot2_f32_f16 v20, v9, v18, v20
	;;#ASMEND
	s_waitcnt lgkmcnt(5)
	;;#ASMSTART
	v_dot2_f32_f16 v21, v6, v67, v21
	;;#ASMEND
	;;#ASMSTART
	v_dot2_f32_f16 v21, v7, v68, v21
	;;#ASMEND
	;;#ASMSTART
	v_dot2_f32_f16 v21, v8, v69, v21
	;;#ASMEND
	;;#ASMSTART
	v_dot2_f32_f16 v21, v9, v70, v21
	;;#ASMEND
	;; [unrolled: 13-line block ×5, first 2 shown]
	;;#ASMSTART
	v_dot2_f32_f16 v60, v79, v67, v60
	;;#ASMEND
	;;#ASMSTART
	v_dot2_f32_f16 v60, v80, v68, v60
	;;#ASMEND
	;; [unrolled: 3-line block ×12, first 2 shown]
	s_waitcnt lgkmcnt(1)
	;;#ASMSTART
	v_dot2_f32_f16 v65, v83, v15, v65
	;;#ASMEND
	;;#ASMSTART
	v_dot2_f32_f16 v65, v84, v16, v65
	;;#ASMEND
	;; [unrolled: 3-line block ×16, first 2 shown]
	s_waitcnt lgkmcnt(0)
	;;#ASMSTART
	v_dot2_f32_f16 v66, v87, v15, v66
	;;#ASMEND
	;;#ASMSTART
	v_dot2_f32_f16 v66, v88, v16, v66
	;;#ASMEND
	;; [unrolled: 3-line block ×16, first 2 shown]
	ds_read_b128 v[15:18], v46 offset:112
	ds_read_b128 v[69:72], v36 offset:26864
	;; [unrolled: 1-line block ×8, first 2 shown]
	s_waitcnt lgkmcnt(6)
	;;#ASMSTART
	v_dot2_f32_f16 v20, v15, v69, v20
	;;#ASMEND
	;;#ASMSTART
	v_dot2_f32_f16 v20, v16, v70, v20
	;;#ASMEND
	;;#ASMSTART
	v_dot2_f32_f16 v20, v17, v71, v20
	;;#ASMEND
	;;#ASMSTART
	v_dot2_f32_f16 v20, v18, v72, v20
	;;#ASMEND
	s_waitcnt lgkmcnt(5)
	;;#ASMSTART
	v_dot2_f32_f16 v21, v15, v73, v21
	;;#ASMEND
	;;#ASMSTART
	v_dot2_f32_f16 v21, v16, v74, v21
	;;#ASMEND
	;;#ASMSTART
	v_dot2_f32_f16 v21, v17, v75, v21
	;;#ASMEND
	;;#ASMSTART
	v_dot2_f32_f16 v21, v18, v76, v21
	;;#ASMEND
	;; [unrolled: 13-line block ×5, first 2 shown]
	;;#ASMSTART
	v_dot2_f32_f16 v60, v85, v73, v60
	;;#ASMEND
	;;#ASMSTART
	v_dot2_f32_f16 v60, v86, v74, v60
	;;#ASMEND
	;;#ASMSTART
	v_dot2_f32_f16 v60, v87, v75, v60
	;;#ASMEND
	;;#ASMSTART
	v_dot2_f32_f16 v60, v88, v76, v60
	;;#ASMEND
	;;#ASMSTART
	v_dot2_f32_f16 v57, v85, v77, v57
	;;#ASMEND
	;;#ASMSTART
	v_dot2_f32_f16 v57, v86, v78, v57
	;;#ASMEND
	;;#ASMSTART
	v_dot2_f32_f16 v57, v87, v79, v57
	;;#ASMEND
	;;#ASMSTART
	v_dot2_f32_f16 v57, v88, v80, v57
	;;#ASMEND
	;;#ASMSTART
	v_dot2_f32_f16 v13, v85, v81, v13
	;;#ASMEND
	;;#ASMSTART
	v_dot2_f32_f16 v13, v86, v82, v13
	;;#ASMEND
	;;#ASMSTART
	v_dot2_f32_f16 v13, v87, v83, v13
	;;#ASMEND
	;;#ASMSTART
	v_dot2_f32_f16 v13, v88, v84, v13
	;;#ASMEND
	s_waitcnt lgkmcnt(1)
	;;#ASMSTART
	v_dot2_f32_f16 v65, v89, v69, v65
	;;#ASMEND
	;;#ASMSTART
	v_dot2_f32_f16 v65, v90, v70, v65
	;;#ASMEND
	;;#ASMSTART
	v_dot2_f32_f16 v65, v91, v71, v65
	;;#ASMEND
	;;#ASMSTART
	v_dot2_f32_f16 v65, v92, v72, v65
	;;#ASMEND
	;;#ASMSTART
	v_dot2_f32_f16 v62, v89, v73, v62
	;;#ASMEND
	;;#ASMSTART
	v_dot2_f32_f16 v62, v90, v74, v62
	;;#ASMEND
	;;#ASMSTART
	v_dot2_f32_f16 v62, v91, v75, v62
	;;#ASMEND
	;;#ASMSTART
	v_dot2_f32_f16 v62, v92, v76, v62
	;;#ASMEND
	;;#ASMSTART
	v_dot2_f32_f16 v59, v89, v77, v59
	;;#ASMEND
	;;#ASMSTART
	v_dot2_f32_f16 v59, v90, v78, v59
	;;#ASMEND
	;;#ASMSTART
	v_dot2_f32_f16 v59, v91, v79, v59
	;;#ASMEND
	;;#ASMSTART
	v_dot2_f32_f16 v59, v92, v80, v59
	;;#ASMEND
	;;#ASMSTART
	v_dot2_f32_f16 v56, v89, v81, v56
	;;#ASMEND
	;;#ASMSTART
	v_dot2_f32_f16 v56, v90, v82, v56
	;;#ASMEND
	;;#ASMSTART
	v_dot2_f32_f16 v56, v91, v83, v56
	;;#ASMEND
	;;#ASMSTART
	v_dot2_f32_f16 v56, v92, v84, v56
	;;#ASMEND
	s_waitcnt lgkmcnt(0)
	;;#ASMSTART
	v_dot2_f32_f16 v66, v93, v69, v66
	;;#ASMEND
	;;#ASMSTART
	v_dot2_f32_f16 v66, v94, v70, v66
	;;#ASMEND
	;; [unrolled: 3-line block ×5, first 2 shown]
	v_mad_u64_u32 v[10:11], null, v45, s22, s[10:11]
	;;#ASMSTART
	v_dot2_f32_f16 v64, v94, v74, v64
	;;#ASMEND
	;;#ASMSTART
	v_dot2_f32_f16 v64, v95, v75, v64
	;;#ASMEND
	v_mov_b32_e32 v9, v5
	;;#ASMSTART
	v_dot2_f32_f16 v64, v96, v76, v64
	;;#ASMEND
	;;#ASMSTART
	v_dot2_f32_f16 v61, v93, v77, v61
	;;#ASMEND
	v_mov_b32_e32 v8, v4
	v_mov_b32_e32 v7, v3
	;; [unrolled: 1-line block ×3, first 2 shown]
	v_cndmask_b32_e64 v68, 0, 1, s7
	;;#ASMSTART
	v_dot2_f32_f16 v61, v94, v78, v61
	;;#ASMEND
	;;#ASMSTART
	v_dot2_f32_f16 v61, v95, v79, v61
	;;#ASMEND
	;; [unrolled: 3-line block ×7, first 2 shown]
	s_and_saveexec_b32 s8, s6
	s_cbranch_execz .LBB56_52
; %bb.49:
	s_andn2_b32 vcc_lo, exec_lo, s7
	s_cbranch_vccnz .LBB56_51
; %bb.50:
	v_add_nc_u32_e32 v6, v10, v0
	v_ashrrev_i32_e32 v7, 31, v6
	v_lshlrev_b64 v[6:7], 1, v[6:7]
	v_add_co_u32 v6, vcc_lo, s46, v6
	v_add_co_ci_u32_e64 v7, null, s47, v7, vcc_lo
	global_load_ushort v6, v[6:7], off
	s_waitcnt vmcnt(0)
	v_cvt_f32_f16_e32 v6, v6
	v_mul_f32_e32 v14, v40, v6
.LBB56_51:
	v_add_f32_e32 v20, v20, v14
	v_max_f32_e32 v7, v2, v2
	v_add_f32_e32 v6, 0x40051340, v20
	v_max_f32_e32 v11, v7, v6
	v_mov_b32_e32 v9, v5
	v_mov_b32_e32 v6, v2
	;; [unrolled: 1-line block ×5, first 2 shown]
.LBB56_52:
	s_or_b32 exec_lo, exec_lo, s8
	v_add_nc_u32_e32 v45, 32, v0
	v_cmp_gt_i32_e64 s7, s12, v45
	s_and_saveexec_b32 s8, s7
	s_cbranch_execz .LBB56_57
; %bb.53:
	v_cmp_ne_u32_e32 vcc_lo, 1, v68
	s_cbranch_vccnz .LBB56_55
; %bb.54:
	v_ashrrev_i32_e32 v11, 31, v10
	v_add_co_u32 v14, vcc_lo, v10, v0
	v_add_co_ci_u32_e64 v15, null, 0, v11, vcc_lo
	v_lshlrev_b64 v[14:15], 1, v[14:15]
	v_add_co_u32 v14, vcc_lo, s46, v14
	v_add_co_ci_u32_e64 v15, null, s47, v15, vcc_lo
	global_load_ushort v11, v[14:15], off offset:64
	s_waitcnt vmcnt(0)
	v_cvt_f32_f16_e32 v11, v11
	v_mul_f32_e32 v11, v40, v11
	s_branch .LBB56_56
.LBB56_55:
	v_mov_b32_e32 v11, 0
.LBB56_56:
	v_add_f32_e32 v63, v63, v11
	v_max_f32_e32 v6, v6, v6
	v_add_f32_e32 v11, 0x40051340, v63
	v_max_f32_e32 v6, v6, v11
.LBB56_57:
	s_or_b32 exec_lo, exec_lo, s8
	v_add_nc_u32_e32 v46, 64, v0
	v_cmp_gt_i32_e64 s8, s12, v46
	s_and_saveexec_b32 s9, s8
	s_cbranch_execz .LBB56_62
; %bb.58:
	v_cmp_ne_u32_e32 vcc_lo, 1, v68
	s_cbranch_vccnz .LBB56_60
; %bb.59:
	v_ashrrev_i32_e32 v11, 31, v10
	v_add_co_u32 v14, vcc_lo, v10, v0
	v_add_co_ci_u32_e64 v15, null, 0, v11, vcc_lo
	v_lshlrev_b64 v[14:15], 1, v[14:15]
	v_add_co_u32 v14, vcc_lo, s46, v14
	v_add_co_ci_u32_e64 v15, null, s47, v15, vcc_lo
	global_load_ushort v11, v[14:15], off offset:128
	s_waitcnt vmcnt(0)
	v_cvt_f32_f16_e32 v11, v11
	v_mul_f32_e32 v11, v40, v11
	s_branch .LBB56_61
.LBB56_60:
	v_mov_b32_e32 v11, 0
.LBB56_61:
	v_add_f32_e32 v65, v65, v11
	v_max_f32_e32 v6, v6, v6
	v_add_f32_e32 v11, 0x40051340, v65
	v_max_f32_e32 v6, v6, v11
.LBB56_62:
	;; [unrolled: 28-line block ×3, first 2 shown]
	s_or_b32 exec_lo, exec_lo, s13
	v_xor_b32_e32 v19, 16, v35
	v_xor_b32_e32 v17, 8, v35
	;; [unrolled: 1-line block ×5, first 2 shown]
	v_cmp_gt_i32_e32 vcc_lo, 32, v19
	v_mul_hi_u32 v18, s28, v44
	v_cndmask_b32_e32 v10, v35, v19, vcc_lo
	v_cmp_gt_i32_e32 vcc_lo, 32, v17
	v_lshlrev_b32_e32 v69, 2, v10
	v_cndmask_b32_e32 v11, v35, v17, vcc_lo
	v_cmp_gt_i32_e32 vcc_lo, 32, v16
	ds_bpermute_b32 v10, v69, v6
	v_max_f32_e32 v6, v6, v6
	v_lshlrev_b32_e32 v70, 2, v11
	v_cndmask_b32_e32 v11, v35, v16, vcc_lo
	v_cmp_gt_i32_e32 vcc_lo, 32, v15
	v_lshlrev_b32_e32 v71, 2, v11
	v_cndmask_b32_e32 v11, v35, v15, vcc_lo
	v_cmp_gt_i32_e32 vcc_lo, 32, v14
	v_lshlrev_b32_e32 v72, 2, v11
	v_cndmask_b32_e32 v11, v35, v14, vcc_lo
	v_lshlrev_b32_e32 v73, 2, v11
	s_waitcnt lgkmcnt(0)
	v_max_f32_e32 v10, v10, v10
	v_max_f32_e32 v6, v6, v10
	ds_bpermute_b32 v10, v70, v6
	s_waitcnt lgkmcnt(0)
	v_max_f32_e32 v10, v10, v10
	v_max_f32_e32 v6, v6, v10
	ds_bpermute_b32 v10, v71, v6
	s_waitcnt lgkmcnt(0)
	v_max_f32_e32 v10, v10, v10
	v_max_f32_e32 v6, v6, v10
	ds_bpermute_b32 v10, v72, v6
	s_waitcnt lgkmcnt(0)
	v_max_f32_e32 v10, v10, v10
	v_max_f32_e32 v6, v6, v10
	v_add_nc_u32_e32 v10, v44, v18
	v_mov_b32_e32 v18, 32
	ds_bpermute_b32 v11, v73, v6
	v_lshrrev_b32_e32 v10, s29, v10
	v_mul_lo_u32 v10, v10, s30
	v_sub_nc_u32_e32 v10, v44, v10
	s_waitcnt lgkmcnt(0)
	v_max_f32_e32 v44, v11, v11
	v_mad_u64_u32 v[10:11], null, v10, s22, s[10:11]
	v_max_f32_e32 v6, v6, v44
	s_and_saveexec_b32 s13, s6
	s_cbranch_execnz .LBB56_71
; %bb.68:
	s_or_b32 exec_lo, exec_lo, s13
	s_and_saveexec_b32 s13, s7
	s_cbranch_execnz .LBB56_75
.LBB56_69:
	s_or_b32 exec_lo, exec_lo, s13
	s_and_saveexec_b32 s13, s8
	s_cbranch_execnz .LBB56_79
.LBB56_70:
	s_or_b32 exec_lo, exec_lo, s13
	s_and_saveexec_b32 s13, s9
	s_cbranch_execnz .LBB56_83
	s_branch .LBB56_87
.LBB56_71:
	v_cmp_ne_u32_e32 vcc_lo, 1, v68
	s_cbranch_vccnz .LBB56_73
; %bb.72:
	v_add_nc_u32_e32 v74, v10, v0
	v_ashrrev_i32_e32 v75, 31, v74
	v_lshlrev_b64 v[74:75], 1, v[74:75]
	v_add_co_u32 v74, vcc_lo, s46, v74
	v_add_co_ci_u32_e64 v75, null, s47, v75, vcc_lo
	global_load_ushort v11, v[74:75], off
	s_waitcnt vmcnt(0)
	v_cvt_f32_f16_e32 v11, v11
	v_mul_f32_e32 v11, v40, v11
	s_branch .LBB56_74
.LBB56_73:
	v_mov_b32_e32 v11, 0
.LBB56_74:
	v_add_f32_e32 v21, v21, v11
	v_max_f32_e32 v7, v7, v7
	v_add_f32_e32 v11, 0x40051340, v21
	v_max_f32_e32 v7, v7, v11
	s_or_b32 exec_lo, exec_lo, s13
	s_and_saveexec_b32 s13, s7
	s_cbranch_execz .LBB56_69
.LBB56_75:
	v_cmp_ne_u32_e32 vcc_lo, 1, v68
	s_cbranch_vccnz .LBB56_77
; %bb.76:
	v_ashrrev_i32_e32 v11, 31, v10
	v_add_co_u32 v74, vcc_lo, v10, v0
	v_add_co_ci_u32_e64 v75, null, 0, v11, vcc_lo
	v_lshlrev_b64 v[74:75], 1, v[74:75]
	v_add_co_u32 v74, vcc_lo, s46, v74
	v_add_co_ci_u32_e64 v75, null, s47, v75, vcc_lo
	global_load_ushort v11, v[74:75], off offset:64
	s_waitcnt vmcnt(0)
	v_cvt_f32_f16_e32 v11, v11
	v_mul_f32_e32 v11, v40, v11
	s_branch .LBB56_78
.LBB56_77:
	v_mov_b32_e32 v11, 0
.LBB56_78:
	v_add_f32_e32 v60, v60, v11
	v_max_f32_e32 v7, v7, v7
	v_add_f32_e32 v11, 0x40051340, v60
	v_max_f32_e32 v7, v7, v11
	s_or_b32 exec_lo, exec_lo, s13
	s_and_saveexec_b32 s13, s8
	s_cbranch_execz .LBB56_70
.LBB56_79:
	v_cmp_ne_u32_e32 vcc_lo, 1, v68
	s_cbranch_vccnz .LBB56_81
; %bb.80:
	v_ashrrev_i32_e32 v11, 31, v10
	v_add_co_u32 v74, vcc_lo, v10, v0
	v_add_co_ci_u32_e64 v75, null, 0, v11, vcc_lo
	v_lshlrev_b64 v[74:75], 1, v[74:75]
	v_add_co_u32 v74, vcc_lo, s46, v74
	v_add_co_ci_u32_e64 v75, null, s47, v75, vcc_lo
	global_load_ushort v11, v[74:75], off offset:128
	s_waitcnt vmcnt(0)
	v_cvt_f32_f16_e32 v11, v11
	v_mul_f32_e32 v11, v40, v11
	s_branch .LBB56_82
.LBB56_81:
	v_mov_b32_e32 v11, 0
.LBB56_82:
	v_add_f32_e32 v62, v62, v11
	v_max_f32_e32 v7, v7, v7
	v_add_f32_e32 v11, 0x40051340, v62
	v_max_f32_e32 v7, v7, v11
	s_or_b32 exec_lo, exec_lo, s13
	s_and_saveexec_b32 s13, s9
	s_cbranch_execz .LBB56_87
.LBB56_83:
	v_cmp_ne_u32_e32 vcc_lo, 1, v68
	s_cbranch_vccnz .LBB56_85
; %bb.84:
	v_ashrrev_i32_e32 v11, 31, v10
	v_add_co_u32 v10, vcc_lo, v10, v0
	v_add_co_ci_u32_e64 v11, null, 0, v11, vcc_lo
	v_lshlrev_b64 v[10:11], 1, v[10:11]
	v_add_co_u32 v10, vcc_lo, s46, v10
	v_add_co_ci_u32_e64 v11, null, s47, v11, vcc_lo
	global_load_ushort v10, v[10:11], off offset:192
	s_waitcnt vmcnt(0)
	v_cvt_f32_f16_e32 v10, v10
	v_mul_f32_e32 v10, v40, v10
	s_branch .LBB56_86
.LBB56_85:
	v_mov_b32_e32 v10, 0
.LBB56_86:
	v_add_f32_e32 v64, v64, v10
	v_max_f32_e32 v7, v7, v7
	v_add_f32_e32 v10, 0x40051340, v64
	v_max_f32_e32 v7, v7, v10
.LBB56_87:
	s_or_b32 exec_lo, exec_lo, s13
	ds_bpermute_b32 v10, v69, v7
	v_max_f32_e32 v7, v7, v7
	v_mul_hi_u32 v11, s28, v43
	s_waitcnt lgkmcnt(0)
	v_max_f32_e32 v10, v10, v10
	v_max_f32_e32 v7, v7, v10
	ds_bpermute_b32 v10, v70, v7
	s_waitcnt lgkmcnt(0)
	v_max_f32_e32 v10, v10, v10
	v_max_f32_e32 v7, v7, v10
	ds_bpermute_b32 v10, v71, v7
	;; [unrolled: 4-line block ×3, first 2 shown]
	s_waitcnt lgkmcnt(0)
	v_max_f32_e32 v10, v10, v10
	v_max_f32_e32 v7, v7, v10
	v_add_nc_u32_e32 v10, v43, v11
	ds_bpermute_b32 v11, v73, v7
	v_lshrrev_b32_e32 v10, s29, v10
	v_mul_lo_u32 v10, v10, s30
	v_sub_nc_u32_e32 v10, v43, v10
	s_waitcnt lgkmcnt(0)
	v_max_f32_e32 v43, v11, v11
	v_mad_u64_u32 v[10:11], null, v10, s22, s[10:11]
	v_max_f32_e32 v7, v7, v43
	s_and_saveexec_b32 s13, s6
	s_cbranch_execnz .LBB56_91
; %bb.88:
	s_or_b32 exec_lo, exec_lo, s13
	s_and_saveexec_b32 s13, s7
	s_cbranch_execnz .LBB56_95
.LBB56_89:
	s_or_b32 exec_lo, exec_lo, s13
	s_and_saveexec_b32 s13, s8
	s_cbranch_execnz .LBB56_99
.LBB56_90:
	s_or_b32 exec_lo, exec_lo, s13
	s_and_saveexec_b32 s13, s9
	s_cbranch_execnz .LBB56_103
	s_branch .LBB56_107
.LBB56_91:
	v_cmp_ne_u32_e32 vcc_lo, 1, v68
	s_cbranch_vccnz .LBB56_93
; %bb.92:
	v_add_nc_u32_e32 v43, v10, v0
	v_ashrrev_i32_e32 v44, 31, v43
	v_lshlrev_b64 v[43:44], 1, v[43:44]
	v_add_co_u32 v43, vcc_lo, s46, v43
	v_add_co_ci_u32_e64 v44, null, s47, v44, vcc_lo
	global_load_ushort v11, v[43:44], off
	s_waitcnt vmcnt(0)
	v_cvt_f32_f16_e32 v11, v11
	v_mul_f32_e32 v11, v40, v11
	s_branch .LBB56_94
.LBB56_93:
	v_mov_b32_e32 v11, 0
.LBB56_94:
	v_add_f32_e32 v55, v55, v11
	v_max_f32_e32 v8, v8, v8
	v_add_f32_e32 v11, 0x40051340, v55
	v_max_f32_e32 v8, v8, v11
	s_or_b32 exec_lo, exec_lo, s13
	s_and_saveexec_b32 s13, s7
	s_cbranch_execz .LBB56_89
.LBB56_95:
	v_cmp_ne_u32_e32 vcc_lo, 1, v68
	s_cbranch_vccnz .LBB56_97
; %bb.96:
	v_ashrrev_i32_e32 v11, 31, v10
	v_add_co_u32 v43, vcc_lo, v10, v0
	v_add_co_ci_u32_e64 v44, null, 0, v11, vcc_lo
	v_lshlrev_b64 v[43:44], 1, v[43:44]
	v_add_co_u32 v43, vcc_lo, s46, v43
	v_add_co_ci_u32_e64 v44, null, s47, v44, vcc_lo
	global_load_ushort v11, v[43:44], off offset:64
	s_waitcnt vmcnt(0)
	v_cvt_f32_f16_e32 v11, v11
	v_mul_f32_e32 v11, v40, v11
	s_branch .LBB56_98
.LBB56_97:
	v_mov_b32_e32 v11, 0
.LBB56_98:
	v_add_f32_e32 v57, v57, v11
	v_max_f32_e32 v8, v8, v8
	v_add_f32_e32 v11, 0x40051340, v57
	v_max_f32_e32 v8, v8, v11
	s_or_b32 exec_lo, exec_lo, s13
	s_and_saveexec_b32 s13, s8
	s_cbranch_execz .LBB56_90
.LBB56_99:
	v_cmp_ne_u32_e32 vcc_lo, 1, v68
	s_cbranch_vccnz .LBB56_101
; %bb.100:
	v_ashrrev_i32_e32 v11, 31, v10
	v_add_co_u32 v43, vcc_lo, v10, v0
	v_add_co_ci_u32_e64 v44, null, 0, v11, vcc_lo
	v_lshlrev_b64 v[43:44], 1, v[43:44]
	v_add_co_u32 v43, vcc_lo, s46, v43
	v_add_co_ci_u32_e64 v44, null, s47, v44, vcc_lo
	global_load_ushort v11, v[43:44], off offset:128
	s_waitcnt vmcnt(0)
	v_cvt_f32_f16_e32 v11, v11
	v_mul_f32_e32 v11, v40, v11
	s_branch .LBB56_102
.LBB56_101:
	v_mov_b32_e32 v11, 0
.LBB56_102:
	v_add_f32_e32 v59, v59, v11
	v_max_f32_e32 v8, v8, v8
	v_add_f32_e32 v11, 0x40051340, v59
	v_max_f32_e32 v8, v8, v11
	s_or_b32 exec_lo, exec_lo, s13
	s_and_saveexec_b32 s13, s9
	s_cbranch_execz .LBB56_107
.LBB56_103:
	v_cmp_ne_u32_e32 vcc_lo, 1, v68
	s_cbranch_vccnz .LBB56_105
; %bb.104:
	v_ashrrev_i32_e32 v11, 31, v10
	v_add_co_u32 v10, vcc_lo, v10, v0
	v_add_co_ci_u32_e64 v11, null, 0, v11, vcc_lo
	v_lshlrev_b64 v[10:11], 1, v[10:11]
	v_add_co_u32 v10, vcc_lo, s46, v10
	v_add_co_ci_u32_e64 v11, null, s47, v11, vcc_lo
	global_load_ushort v10, v[10:11], off offset:192
	s_waitcnt vmcnt(0)
	v_cvt_f32_f16_e32 v10, v10
	v_mul_f32_e32 v10, v40, v10
	s_branch .LBB56_106
.LBB56_105:
	v_mov_b32_e32 v10, 0
.LBB56_106:
	v_add_f32_e32 v61, v61, v10
	v_max_f32_e32 v8, v8, v8
	v_add_f32_e32 v10, 0x40051340, v61
	v_max_f32_e32 v8, v8, v10
.LBB56_107:
	s_or_b32 exec_lo, exec_lo, s13
	ds_bpermute_b32 v10, v69, v8
	v_max_f32_e32 v8, v8, v8
	v_mul_hi_u32 v11, s28, v42
	s_waitcnt lgkmcnt(0)
	v_max_f32_e32 v10, v10, v10
	v_max_f32_e32 v8, v8, v10
	ds_bpermute_b32 v10, v70, v8
	s_waitcnt lgkmcnt(0)
	v_max_f32_e32 v10, v10, v10
	v_max_f32_e32 v8, v8, v10
	ds_bpermute_b32 v10, v71, v8
	;; [unrolled: 4-line block ×3, first 2 shown]
	s_waitcnt lgkmcnt(0)
	v_max_f32_e32 v10, v10, v10
	v_max_f32_e32 v8, v8, v10
	v_add_nc_u32_e32 v10, v42, v11
	ds_bpermute_b32 v11, v73, v8
	v_lshrrev_b32_e32 v10, s29, v10
	v_mul_lo_u32 v10, v10, s30
	v_sub_nc_u32_e32 v10, v42, v10
	s_waitcnt lgkmcnt(0)
	v_max_f32_e32 v42, v11, v11
	v_mad_u64_u32 v[10:11], null, v10, s22, s[10:11]
	v_max_f32_e32 v8, v8, v42
	s_and_saveexec_b32 s13, s6
	s_cbranch_execnz .LBB56_111
; %bb.108:
	s_or_b32 exec_lo, exec_lo, s13
	s_and_saveexec_b32 s6, s7
	s_cbranch_execnz .LBB56_115
.LBB56_109:
	s_or_b32 exec_lo, exec_lo, s6
	s_and_saveexec_b32 s6, s8
	s_cbranch_execnz .LBB56_119
.LBB56_110:
	s_or_b32 exec_lo, exec_lo, s6
	s_and_saveexec_b32 s6, s9
	s_cbranch_execnz .LBB56_123
	s_branch .LBB56_127
.LBB56_111:
	v_cmp_ne_u32_e32 vcc_lo, 1, v68
	s_cbranch_vccnz .LBB56_113
; %bb.112:
	v_add_nc_u32_e32 v42, v10, v0
	v_ashrrev_i32_e32 v43, 31, v42
	v_lshlrev_b64 v[42:43], 1, v[42:43]
	v_add_co_u32 v42, vcc_lo, s46, v42
	v_add_co_ci_u32_e64 v43, null, s47, v43, vcc_lo
	global_load_ushort v11, v[42:43], off
	s_waitcnt vmcnt(0)
	v_cvt_f32_f16_e32 v11, v11
	v_mul_f32_e32 v11, v40, v11
	s_branch .LBB56_114
.LBB56_113:
	v_mov_b32_e32 v11, 0
.LBB56_114:
	v_add_f32_e32 v12, v12, v11
	v_max_f32_e32 v9, v9, v9
	v_add_f32_e32 v11, 0x40051340, v12
	v_max_f32_e32 v9, v9, v11
	s_or_b32 exec_lo, exec_lo, s13
	s_and_saveexec_b32 s6, s7
	s_cbranch_execz .LBB56_109
.LBB56_115:
	v_cmp_ne_u32_e32 vcc_lo, 1, v68
	s_cbranch_vccnz .LBB56_117
; %bb.116:
	v_ashrrev_i32_e32 v11, 31, v10
	v_add_co_u32 v42, vcc_lo, v10, v0
	v_add_co_ci_u32_e64 v43, null, 0, v11, vcc_lo
	v_lshlrev_b64 v[42:43], 1, v[42:43]
	v_add_co_u32 v42, vcc_lo, s46, v42
	v_add_co_ci_u32_e64 v43, null, s47, v43, vcc_lo
	global_load_ushort v11, v[42:43], off offset:64
	s_waitcnt vmcnt(0)
	v_cvt_f32_f16_e32 v11, v11
	v_mul_f32_e32 v11, v40, v11
	s_branch .LBB56_118
.LBB56_117:
	v_mov_b32_e32 v11, 0
.LBB56_118:
	v_add_f32_e32 v13, v13, v11
	v_max_f32_e32 v9, v9, v9
	v_add_f32_e32 v11, 0x40051340, v13
	v_max_f32_e32 v9, v9, v11
	s_or_b32 exec_lo, exec_lo, s6
	s_and_saveexec_b32 s6, s8
	s_cbranch_execz .LBB56_110
.LBB56_119:
	v_cmp_ne_u32_e32 vcc_lo, 1, v68
	s_cbranch_vccnz .LBB56_121
; %bb.120:
	v_ashrrev_i32_e32 v11, 31, v10
	v_add_co_u32 v42, vcc_lo, v10, v0
	v_add_co_ci_u32_e64 v43, null, 0, v11, vcc_lo
	v_lshlrev_b64 v[42:43], 1, v[42:43]
	v_add_co_u32 v42, vcc_lo, s46, v42
	v_add_co_ci_u32_e64 v43, null, s47, v43, vcc_lo
	global_load_ushort v11, v[42:43], off offset:128
	s_waitcnt vmcnt(0)
	v_cvt_f32_f16_e32 v11, v11
	v_mul_f32_e32 v11, v40, v11
	s_branch .LBB56_122
.LBB56_121:
	v_mov_b32_e32 v11, 0
.LBB56_122:
	v_add_f32_e32 v56, v56, v11
	v_max_f32_e32 v9, v9, v9
	v_add_f32_e32 v11, 0x40051340, v56
	v_max_f32_e32 v9, v9, v11
	s_or_b32 exec_lo, exec_lo, s6
	s_and_saveexec_b32 s6, s9
	s_cbranch_execz .LBB56_127
.LBB56_123:
	v_cmp_ne_u32_e32 vcc_lo, 1, v68
	s_cbranch_vccnz .LBB56_125
; %bb.124:
	v_ashrrev_i32_e32 v11, 31, v10
	v_add_co_u32 v10, vcc_lo, v10, v0
	v_add_co_ci_u32_e64 v11, null, 0, v11, vcc_lo
	v_lshlrev_b64 v[10:11], 1, v[10:11]
	v_add_co_u32 v10, vcc_lo, s46, v10
	v_add_co_ci_u32_e64 v11, null, s47, v11, vcc_lo
	global_load_ushort v10, v[10:11], off offset:192
	s_waitcnt vmcnt(0)
	v_cvt_f32_f16_e32 v10, v10
	v_mul_f32_e32 v10, v40, v10
	s_branch .LBB56_126
.LBB56_125:
	v_mov_b32_e32 v10, 0
.LBB56_126:
	v_add_f32_e32 v58, v58, v10
	v_max_f32_e32 v9, v9, v9
	v_add_f32_e32 v10, 0x40051340, v58
	v_max_f32_e32 v9, v9, v10
.LBB56_127:
	s_or_b32 exec_lo, exec_lo, s6
	ds_bpermute_b32 v10, v69, v9
	v_max_f32_e32 v9, v9, v9
	v_cmp_gt_u32_e32 vcc_lo, s12, v0
	v_sub_f32_e32 v2, v2, v6
	s_waitcnt lgkmcnt(0)
	s_barrier
	buffer_gl0_inv
	v_max_f32_e32 v10, v10, v10
	v_max_f32_e32 v9, v9, v10
	ds_bpermute_b32 v10, v70, v9
	s_waitcnt lgkmcnt(0)
	v_max_f32_e32 v10, v10, v10
	v_max_f32_e32 v9, v9, v10
	ds_bpermute_b32 v10, v71, v9
	s_waitcnt lgkmcnt(0)
	;; [unrolled: 4-line block ×4, first 2 shown]
	v_max_f32_e32 v10, v10, v10
	v_max_f32_e32 v9, v9, v10
	v_sub_f32_e32 v10, v20, v6
	v_mul_f32_e32 v11, 0x3fb8aa3b, v10
	v_cmp_ngt_f32_e64 s6, 0xc2ce8ed0, v10
	v_fma_f32 v20, 0x3fb8aa3b, v10, -v11
	v_rndne_f32_e32 v40, v11
	v_fmac_f32_e32 v20, 0x32a5705f, v10
	v_sub_f32_e32 v11, v11, v40
	v_add_f32_e32 v11, v11, v20
	v_cvt_i32_f32_e32 v20, v40
	v_exp_f32_e32 v11, v11
	v_ldexp_f32 v11, v11, v20
	v_sub_f32_e32 v20, v63, v6
	v_cndmask_b32_e64 v11, 0, v11, s6
	v_mul_f32_e32 v40, 0x3fb8aa3b, v20
	v_cmp_ngt_f32_e64 s7, 0xc2ce8ed0, v20
	v_cmp_nlt_f32_e64 s6, 0x42b17218, v10
	v_fma_f32 v42, 0x3fb8aa3b, v20, -v40
	v_rndne_f32_e32 v43, v40
	v_cndmask_b32_e64 v10, 0x7f800000, v11, s6
	v_cmp_gt_u32_e64 s6, s12, v45
	v_fmac_f32_e32 v42, 0x32a5705f, v20
	v_sub_f32_e32 v40, v40, v43
	v_cndmask_b32_e32 v10, 0, v10, vcc_lo
	v_add_f32_e32 v40, v40, v42
	v_cvt_i32_f32_e32 v42, v43
	v_cvt_f16_f32_e32 v11, v10
	v_exp_f32_e32 v40, v40
	v_ldexp_f32 v40, v40, v42
	v_cndmask_b32_e64 v40, 0, v40, s7
	v_cmp_nlt_f32_e64 s7, 0x42b17218, v20
	v_cndmask_b32_e64 v20, 0x7f800000, v40, s7
	v_cmp_gt_u32_e64 s7, s12, v46
	v_cndmask_b32_e64 v20, 0, v20, s6
	v_add_f32_e32 v10, v10, v20
	v_cvt_f16_f32_e32 v44, v20
	v_sub_f32_e32 v20, v65, v6
	v_mul_f32_e32 v40, 0x3fb8aa3b, v20
	v_cmp_ngt_f32_e64 s8, 0xc2ce8ed0, v20
	v_fma_f32 v42, 0x3fb8aa3b, v20, -v40
	v_rndne_f32_e32 v43, v40
	v_fmac_f32_e32 v42, 0x32a5705f, v20
	v_sub_f32_e32 v40, v40, v43
	v_add_f32_e32 v40, v40, v42
	v_cvt_i32_f32_e32 v42, v43
	v_exp_f32_e32 v40, v40
	v_ldexp_f32 v40, v40, v42
	v_cndmask_b32_e64 v40, 0, v40, s8
	v_cmp_nlt_f32_e64 s8, 0x42b17218, v20
	v_cndmask_b32_e64 v20, 0x7f800000, v40, s8
	v_cmp_gt_u32_e64 s8, s12, v67
	v_cndmask_b32_e64 v20, 0, v20, s7
	v_add_f32_e32 v10, v20, v10
	v_cvt_f16_f32_e32 v63, v20
	v_sub_f32_e32 v20, v66, v6
	v_mul_f32_e32 v40, 0x3fb8aa3b, v20
	v_cmp_ngt_f32_e64 s9, 0xc2ce8ed0, v20
	v_fma_f32 v42, 0x3fb8aa3b, v20, -v40
	v_rndne_f32_e32 v43, v40
	v_fmac_f32_e32 v42, 0x32a5705f, v20
	v_sub_f32_e32 v40, v40, v43
	v_add_f32_e32 v40, v40, v42
	v_cvt_i32_f32_e32 v42, v43
	v_exp_f32_e32 v40, v40
	v_ldexp_f32 v40, v40, v42
	v_cndmask_b32_e64 v40, 0, v40, s9
	v_cmp_nlt_f32_e64 s9, 0x42b17218, v20
	v_cndmask_b32_e64 v20, 0x7f800000, v40, s9
	v_cmp_ngt_f32_e64 s9, 0xc2ce8ed0, v2
	v_cndmask_b32_e64 v40, 0, v20, s8
	v_add_f32_e32 v20, v40, v10
	v_cvt_f16_f32_e32 v10, v40
	v_mul_f32_e32 v40, 0x3fb8aa3b, v2
	v_fma_f32 v42, 0x3fb8aa3b, v2, -v40
	v_rndne_f32_e32 v43, v40
	v_fmac_f32_e32 v42, 0x32a5705f, v2
	v_sub_f32_e32 v40, v40, v43
	v_add_f32_e32 v40, v40, v42
	v_cvt_i32_f32_e32 v42, v43
	v_exp_f32_e32 v40, v40
	v_ldexp_f32 v40, v40, v42
	v_cndmask_b32_e64 v40, 0, v40, s9
	v_cmp_nlt_f32_e64 s9, 0x42b17218, v2
	v_cndmask_b32_e64 v2, 0x7f800000, v40, s9
	v_fmac_f32_e32 v20, v25, v2
	v_cvt_f16_f32_e32 v2, v2
	v_mov_b32_e32 v25, 0x10001
	v_mul_u32_u24_sdwa v42, v2, v25 dst_sel:DWORD dst_unused:UNUSED_PAD src0_sel:WORD_0 src1_sel:DWORD
	v_sub_f32_e32 v2, v3, v7
	v_sub_f32_e32 v3, v21, v7
	v_pk_mul_f16 v40, v54, v42
	v_mul_f32_e32 v21, 0x3fb8aa3b, v3
	v_cmp_ngt_f32_e64 s9, 0xc2ce8ed0, v3
	v_fma_f32 v43, 0x3fb8aa3b, v3, -v21
	v_rndne_f32_e32 v54, v21
	v_fmac_f32_e32 v43, 0x32a5705f, v3
	v_sub_f32_e32 v21, v21, v54
	v_add_f32_e32 v21, v21, v43
	v_cvt_i32_f32_e32 v43, v54
	v_exp_f32_e32 v21, v21
	v_ldexp_f32 v21, v21, v43
	v_cndmask_b32_e64 v21, 0, v21, s9
	v_cmp_nlt_f32_e64 s9, 0x42b17218, v3
	v_cndmask_b32_e64 v3, 0x7f800000, v21, s9
	v_sub_f32_e32 v21, v60, v7
	v_cndmask_b32_e32 v3, 0, v3, vcc_lo
	v_mul_f32_e32 v43, 0x3fb8aa3b, v21
	v_cmp_ngt_f32_e64 s9, 0xc2ce8ed0, v21
	v_cvt_f16_f32_e32 v54, v3
	v_fma_f32 v60, 0x3fb8aa3b, v21, -v43
	v_rndne_f32_e32 v65, v43
	v_fmac_f32_e32 v60, 0x32a5705f, v21
	v_sub_f32_e32 v43, v43, v65
	v_add_f32_e32 v43, v43, v60
	v_cvt_i32_f32_e32 v60, v65
	v_exp_f32_e32 v43, v43
	v_ldexp_f32 v43, v43, v60
	v_cndmask_b32_e64 v43, 0, v43, s9
	v_cmp_nlt_f32_e64 s9, 0x42b17218, v21
	v_cndmask_b32_e64 v21, 0x7f800000, v43, s9
	v_cndmask_b32_e64 v21, 0, v21, s6
	v_add_f32_e32 v3, v3, v21
	v_cvt_f16_f32_e32 v65, v21
	v_sub_f32_e32 v21, v62, v7
	v_mul_f32_e32 v43, 0x3fb8aa3b, v21
	v_cmp_ngt_f32_e64 s9, 0xc2ce8ed0, v21
	v_fma_f32 v60, 0x3fb8aa3b, v21, -v43
	v_rndne_f32_e32 v62, v43
	v_fmac_f32_e32 v60, 0x32a5705f, v21
	v_sub_f32_e32 v43, v43, v62
	v_add_f32_e32 v43, v43, v60
	v_cvt_i32_f32_e32 v60, v62
	v_exp_f32_e32 v43, v43
	v_ldexp_f32 v43, v43, v60
	v_cndmask_b32_e64 v43, 0, v43, s9
	v_cmp_nlt_f32_e64 s9, 0x42b17218, v21
	v_cndmask_b32_e64 v21, 0x7f800000, v43, s9
	v_cndmask_b32_e64 v21, 0, v21, s7
	v_add_f32_e32 v3, v21, v3
	v_cvt_f16_f32_e32 v62, v21
	v_sub_f32_e32 v21, v64, v7
	v_mul_f32_e32 v43, 0x3fb8aa3b, v21
	v_cmp_ngt_f32_e64 s9, 0xc2ce8ed0, v21
	v_fma_f32 v60, 0x3fb8aa3b, v21, -v43
	v_rndne_f32_e32 v64, v43
	v_fmac_f32_e32 v60, 0x32a5705f, v21
	v_sub_f32_e32 v43, v43, v64
	v_add_f32_e32 v43, v43, v60
	v_cvt_i32_f32_e32 v60, v64
	v_exp_f32_e32 v43, v43
	v_ldexp_f32 v43, v43, v60
	v_cndmask_b32_e64 v43, 0, v43, s9
	v_cmp_nlt_f32_e64 s9, 0x42b17218, v21
	v_cndmask_b32_e64 v21, 0x7f800000, v43, s9
	v_cmp_ngt_f32_e64 s9, 0xc2ce8ed0, v2
	v_cndmask_b32_e64 v43, 0, v21, s8
	v_add_f32_e32 v21, v43, v3
	v_mul_f32_e32 v3, 0x3fb8aa3b, v2
	v_cvt_f16_f32_e32 v64, v43
	v_fma_f32 v43, 0x3fb8aa3b, v2, -v3
	v_rndne_f32_e32 v60, v3
	v_fmac_f32_e32 v43, 0x32a5705f, v2
	v_sub_f32_e32 v3, v3, v60
	v_add_f32_e32 v3, v3, v43
	v_cvt_i32_f32_e32 v43, v60
	v_exp_f32_e32 v3, v3
	v_ldexp_f32 v3, v3, v43
	v_cndmask_b32_e64 v3, 0, v3, s9
	v_cmp_nlt_f32_e64 s9, 0x42b17218, v2
	v_cndmask_b32_e64 v2, 0x7f800000, v3, s9
	v_sub_f32_e32 v3, v55, v8
	v_fmac_f32_e32 v21, v24, v2
	v_cvt_f16_f32_e32 v2, v2
	v_cmp_ngt_f32_e64 s9, 0xc2ce8ed0, v3
	v_mul_u32_u24_sdwa v60, v2, v25 dst_sel:DWORD dst_unused:UNUSED_PAD src0_sel:WORD_0 src1_sel:DWORD
	v_sub_f32_e32 v2, v4, v8
	v_mul_f32_e32 v4, 0x3fb8aa3b, v3
	v_pk_mul_f16 v43, v53, v60
	v_fma_f32 v24, 0x3fb8aa3b, v3, -v4
	v_rndne_f32_e32 v53, v4
	v_fmac_f32_e32 v24, 0x32a5705f, v3
	v_sub_f32_e32 v4, v4, v53
	v_add_f32_e32 v4, v4, v24
	v_cvt_i32_f32_e32 v24, v53
	v_exp_f32_e32 v4, v4
	v_ldexp_f32 v4, v4, v24
	v_sub_f32_e32 v24, v57, v8
	v_cndmask_b32_e64 v4, 0, v4, s9
	v_mul_f32_e32 v53, 0x3fb8aa3b, v24
	v_cmp_nlt_f32_e64 s9, 0x42b17218, v3
	v_fma_f32 v55, 0x3fb8aa3b, v24, -v53
	v_rndne_f32_e32 v57, v53
	v_cndmask_b32_e64 v3, 0x7f800000, v4, s9
	v_cmp_ngt_f32_e64 s9, 0xc2ce8ed0, v24
	v_fmac_f32_e32 v55, 0x32a5705f, v24
	v_sub_f32_e32 v53, v53, v57
	v_cndmask_b32_e32 v3, 0, v3, vcc_lo
	v_add_f32_e32 v53, v53, v55
	v_cvt_i32_f32_e32 v55, v57
	v_cvt_f16_f32_e32 v4, v3
	v_exp_f32_e32 v53, v53
	v_ldexp_f32 v53, v53, v55
	v_cndmask_b32_e64 v53, 0, v53, s9
	v_cmp_nlt_f32_e64 s9, 0x42b17218, v24
	v_cndmask_b32_e64 v24, 0x7f800000, v53, s9
	v_cndmask_b32_e64 v24, 0, v24, s6
	v_add_f32_e32 v3, v3, v24
	v_cvt_f16_f32_e32 v53, v24
	v_sub_f32_e32 v24, v59, v8
	v_mul_f32_e32 v55, 0x3fb8aa3b, v24
	v_cmp_ngt_f32_e64 s9, 0xc2ce8ed0, v24
	v_fma_f32 v57, 0x3fb8aa3b, v24, -v55
	v_rndne_f32_e32 v59, v55
	v_fmac_f32_e32 v57, 0x32a5705f, v24
	v_sub_f32_e32 v55, v55, v59
	v_add_f32_e32 v55, v55, v57
	v_cvt_i32_f32_e32 v57, v59
	v_exp_f32_e32 v55, v55
	v_ldexp_f32 v55, v55, v57
	v_cndmask_b32_e64 v55, 0, v55, s9
	v_cmp_nlt_f32_e64 s9, 0x42b17218, v24
	v_cndmask_b32_e64 v24, 0x7f800000, v55, s9
	v_cndmask_b32_e64 v24, 0, v24, s7
	v_add_f32_e32 v3, v24, v3
	v_cvt_f16_f32_e32 v55, v24
	v_sub_f32_e32 v24, v61, v8
	v_mul_f32_e32 v57, 0x3fb8aa3b, v24
	v_cmp_ngt_f32_e64 s9, 0xc2ce8ed0, v24
	v_fma_f32 v59, 0x3fb8aa3b, v24, -v57
	v_rndne_f32_e32 v61, v57
	v_fmac_f32_e32 v59, 0x32a5705f, v24
	v_sub_f32_e32 v57, v57, v61
	v_add_f32_e32 v57, v57, v59
	v_cvt_i32_f32_e32 v59, v61
	v_exp_f32_e32 v57, v57
	v_ldexp_f32 v57, v57, v59
	v_cndmask_b32_e64 v57, 0, v57, s9
	v_cmp_nlt_f32_e64 s9, 0x42b17218, v24
	v_cndmask_b32_e64 v24, 0x7f800000, v57, s9
	v_cmp_ngt_f32_e64 s9, 0xc2ce8ed0, v2
	v_cndmask_b32_e64 v57, 0, v24, s8
	v_add_f32_e32 v24, v57, v3
	v_mul_f32_e32 v3, 0x3fb8aa3b, v2
	v_cvt_f16_f32_e32 v59, v57
	v_fma_f32 v57, 0x3fb8aa3b, v2, -v3
	v_rndne_f32_e32 v61, v3
	v_fmac_f32_e32 v57, 0x32a5705f, v2
	v_sub_f32_e32 v3, v3, v61
	v_add_f32_e32 v3, v3, v57
	v_cvt_i32_f32_e32 v57, v61
	v_exp_f32_e32 v3, v3
	v_ldexp_f32 v3, v3, v57
	v_cndmask_b32_e64 v3, 0, v3, s9
	v_cmp_nlt_f32_e64 s9, 0x42b17218, v2
	v_cndmask_b32_e64 v2, 0x7f800000, v3, s9
	v_sub_f32_e32 v3, v12, v9
	v_fmac_f32_e32 v24, v23, v2
	v_cvt_f16_f32_e32 v2, v2
	v_cmp_ngt_f32_e64 s9, 0xc2ce8ed0, v3
	v_mul_u32_u24_sdwa v57, v2, v25 dst_sel:DWORD dst_unused:UNUSED_PAD src0_sel:WORD_0 src1_sel:DWORD
	v_sub_f32_e32 v2, v5, v9
	v_mul_f32_e32 v5, 0x3fb8aa3b, v3
	v_pk_mul_f16 v23, v52, v57
	v_fma_f32 v12, 0x3fb8aa3b, v3, -v5
	v_rndne_f32_e32 v52, v5
	v_fmac_f32_e32 v12, 0x32a5705f, v3
	v_sub_f32_e32 v5, v5, v52
	v_add_f32_e32 v5, v5, v12
	v_cvt_i32_f32_e32 v12, v52
	v_exp_f32_e32 v5, v5
	v_ldexp_f32 v5, v5, v12
	v_cndmask_b32_e64 v5, 0, v5, s9
	v_cmp_nlt_f32_e64 s9, 0x42b17218, v3
	v_cndmask_b32_e64 v3, 0x7f800000, v5, s9
	v_sub_f32_e32 v5, v13, v9
	s_mul_hi_i32 s9, s10, s19
	v_cndmask_b32_e32 v3, 0, v3, vcc_lo
	v_mul_f32_e32 v13, 0x3fb8aa3b, v5
	v_cmp_ngt_f32_e32 vcc_lo, 0xc2ce8ed0, v5
	v_cvt_f16_f32_e32 v12, v3
	v_fma_f32 v52, 0x3fb8aa3b, v5, -v13
	v_rndne_f32_e32 v61, v13
	v_fmac_f32_e32 v52, 0x32a5705f, v5
	v_sub_f32_e32 v13, v13, v61
	v_add_f32_e32 v13, v13, v52
	v_cvt_i32_f32_e32 v52, v61
	v_exp_f32_e32 v13, v13
	v_ldexp_f32 v13, v13, v52
	v_cndmask_b32_e32 v13, 0, v13, vcc_lo
	v_cmp_nlt_f32_e32 vcc_lo, 0x42b17218, v5
	v_cndmask_b32_e32 v5, 0x7f800000, v13, vcc_lo
	v_cndmask_b32_e64 v5, 0, v5, s6
	v_add_f32_e32 v3, v3, v5
	v_cvt_f16_f32_e32 v13, v5
	v_sub_f32_e32 v5, v56, v9
	v_mul_f32_e32 v52, 0x3fb8aa3b, v5
	v_cmp_ngt_f32_e32 vcc_lo, 0xc2ce8ed0, v5
	v_fma_f32 v56, 0x3fb8aa3b, v5, -v52
	v_rndne_f32_e32 v61, v52
	v_fmac_f32_e32 v56, 0x32a5705f, v5
	v_sub_f32_e32 v52, v52, v61
	v_add_f32_e32 v52, v52, v56
	v_cvt_i32_f32_e32 v56, v61
	v_exp_f32_e32 v52, v52
	v_ldexp_f32 v52, v52, v56
	v_cndmask_b32_e32 v52, 0, v52, vcc_lo
	v_cmp_nlt_f32_e32 vcc_lo, 0x42b17218, v5
	v_cndmask_b32_e32 v5, 0x7f800000, v52, vcc_lo
	v_cndmask_b32_e64 v5, 0, v5, s7
	s_mov_b64 s[6:7], src_private_base
	s_lshl_b32 s6, s19, 4
	v_add_f32_e32 v3, v5, v3
	v_cvt_f16_f32_e32 v52, v5
	v_sub_f32_e32 v5, v58, v9
	v_mul_f32_e32 v56, 0x3fb8aa3b, v5
	v_cmp_ngt_f32_e32 vcc_lo, 0xc2ce8ed0, v5
	v_fma_f32 v58, 0x3fb8aa3b, v5, -v56
	v_rndne_f32_e32 v61, v56
	v_fmac_f32_e32 v58, 0x32a5705f, v5
	v_sub_f32_e32 v56, v56, v61
	v_add_f32_e32 v56, v56, v58
	v_cvt_i32_f32_e32 v58, v61
	v_exp_f32_e32 v56, v56
	v_ldexp_f32 v56, v56, v58
	v_cndmask_b32_e32 v56, 0, v56, vcc_lo
	v_cmp_nlt_f32_e32 vcc_lo, 0x42b17218, v5
	v_cndmask_b32_e32 v5, 0x7f800000, v56, vcc_lo
	v_cmp_ngt_f32_e32 vcc_lo, 0xc2ce8ed0, v2
	v_cndmask_b32_e64 v56, 0, v5, s8
	s_mul_i32 s8, s10, s19
	s_lshl_b64 s[8:9], s[8:9], 2
	v_add_f32_e32 v5, v56, v3
	v_mul_f32_e32 v3, 0x3fb8aa3b, v2
	v_cvt_f16_f32_e32 v58, v56
	s_add_u32 s8, s11, s8
	s_addc_u32 s9, s14, s9
	v_fma_f32 v56, 0x3fb8aa3b, v2, -v3
	v_rndne_f32_e32 v61, v3
	v_fmac_f32_e32 v56, 0x32a5705f, v2
	v_sub_f32_e32 v3, v3, v61
	v_add_f32_e32 v3, v3, v56
	v_cvt_i32_f32_e32 v56, v61
	v_exp_f32_e32 v3, v3
	v_ldexp_f32 v3, v3, v56
	v_cndmask_b32_e32 v3, 0, v3, vcc_lo
	v_cmp_nlt_f32_e32 vcc_lo, 0x42b17218, v2
	v_cndmask_b32_e32 v2, 0x7f800000, v3, vcc_lo
	v_pack_b32_f16 v3, v4, v12
	v_lshl_add_u32 v4, v45, 3, v41
	v_fmac_f32_e32 v5, v22, v2
	v_cvt_f16_f32_e32 v2, v2
	v_mul_u32_u24_sdwa v2, v2, v25 dst_sel:DWORD dst_unused:UNUSED_PAD src0_sel:WORD_0 src1_sel:DWORD
	v_pk_mul_f16 v56, v51, v2
	v_pk_mul_f16 v22, v50, v2
	v_add_nc_u32_e32 v50, v41, v37
	v_pack_b32_f16 v2, v11, v54
	ds_write_b64 v50, v[2:3]
	v_pack_b32_f16 v3, v53, v13
	v_pack_b32_f16 v2, v44, v65
	v_lshlrev_b32_e32 v44, 2, v39
	v_mov_b32_e32 v50, 0
	ds_write_b64 v4, v[2:3]
	v_pack_b32_f16 v3, v55, v52
	v_lshl_add_u32 v55, v1, 1, v38
	v_lshl_add_u32 v4, v46, 3, v41
	v_pack_b32_f16 v2, v63, v62
	v_mul_lo_u32 v1, s19, v55
	v_cmp_gt_i32_e32 vcc_lo, s12, v55
	ds_write_b64 v4, v[2:3]
	v_lshl_add_u32 v4, v67, 3, v41
	v_pack_b32_f16 v3, v59, v58
	v_pack_b32_f16 v2, v10, v64
	v_lshl_or_b32 v53, v55, 8, v44
	v_add_nc_u32_e32 v54, 16, v55
	v_add_nc_u32_e32 v10, s6, v1
	;; [unrolled: 1-line block ×3, first 2 shown]
	ds_write_b64 v4, v[2:3]
	v_ashrrev_i32_e32 v2, 31, v1
	buffer_store_dword v50, off, s[0:3], 0
	buffer_store_dword v50, off, s[0:3], 0 offset:4
	buffer_store_dword v50, off, s[0:3], 0 offset:8
	;; [unrolled: 1-line block ×3, first 2 shown]
	v_add_nc_u32_e32 v38, s6, v10
	v_ashrrev_i32_e32 v11, 31, v10
	v_lshl_or_b32 v52, v54, 8, v44
	v_lshlrev_b64 v[12:13], 2, v[1:2]
	v_add_nc_u32_e32 v45, 48, v55
	v_add_nc_u32_e32 v58, s6, v38
	v_ashrrev_i32_e32 v39, 31, v38
	v_lshl_or_b32 v46, v51, 8, v44
	v_add_co_u32 v1, s6, s8, v12
	v_add_co_ci_u32_e64 v2, null, s9, v13, s6
	v_ashrrev_i32_e32 v59, 31, v58
	v_add_co_u32 v1, s6, v1, v44
	v_add_co_ci_u32_e64 v2, null, 0, v2, s6
	v_lshl_or_b32 v41, v45, 8, v44
	v_cndmask_b32_e32 v1, 0, v1, vcc_lo
	v_cndmask_b32_e32 v2, s7, v2, vcc_lo
	v_cmp_gt_i32_e32 vcc_lo, s12, v54
	flat_load_dwordx4 v[1:4], v[1:2]
	s_waitcnt vmcnt(0) lgkmcnt(0)
	ds_write_b128 v53, v[1:4]
	v_lshlrev_b64 v[3:4], 2, v[10:11]
	buffer_store_dword v50, off, s[0:3], 0
	buffer_store_dword v50, off, s[0:3], 0 offset:4
	buffer_store_dword v50, off, s[0:3], 0 offset:8
	;; [unrolled: 1-line block ×3, first 2 shown]
	v_lshlrev_b64 v[10:11], 2, v[38:39]
	v_add_co_u32 v1, s6, s8, v3
	v_add_co_ci_u32_e64 v2, null, s9, v4, s6
	v_add_co_u32 v1, s6, v1, v44
	v_add_co_ci_u32_e64 v2, null, 0, v2, s6
	v_cndmask_b32_e32 v1, 0, v1, vcc_lo
	v_cndmask_b32_e32 v2, s7, v2, vcc_lo
	v_cmp_gt_i32_e32 vcc_lo, s12, v51
	flat_load_dwordx4 v[61:64], v[1:2]
	v_add_co_u32 v1, s6, s8, v10
	v_add_co_ci_u32_e64 v2, null, s9, v11, s6
	v_add_co_u32 v1, s6, v1, v44
	v_add_co_ci_u32_e64 v2, null, 0, v2, s6
	v_cndmask_b32_e32 v1, 0, v1, vcc_lo
	v_cndmask_b32_e32 v2, s7, v2, vcc_lo
	v_cmp_gt_i32_e32 vcc_lo, s12, v45
	s_waitcnt vmcnt(0) lgkmcnt(0)
	ds_write_b128 v52, v[61:64]
	buffer_store_dword v50, off, s[0:3], 0
	buffer_store_dword v50, off, s[0:3], 0 offset:4
	buffer_store_dword v50, off, s[0:3], 0 offset:8
	;; [unrolled: 1-line block ×3, first 2 shown]
	flat_load_dwordx4 v[61:64], v[1:2]
	v_lshlrev_b64 v[1:2], 2, v[58:59]
	v_add_co_u32 v38, s6, s8, v1
	v_add_co_ci_u32_e64 v39, null, s9, v2, s6
	v_add_co_u32 v38, s6, v38, v44
	v_add_co_ci_u32_e64 v39, null, 0, v39, s6
	s_or_b32 s6, s10, 64
	v_cndmask_b32_e32 v38, 0, v38, vcc_lo
	s_mul_hi_i32 s9, s6, s19
	v_cndmask_b32_e32 v39, s7, v39, vcc_lo
	s_mul_i32 s8, s6, s19
	s_lshl_b64 s[8:9], s[8:9], 2
	s_add_u32 s8, s11, s8
	s_addc_u32 s9, s14, s9
	v_add_co_u32 v12, s6, s8, v12
	v_add_co_ci_u32_e64 v13, null, s9, v13, s6
	s_sub_i32 s10, s12, 64
	v_add_co_u32 v12, s6, v12, v44
	v_cmp_gt_i32_e32 vcc_lo, s10, v55
	v_add_co_ci_u32_e64 v13, null, 0, v13, s6
	v_add_co_u32 v3, s6, s8, v3
	v_cndmask_b32_e32 v12, 0, v12, vcc_lo
	v_cndmask_b32_e32 v13, s7, v13, vcc_lo
	v_add_co_ci_u32_e64 v4, null, s9, v4, s6
	v_add_co_u32 v3, s6, v3, v44
	v_cmp_gt_i32_e32 vcc_lo, s10, v54
	v_add_co_ci_u32_e64 v4, null, 0, v4, s6
	v_cndmask_b32_e32 v3, 0, v3, vcc_lo
	v_cndmask_b32_e32 v4, s7, v4, vcc_lo
	v_cmp_gt_i32_e32 vcc_lo, s10, v51
	s_waitcnt vmcnt(0) lgkmcnt(0)
	ds_write_b128 v46, v[61:64]
	buffer_store_dword v50, off, s[0:3], 0
	buffer_store_dword v50, off, s[0:3], 0 offset:4
	buffer_store_dword v50, off, s[0:3], 0 offset:8
	;; [unrolled: 1-line block ×3, first 2 shown]
	flat_load_dwordx4 v[61:64], v[38:39]
	s_waitcnt vmcnt(0) lgkmcnt(0)
	ds_write_b128 v41, v[61:64]
	s_waitcnt lgkmcnt(0)
	s_waitcnt_vscnt null, 0x0
	s_barrier
	buffer_gl0_inv
	ds_read2_b64 v[61:64], v37 offset1:32
	ds_read_b128 v[65:68], v36 offset:18432
	ds_read_b128 v[69:72], v36 offset:18448
	;; [unrolled: 1-line block ×4, first 2 shown]
	s_waitcnt lgkmcnt(3)
	v_mul_u32_u24_sdwa v38, v65, v25 dst_sel:DWORD dst_unused:UNUSED_PAD src0_sel:WORD_0 src1_sel:DWORD
	v_mul_u32_u24_sdwa v39, v65, v25 dst_sel:DWORD dst_unused:UNUSED_PAD src0_sel:WORD_1 src1_sel:DWORD
	v_mul_u32_u24_sdwa v58, v66, v25 dst_sel:DWORD dst_unused:UNUSED_PAD src0_sel:WORD_0 src1_sel:DWORD
	v_mul_u32_u24_sdwa v59, v66, v25 dst_sel:DWORD dst_unused:UNUSED_PAD src0_sel:WORD_1 src1_sel:DWORD
	v_pk_mul_f16 v65, v61, v38
	v_pk_fma_f16 v38, v62, v38, v40
	v_pk_fma_f16 v23, v62, v58, v23
	;; [unrolled: 1-line block ×3, first 2 shown]
	v_mul_u32_u24_sdwa v40, v67, v25 dst_sel:DWORD dst_unused:UNUSED_PAD src0_sel:WORD_0 src1_sel:DWORD
	v_pk_fma_f16 v42, v49, v42, v65
	v_pk_mul_f16 v49, v61, v39
	v_pk_fma_f16 v39, v62, v39, v43
	v_mul_u32_u24_sdwa v43, v67, v25 dst_sel:DWORD dst_unused:UNUSED_PAD src0_sel:WORD_1 src1_sel:DWORD
	v_pk_fma_f16 v38, v64, v40, v38
	v_pk_fma_f16 v42, v63, v40, v42
	;; [unrolled: 1-line block ×3, first 2 shown]
	v_pk_mul_f16 v49, v61, v58
	v_pk_fma_f16 v39, v64, v43, v39
	s_waitcnt lgkmcnt(2)
	v_mul_u32_u24_sdwa v40, v69, v25 dst_sel:DWORD dst_unused:UNUSED_PAD src0_sel:WORD_0 src1_sel:DWORD
	v_mul_u32_u24_sdwa v60, v70, v25 dst_sel:DWORD dst_unused:UNUSED_PAD src0_sel:WORD_0 src1_sel:DWORD
	v_pk_fma_f16 v48, v63, v43, v48
	v_pk_fma_f16 v47, v47, v57, v49
	;; [unrolled: 1-line block ×3, first 2 shown]
	v_mul_u32_u24_sdwa v56, v68, v25 dst_sel:DWORD dst_unused:UNUSED_PAD src0_sel:WORD_0 src1_sel:DWORD
	v_mul_u32_u24_sdwa v57, v68, v25 dst_sel:DWORD dst_unused:UNUSED_PAD src0_sel:WORD_1 src1_sel:DWORD
	v_mul_u32_u24_sdwa v43, v69, v25 dst_sel:DWORD dst_unused:UNUSED_PAD src0_sel:WORD_1 src1_sel:DWORD
	;; [unrolled: 1-line block ×3, first 2 shown]
	v_pk_fma_f16 v47, v63, v56, v47
	v_pk_fma_f16 v49, v63, v57, v49
	;; [unrolled: 1-line block ×4, first 2 shown]
	ds_read2_b64 v[56:59], v37 offset0:64 offset1:96
	s_waitcnt lgkmcnt(0)
	v_pk_fma_f16 v42, v56, v40, v42
	v_pk_fma_f16 v48, v56, v43, v48
	;; [unrolled: 1-line block ×8, first 2 shown]
	v_mul_u32_u24_sdwa v40, v71, v25 dst_sel:DWORD dst_unused:UNUSED_PAD src0_sel:WORD_0 src1_sel:DWORD
	v_mul_u32_u24_sdwa v43, v71, v25 dst_sel:DWORD dst_unused:UNUSED_PAD src0_sel:WORD_1 src1_sel:DWORD
	v_mul_u32_u24_sdwa v56, v72, v25 dst_sel:DWORD dst_unused:UNUSED_PAD src0_sel:WORD_0 src1_sel:DWORD
	v_mul_u32_u24_sdwa v57, v72, v25 dst_sel:DWORD dst_unused:UNUSED_PAD src0_sel:WORD_1 src1_sel:DWORD
	v_mul_u32_u24_sdwa v60, v74, v25 dst_sel:DWORD dst_unused:UNUSED_PAD src0_sel:WORD_0 src1_sel:DWORD
	v_pk_fma_f16 v42, v58, v40, v42
	v_pk_fma_f16 v48, v58, v43, v48
	;; [unrolled: 1-line block ×8, first 2 shown]
	ds_read2_b64 v[56:59], v37 offset0:128 offset1:160
	v_mul_u32_u24_sdwa v40, v73, v25 dst_sel:DWORD dst_unused:UNUSED_PAD src0_sel:WORD_0 src1_sel:DWORD
	v_mul_u32_u24_sdwa v43, v73, v25 dst_sel:DWORD dst_unused:UNUSED_PAD src0_sel:WORD_1 src1_sel:DWORD
	v_mul_u32_u24_sdwa v61, v74, v25 dst_sel:DWORD dst_unused:UNUSED_PAD src0_sel:WORD_1 src1_sel:DWORD
	s_waitcnt lgkmcnt(0)
	v_pk_fma_f16 v42, v56, v40, v42
	v_pk_fma_f16 v48, v56, v43, v48
	v_pk_fma_f16 v47, v56, v60, v47
	v_pk_fma_f16 v49, v56, v61, v49
	v_pk_fma_f16 v38, v57, v40, v38
	v_pk_fma_f16 v39, v57, v43, v39
	v_pk_fma_f16 v23, v57, v60, v23
	v_pk_fma_f16 v22, v57, v61, v22
	v_mul_u32_u24_sdwa v40, v75, v25 dst_sel:DWORD dst_unused:UNUSED_PAD src0_sel:WORD_0 src1_sel:DWORD
	v_mul_u32_u24_sdwa v43, v75, v25 dst_sel:DWORD dst_unused:UNUSED_PAD src0_sel:WORD_1 src1_sel:DWORD
	v_mul_u32_u24_sdwa v56, v76, v25 dst_sel:DWORD dst_unused:UNUSED_PAD src0_sel:WORD_0 src1_sel:DWORD
	v_mul_u32_u24_sdwa v57, v76, v25 dst_sel:DWORD dst_unused:UNUSED_PAD src0_sel:WORD_1 src1_sel:DWORD
	v_mul_u32_u24_sdwa v60, v78, v25 dst_sel:DWORD dst_unused:UNUSED_PAD src0_sel:WORD_0 src1_sel:DWORD
	v_pk_fma_f16 v42, v58, v40, v42
	v_pk_fma_f16 v48, v58, v43, v48
	v_pk_fma_f16 v47, v58, v56, v47
	v_pk_fma_f16 v49, v58, v57, v49
	v_pk_fma_f16 v38, v59, v40, v38
	v_pk_fma_f16 v39, v59, v43, v39
	v_pk_fma_f16 v23, v59, v56, v23
	v_pk_fma_f16 v22, v59, v57, v22
	ds_read2_b64 v[56:59], v37 offset0:192 offset1:224
	v_mul_u32_u24_sdwa v40, v77, v25 dst_sel:DWORD dst_unused:UNUSED_PAD src0_sel:WORD_0 src1_sel:DWORD
	v_mul_u32_u24_sdwa v43, v77, v25 dst_sel:DWORD dst_unused:UNUSED_PAD src0_sel:WORD_1 src1_sel:DWORD
	v_mul_u32_u24_sdwa v61, v78, v25 dst_sel:DWORD dst_unused:UNUSED_PAD src0_sel:WORD_1 src1_sel:DWORD
	s_waitcnt lgkmcnt(0)
	v_pk_fma_f16 v42, v56, v40, v42
	v_pk_fma_f16 v38, v57, v40, v38
	v_mul_u32_u24_sdwa v40, v79, v25 dst_sel:DWORD dst_unused:UNUSED_PAD src0_sel:WORD_0 src1_sel:DWORD
	v_pk_fma_f16 v48, v56, v43, v48
	v_pk_fma_f16 v47, v56, v60, v47
	;; [unrolled: 1-line block ×6, first 2 shown]
	v_mul_u32_u24_sdwa v43, v79, v25 dst_sel:DWORD dst_unused:UNUSED_PAD src0_sel:WORD_1 src1_sel:DWORD
	v_mul_u32_u24_sdwa v56, v80, v25 dst_sel:DWORD dst_unused:UNUSED_PAD src0_sel:WORD_0 src1_sel:DWORD
	v_mul_u32_u24_sdwa v57, v80, v25 dst_sel:DWORD dst_unused:UNUSED_PAD src0_sel:WORD_1 src1_sel:DWORD
	v_pk_fma_f16 v64, v58, v40, v42
	v_add_nc_u32_e32 v42, 0x800, v37
	v_pk_fma_f16 v48, v58, v43, v48
	v_pk_fma_f16 v47, v58, v56, v47
	;; [unrolled: 1-line block ×7, first 2 shown]
	ds_read2_b64 v[56:59], v42 offset1:32
	ds_read_b128 v[60:63], v36 offset:18496
	s_waitcnt lgkmcnt(0)
	v_mul_u32_u24_sdwa v40, v60, v25 dst_sel:DWORD dst_unused:UNUSED_PAD src0_sel:WORD_0 src1_sel:DWORD
	v_mul_u32_u24_sdwa v43, v60, v25 dst_sel:DWORD dst_unused:UNUSED_PAD src0_sel:WORD_1 src1_sel:DWORD
	v_mul_u32_u24_sdwa v60, v61, v25 dst_sel:DWORD dst_unused:UNUSED_PAD src0_sel:WORD_0 src1_sel:DWORD
	v_mul_u32_u24_sdwa v61, v61, v25 dst_sel:DWORD dst_unused:UNUSED_PAD src0_sel:WORD_1 src1_sel:DWORD
	v_pk_fma_f16 v64, v56, v40, v64
	v_pk_fma_f16 v48, v56, v43, v48
	v_pk_fma_f16 v47, v56, v60, v47
	v_pk_fma_f16 v49, v56, v61, v49
	v_pk_fma_f16 v38, v57, v40, v38
	v_pk_fma_f16 v39, v57, v43, v39
	v_pk_fma_f16 v23, v57, v60, v23
	v_pk_fma_f16 v22, v57, v61, v22
	v_mul_u32_u24_sdwa v40, v62, v25 dst_sel:DWORD dst_unused:UNUSED_PAD src0_sel:WORD_0 src1_sel:DWORD
	v_mul_u32_u24_sdwa v43, v62, v25 dst_sel:DWORD dst_unused:UNUSED_PAD src0_sel:WORD_1 src1_sel:DWORD
	v_mul_u32_u24_sdwa v56, v63, v25 dst_sel:DWORD dst_unused:UNUSED_PAD src0_sel:WORD_0 src1_sel:DWORD
	v_mul_u32_u24_sdwa v57, v63, v25 dst_sel:DWORD dst_unused:UNUSED_PAD src0_sel:WORD_1 src1_sel:DWORD
	v_pk_fma_f16 v64, v58, v40, v64
	v_pk_fma_f16 v48, v58, v43, v48
	v_pk_fma_f16 v47, v58, v56, v47
	v_pk_fma_f16 v49, v58, v57, v49
	v_pk_fma_f16 v38, v59, v40, v38
	v_pk_fma_f16 v39, v59, v43, v39
	v_pk_fma_f16 v23, v59, v56, v23
	v_pk_fma_f16 v22, v59, v57, v22
	ds_read2_b64 v[56:59], v42 offset0:64 offset1:96
	ds_read_b128 v[60:63], v36 offset:18512
	s_waitcnt lgkmcnt(0)
	v_mul_u32_u24_sdwa v40, v60, v25 dst_sel:DWORD dst_unused:UNUSED_PAD src0_sel:WORD_0 src1_sel:DWORD
	v_mul_u32_u24_sdwa v43, v60, v25 dst_sel:DWORD dst_unused:UNUSED_PAD src0_sel:WORD_1 src1_sel:DWORD
	v_mul_u32_u24_sdwa v60, v61, v25 dst_sel:DWORD dst_unused:UNUSED_PAD src0_sel:WORD_0 src1_sel:DWORD
	v_mul_u32_u24_sdwa v61, v61, v25 dst_sel:DWORD dst_unused:UNUSED_PAD src0_sel:WORD_1 src1_sel:DWORD
	v_pk_fma_f16 v64, v56, v40, v64
	v_pk_fma_f16 v48, v56, v43, v48
	v_pk_fma_f16 v47, v56, v60, v47
	v_pk_fma_f16 v49, v56, v61, v49
	v_pk_fma_f16 v38, v57, v40, v38
	v_pk_fma_f16 v39, v57, v43, v39
	v_pk_fma_f16 v23, v57, v60, v23
	v_pk_fma_f16 v22, v57, v61, v22
	v_mul_u32_u24_sdwa v40, v62, v25 dst_sel:DWORD dst_unused:UNUSED_PAD src0_sel:WORD_0 src1_sel:DWORD
	v_mul_u32_u24_sdwa v43, v62, v25 dst_sel:DWORD dst_unused:UNUSED_PAD src0_sel:WORD_1 src1_sel:DWORD
	v_mul_u32_u24_sdwa v56, v63, v25 dst_sel:DWORD dst_unused:UNUSED_PAD src0_sel:WORD_0 src1_sel:DWORD
	v_mul_u32_u24_sdwa v57, v63, v25 dst_sel:DWORD dst_unused:UNUSED_PAD src0_sel:WORD_1 src1_sel:DWORD
	v_pk_fma_f16 v64, v58, v40, v64
	v_pk_fma_f16 v48, v58, v43, v48
	v_pk_fma_f16 v47, v58, v56, v47
	v_pk_fma_f16 v49, v58, v57, v49
	v_pk_fma_f16 v38, v59, v40, v38
	v_pk_fma_f16 v39, v59, v43, v39
	v_pk_fma_f16 v23, v59, v56, v23
	v_pk_fma_f16 v22, v59, v57, v22
	ds_read2_b64 v[56:59], v42 offset0:128 offset1:160
	;; [unrolled: 27-line block ×3, first 2 shown]
	ds_read_b128 v[60:63], v36 offset:18544
	s_waitcnt lgkmcnt(0)
	v_mul_u32_u24_sdwa v43, v60, v25 dst_sel:DWORD dst_unused:UNUSED_PAD src0_sel:WORD_1 src1_sel:DWORD
	v_mul_u32_u24_sdwa v40, v60, v25 dst_sel:DWORD dst_unused:UNUSED_PAD src0_sel:WORD_0 src1_sel:DWORD
	v_mul_u32_u24_sdwa v60, v61, v25 dst_sel:DWORD dst_unused:UNUSED_PAD src0_sel:WORD_0 src1_sel:DWORD
	v_mul_u32_u24_sdwa v61, v61, v25 dst_sel:DWORD dst_unused:UNUSED_PAD src0_sel:WORD_1 src1_sel:DWORD
	v_pk_fma_f16 v48, v56, v43, v48
	v_pk_fma_f16 v39, v57, v43, v39
	v_mul_u32_u24_sdwa v43, v62, v25 dst_sel:DWORD dst_unused:UNUSED_PAD src0_sel:WORD_1 src1_sel:DWORD
	v_pk_fma_f16 v64, v56, v40, v64
	v_pk_fma_f16 v47, v56, v60, v47
	;; [unrolled: 1-line block ×6, first 2 shown]
	v_mul_u32_u24_sdwa v40, v62, v25 dst_sel:DWORD dst_unused:UNUSED_PAD src0_sel:WORD_0 src1_sel:DWORD
	v_mul_u32_u24_sdwa v56, v63, v25 dst_sel:DWORD dst_unused:UNUSED_PAD src0_sel:WORD_0 src1_sel:DWORD
	v_mul_u32_u24_sdwa v57, v63, v25 dst_sel:DWORD dst_unused:UNUSED_PAD src0_sel:WORD_1 src1_sel:DWORD
	v_pk_fma_f16 v48, v58, v43, v48
	v_pk_fma_f16 v39, v59, v43, v39
	v_add_nc_u32_e32 v43, 0x1000, v37
	v_pk_fma_f16 v64, v58, v40, v64
	v_pk_fma_f16 v47, v58, v56, v47
	;; [unrolled: 1-line block ×6, first 2 shown]
	ds_read2_b64 v[56:59], v43 offset1:32
	ds_read_b128 v[60:63], v36 offset:18560
	s_waitcnt lgkmcnt(0)
	v_mul_u32_u24_sdwa v40, v60, v25 dst_sel:DWORD dst_unused:UNUSED_PAD src0_sel:WORD_0 src1_sel:DWORD
	v_mul_u32_u24_sdwa v60, v60, v25 dst_sel:DWORD dst_unused:UNUSED_PAD src0_sel:WORD_1 src1_sel:DWORD
	v_mul_u32_u24_sdwa v65, v61, v25 dst_sel:DWORD dst_unused:UNUSED_PAD src0_sel:WORD_0 src1_sel:DWORD
	v_mul_u32_u24_sdwa v61, v61, v25 dst_sel:DWORD dst_unused:UNUSED_PAD src0_sel:WORD_1 src1_sel:DWORD
	v_pk_fma_f16 v64, v56, v40, v64
	v_pk_fma_f16 v48, v56, v60, v48
	v_pk_fma_f16 v47, v56, v65, v47
	v_pk_fma_f16 v49, v56, v61, v49
	v_pk_fma_f16 v38, v57, v40, v38
	v_pk_fma_f16 v39, v57, v60, v39
	v_pk_fma_f16 v23, v57, v65, v23
	v_pk_fma_f16 v22, v57, v61, v22
	v_mul_u32_u24_sdwa v40, v62, v25 dst_sel:DWORD dst_unused:UNUSED_PAD src0_sel:WORD_0 src1_sel:DWORD
	v_mul_u32_u24_sdwa v56, v62, v25 dst_sel:DWORD dst_unused:UNUSED_PAD src0_sel:WORD_1 src1_sel:DWORD
	v_mul_u32_u24_sdwa v57, v63, v25 dst_sel:DWORD dst_unused:UNUSED_PAD src0_sel:WORD_0 src1_sel:DWORD
	v_mul_u32_u24_sdwa v60, v63, v25 dst_sel:DWORD dst_unused:UNUSED_PAD src0_sel:WORD_1 src1_sel:DWORD
	v_pk_fma_f16 v64, v58, v40, v64
	v_pk_fma_f16 v48, v58, v56, v48
	v_pk_fma_f16 v47, v58, v57, v47
	v_pk_fma_f16 v49, v58, v60, v49
	v_pk_fma_f16 v38, v59, v40, v38
	v_pk_fma_f16 v39, v59, v56, v39
	v_pk_fma_f16 v23, v59, v57, v23
	v_pk_fma_f16 v22, v59, v60, v22
	ds_read2_b64 v[56:59], v43 offset0:64 offset1:96
	ds_read_b128 v[60:63], v36 offset:18576
	s_waitcnt lgkmcnt(0)
	v_mul_u32_u24_sdwa v40, v60, v25 dst_sel:DWORD dst_unused:UNUSED_PAD src0_sel:WORD_0 src1_sel:DWORD
	v_mul_u32_u24_sdwa v60, v60, v25 dst_sel:DWORD dst_unused:UNUSED_PAD src0_sel:WORD_1 src1_sel:DWORD
	v_mul_u32_u24_sdwa v65, v61, v25 dst_sel:DWORD dst_unused:UNUSED_PAD src0_sel:WORD_0 src1_sel:DWORD
	v_mul_u32_u24_sdwa v61, v61, v25 dst_sel:DWORD dst_unused:UNUSED_PAD src0_sel:WORD_1 src1_sel:DWORD
	v_pk_fma_f16 v64, v56, v40, v64
	v_pk_fma_f16 v48, v56, v60, v48
	v_pk_fma_f16 v47, v56, v65, v47
	v_pk_fma_f16 v49, v56, v61, v49
	v_pk_fma_f16 v38, v57, v40, v38
	v_pk_fma_f16 v39, v57, v60, v39
	v_pk_fma_f16 v23, v57, v65, v23
	v_pk_fma_f16 v22, v57, v61, v22
	v_mul_u32_u24_sdwa v40, v62, v25 dst_sel:DWORD dst_unused:UNUSED_PAD src0_sel:WORD_0 src1_sel:DWORD
	v_mul_u32_u24_sdwa v56, v62, v25 dst_sel:DWORD dst_unused:UNUSED_PAD src0_sel:WORD_1 src1_sel:DWORD
	v_mul_u32_u24_sdwa v57, v63, v25 dst_sel:DWORD dst_unused:UNUSED_PAD src0_sel:WORD_0 src1_sel:DWORD
	v_mul_u32_u24_sdwa v60, v63, v25 dst_sel:DWORD dst_unused:UNUSED_PAD src0_sel:WORD_1 src1_sel:DWORD
	v_pk_fma_f16 v64, v58, v40, v64
	v_pk_fma_f16 v48, v58, v56, v48
	v_pk_fma_f16 v47, v58, v57, v47
	v_pk_fma_f16 v49, v58, v60, v49
	v_pk_fma_f16 v38, v59, v40, v38
	v_pk_fma_f16 v39, v59, v56, v39
	v_pk_fma_f16 v23, v59, v57, v23
	v_pk_fma_f16 v22, v59, v60, v22
	ds_read2_b64 v[56:59], v43 offset0:128 offset1:160
	;; [unrolled: 27-line block ×3, first 2 shown]
	ds_read_b128 v[60:63], v36 offset:18608
	s_waitcnt lgkmcnt(0)
	v_mul_u32_u24_sdwa v40, v60, v25 dst_sel:DWORD dst_unused:UNUSED_PAD src0_sel:WORD_0 src1_sel:DWORD
	v_mul_u32_u24_sdwa v60, v60, v25 dst_sel:DWORD dst_unused:UNUSED_PAD src0_sel:WORD_1 src1_sel:DWORD
	v_mul_u32_u24_sdwa v65, v61, v25 dst_sel:DWORD dst_unused:UNUSED_PAD src0_sel:WORD_0 src1_sel:DWORD
	v_mul_u32_u24_sdwa v61, v61, v25 dst_sel:DWORD dst_unused:UNUSED_PAD src0_sel:WORD_1 src1_sel:DWORD
	v_pk_fma_f16 v64, v56, v40, v64
	v_pk_fma_f16 v38, v57, v40, v38
	v_mul_u32_u24_sdwa v40, v62, v25 dst_sel:DWORD dst_unused:UNUSED_PAD src0_sel:WORD_0 src1_sel:DWORD
	v_pk_fma_f16 v48, v56, v60, v48
	v_pk_fma_f16 v47, v56, v65, v47
	;; [unrolled: 1-line block ×6, first 2 shown]
	v_mul_u32_u24_sdwa v56, v62, v25 dst_sel:DWORD dst_unused:UNUSED_PAD src0_sel:WORD_1 src1_sel:DWORD
	v_mul_u32_u24_sdwa v57, v63, v25 dst_sel:DWORD dst_unused:UNUSED_PAD src0_sel:WORD_0 src1_sel:DWORD
	v_mul_u32_u24_sdwa v60, v63, v25 dst_sel:DWORD dst_unused:UNUSED_PAD src0_sel:WORD_1 src1_sel:DWORD
	v_pk_fma_f16 v64, v58, v40, v64
	v_pk_fma_f16 v38, v59, v40, v38
	v_add_nc_u32_e32 v40, 0x1800, v37
	v_pk_fma_f16 v48, v58, v56, v48
	v_pk_fma_f16 v47, v58, v57, v47
	;; [unrolled: 1-line block ×6, first 2 shown]
	ds_read2_b64 v[56:59], v40 offset1:32
	ds_read_b128 v[60:63], v36 offset:18624
	s_waitcnt lgkmcnt(0)
	v_mul_u32_u24_sdwa v65, v60, v25 dst_sel:DWORD dst_unused:UNUSED_PAD src0_sel:WORD_0 src1_sel:DWORD
	v_mul_u32_u24_sdwa v60, v60, v25 dst_sel:DWORD dst_unused:UNUSED_PAD src0_sel:WORD_1 src1_sel:DWORD
	v_mul_u32_u24_sdwa v66, v61, v25 dst_sel:DWORD dst_unused:UNUSED_PAD src0_sel:WORD_0 src1_sel:DWORD
	v_mul_u32_u24_sdwa v61, v61, v25 dst_sel:DWORD dst_unused:UNUSED_PAD src0_sel:WORD_1 src1_sel:DWORD
	v_pk_fma_f16 v64, v56, v65, v64
	v_pk_fma_f16 v48, v56, v60, v48
	v_pk_fma_f16 v47, v56, v66, v47
	v_pk_fma_f16 v49, v56, v61, v49
	v_pk_fma_f16 v38, v57, v65, v38
	v_pk_fma_f16 v39, v57, v60, v39
	v_pk_fma_f16 v23, v57, v66, v23
	v_pk_fma_f16 v22, v57, v61, v22
	v_mul_u32_u24_sdwa v56, v62, v25 dst_sel:DWORD dst_unused:UNUSED_PAD src0_sel:WORD_0 src1_sel:DWORD
	v_mul_u32_u24_sdwa v57, v62, v25 dst_sel:DWORD dst_unused:UNUSED_PAD src0_sel:WORD_1 src1_sel:DWORD
	v_mul_u32_u24_sdwa v60, v63, v25 dst_sel:DWORD dst_unused:UNUSED_PAD src0_sel:WORD_0 src1_sel:DWORD
	v_mul_u32_u24_sdwa v61, v63, v25 dst_sel:DWORD dst_unused:UNUSED_PAD src0_sel:WORD_1 src1_sel:DWORD
	v_pk_fma_f16 v64, v58, v56, v64
	v_pk_fma_f16 v48, v58, v57, v48
	v_pk_fma_f16 v47, v58, v60, v47
	v_pk_fma_f16 v49, v58, v61, v49
	v_pk_fma_f16 v38, v59, v56, v38
	v_pk_fma_f16 v39, v59, v57, v39
	v_pk_fma_f16 v23, v59, v60, v23
	v_pk_fma_f16 v22, v59, v61, v22
	ds_read2_b64 v[56:59], v40 offset0:64 offset1:96
	ds_read_b128 v[60:63], v36 offset:18640
	s_waitcnt lgkmcnt(0)
	v_mul_u32_u24_sdwa v65, v60, v25 dst_sel:DWORD dst_unused:UNUSED_PAD src0_sel:WORD_0 src1_sel:DWORD
	v_mul_u32_u24_sdwa v60, v60, v25 dst_sel:DWORD dst_unused:UNUSED_PAD src0_sel:WORD_1 src1_sel:DWORD
	v_mul_u32_u24_sdwa v66, v61, v25 dst_sel:DWORD dst_unused:UNUSED_PAD src0_sel:WORD_0 src1_sel:DWORD
	v_mul_u32_u24_sdwa v61, v61, v25 dst_sel:DWORD dst_unused:UNUSED_PAD src0_sel:WORD_1 src1_sel:DWORD
	v_pk_fma_f16 v64, v56, v65, v64
	v_pk_fma_f16 v48, v56, v60, v48
	v_pk_fma_f16 v47, v56, v66, v47
	v_pk_fma_f16 v49, v56, v61, v49
	v_pk_fma_f16 v38, v57, v65, v38
	v_pk_fma_f16 v39, v57, v60, v39
	v_pk_fma_f16 v23, v57, v66, v23
	v_pk_fma_f16 v22, v57, v61, v22
	v_mul_u32_u24_sdwa v56, v62, v25 dst_sel:DWORD dst_unused:UNUSED_PAD src0_sel:WORD_0 src1_sel:DWORD
	v_mul_u32_u24_sdwa v57, v62, v25 dst_sel:DWORD dst_unused:UNUSED_PAD src0_sel:WORD_1 src1_sel:DWORD
	v_mul_u32_u24_sdwa v60, v63, v25 dst_sel:DWORD dst_unused:UNUSED_PAD src0_sel:WORD_0 src1_sel:DWORD
	v_mul_u32_u24_sdwa v61, v63, v25 dst_sel:DWORD dst_unused:UNUSED_PAD src0_sel:WORD_1 src1_sel:DWORD
	v_pk_fma_f16 v64, v58, v56, v64
	v_pk_fma_f16 v48, v58, v57, v48
	v_pk_fma_f16 v47, v58, v60, v47
	v_pk_fma_f16 v49, v58, v61, v49
	v_pk_fma_f16 v38, v59, v56, v38
	v_pk_fma_f16 v39, v59, v57, v39
	v_pk_fma_f16 v23, v59, v60, v23
	v_pk_fma_f16 v22, v59, v61, v22
	ds_read2_b64 v[56:59], v40 offset0:128 offset1:160
	;; [unrolled: 27-line block ×3, first 2 shown]
	ds_read_b128 v[60:63], v36 offset:18672
	s_waitcnt lgkmcnt(0)
	v_mul_u32_u24_sdwa v65, v60, v25 dst_sel:DWORD dst_unused:UNUSED_PAD src0_sel:WORD_0 src1_sel:DWORD
	v_mul_u32_u24_sdwa v60, v60, v25 dst_sel:DWORD dst_unused:UNUSED_PAD src0_sel:WORD_1 src1_sel:DWORD
	v_mul_u32_u24_sdwa v66, v61, v25 dst_sel:DWORD dst_unused:UNUSED_PAD src0_sel:WORD_0 src1_sel:DWORD
	v_mul_u32_u24_sdwa v61, v61, v25 dst_sel:DWORD dst_unused:UNUSED_PAD src0_sel:WORD_1 src1_sel:DWORD
	v_pk_fma_f16 v38, v57, v65, v38
	v_pk_fma_f16 v39, v57, v60, v39
	;; [unrolled: 1-line block ×4, first 2 shown]
	v_mul_u32_u24_sdwa v57, v62, v25 dst_sel:DWORD dst_unused:UNUSED_PAD src0_sel:WORD_1 src1_sel:DWORD
	v_pk_fma_f16 v64, v56, v65, v64
	v_pk_fma_f16 v48, v56, v60, v48
	v_pk_fma_f16 v47, v56, v66, v47
	v_pk_fma_f16 v49, v56, v61, v49
	v_mul_u32_u24_sdwa v56, v62, v25 dst_sel:DWORD dst_unused:UNUSED_PAD src0_sel:WORD_0 src1_sel:DWORD
	v_mul_u32_u24_sdwa v60, v63, v25 dst_sel:DWORD dst_unused:UNUSED_PAD src0_sel:WORD_0 src1_sel:DWORD
	v_mul_u32_u24_sdwa v61, v63, v25 dst_sel:DWORD dst_unused:UNUSED_PAD src0_sel:WORD_1 src1_sel:DWORD
	v_pk_fma_f16 v65, v59, v57, v39
	v_add_nc_u32_e32 v39, 0x2000, v37
	v_pk_fma_f16 v64, v58, v56, v64
	v_pk_fma_f16 v48, v58, v57, v48
	;; [unrolled: 1-line block ×7, first 2 shown]
	ds_read2_b64 v[56:59], v39 offset1:32
	ds_read_b128 v[60:63], v36 offset:18688
	s_waitcnt lgkmcnt(0)
	v_mul_u32_u24_sdwa v66, v60, v25 dst_sel:DWORD dst_unused:UNUSED_PAD src0_sel:WORD_0 src1_sel:DWORD
	v_mul_u32_u24_sdwa v60, v60, v25 dst_sel:DWORD dst_unused:UNUSED_PAD src0_sel:WORD_1 src1_sel:DWORD
	v_mul_u32_u24_sdwa v67, v61, v25 dst_sel:DWORD dst_unused:UNUSED_PAD src0_sel:WORD_0 src1_sel:DWORD
	v_mul_u32_u24_sdwa v61, v61, v25 dst_sel:DWORD dst_unused:UNUSED_PAD src0_sel:WORD_1 src1_sel:DWORD
	v_pk_fma_f16 v64, v56, v66, v64
	v_pk_fma_f16 v48, v56, v60, v48
	v_pk_fma_f16 v47, v56, v67, v47
	v_pk_fma_f16 v49, v56, v61, v49
	v_pk_fma_f16 v38, v57, v66, v38
	v_pk_fma_f16 v56, v57, v60, v65
	v_pk_fma_f16 v23, v57, v67, v23
	v_pk_fma_f16 v22, v57, v61, v22
	v_mul_u32_u24_sdwa v57, v62, v25 dst_sel:DWORD dst_unused:UNUSED_PAD src0_sel:WORD_0 src1_sel:DWORD
	v_mul_u32_u24_sdwa v60, v62, v25 dst_sel:DWORD dst_unused:UNUSED_PAD src0_sel:WORD_1 src1_sel:DWORD
	v_mul_u32_u24_sdwa v61, v63, v25 dst_sel:DWORD dst_unused:UNUSED_PAD src0_sel:WORD_0 src1_sel:DWORD
	v_mul_u32_u24_sdwa v62, v63, v25 dst_sel:DWORD dst_unused:UNUSED_PAD src0_sel:WORD_1 src1_sel:DWORD
	v_pk_fma_f16 v64, v58, v57, v64
	v_pk_fma_f16 v48, v58, v60, v48
	v_pk_fma_f16 v47, v58, v61, v47
	v_pk_fma_f16 v49, v58, v62, v49
	v_pk_fma_f16 v38, v59, v57, v38
	v_pk_fma_f16 v65, v59, v60, v56
	v_pk_fma_f16 v23, v59, v61, v23
	v_pk_fma_f16 v22, v59, v62, v22
	ds_read2_b64 v[56:59], v39 offset0:64 offset1:96
	ds_read_b128 v[60:63], v36 offset:18704
	s_waitcnt lgkmcnt(0)
	v_mul_u32_u24_sdwa v66, v60, v25 dst_sel:DWORD dst_unused:UNUSED_PAD src0_sel:WORD_0 src1_sel:DWORD
	v_mul_u32_u24_sdwa v60, v60, v25 dst_sel:DWORD dst_unused:UNUSED_PAD src0_sel:WORD_1 src1_sel:DWORD
	v_mul_u32_u24_sdwa v67, v61, v25 dst_sel:DWORD dst_unused:UNUSED_PAD src0_sel:WORD_0 src1_sel:DWORD
	v_mul_u32_u24_sdwa v61, v61, v25 dst_sel:DWORD dst_unused:UNUSED_PAD src0_sel:WORD_1 src1_sel:DWORD
	v_pk_fma_f16 v64, v56, v66, v64
	v_pk_fma_f16 v48, v56, v60, v48
	v_pk_fma_f16 v47, v56, v67, v47
	v_pk_fma_f16 v49, v56, v61, v49
	v_pk_fma_f16 v38, v57, v66, v38
	v_pk_fma_f16 v56, v57, v60, v65
	v_pk_fma_f16 v23, v57, v67, v23
	v_pk_fma_f16 v22, v57, v61, v22
	v_mul_u32_u24_sdwa v57, v62, v25 dst_sel:DWORD dst_unused:UNUSED_PAD src0_sel:WORD_0 src1_sel:DWORD
	v_mul_u32_u24_sdwa v60, v62, v25 dst_sel:DWORD dst_unused:UNUSED_PAD src0_sel:WORD_1 src1_sel:DWORD
	v_mul_u32_u24_sdwa v61, v63, v25 dst_sel:DWORD dst_unused:UNUSED_PAD src0_sel:WORD_0 src1_sel:DWORD
	v_mul_u32_u24_sdwa v62, v63, v25 dst_sel:DWORD dst_unused:UNUSED_PAD src0_sel:WORD_1 src1_sel:DWORD
	v_pk_fma_f16 v64, v58, v57, v64
	v_pk_fma_f16 v48, v58, v60, v48
	v_pk_fma_f16 v47, v58, v61, v47
	v_pk_fma_f16 v49, v58, v62, v49
	v_pk_fma_f16 v38, v59, v57, v38
	v_pk_fma_f16 v65, v59, v60, v56
	v_pk_fma_f16 v23, v59, v61, v23
	v_pk_fma_f16 v22, v59, v62, v22
	ds_read2_b64 v[56:59], v39 offset0:128 offset1:160
	;; [unrolled: 27-line block ×3, first 2 shown]
	ds_read_b128 v[60:63], v36 offset:18736
	s_waitcnt lgkmcnt(0)
	v_mul_u32_u24_sdwa v66, v60, v25 dst_sel:DWORD dst_unused:UNUSED_PAD src0_sel:WORD_0 src1_sel:DWORD
	v_mul_u32_u24_sdwa v60, v60, v25 dst_sel:DWORD dst_unused:UNUSED_PAD src0_sel:WORD_1 src1_sel:DWORD
	v_mul_u32_u24_sdwa v67, v61, v25 dst_sel:DWORD dst_unused:UNUSED_PAD src0_sel:WORD_0 src1_sel:DWORD
	v_mul_u32_u24_sdwa v61, v61, v25 dst_sel:DWORD dst_unused:UNUSED_PAD src0_sel:WORD_1 src1_sel:DWORD
	v_pk_fma_f16 v64, v56, v66, v64
	v_pk_fma_f16 v48, v56, v60, v48
	v_pk_fma_f16 v47, v56, v67, v47
	v_pk_fma_f16 v49, v56, v61, v49
	v_pk_fma_f16 v38, v57, v66, v38
	v_pk_fma_f16 v56, v57, v60, v65
	v_pk_fma_f16 v23, v57, v67, v23
	v_pk_fma_f16 v22, v57, v61, v22
	v_mul_u32_u24_sdwa v57, v62, v25 dst_sel:DWORD dst_unused:UNUSED_PAD src0_sel:WORD_0 src1_sel:DWORD
	v_mul_u32_u24_sdwa v60, v62, v25 dst_sel:DWORD dst_unused:UNUSED_PAD src0_sel:WORD_1 src1_sel:DWORD
	v_mul_u32_u24_sdwa v61, v63, v25 dst_sel:DWORD dst_unused:UNUSED_PAD src0_sel:WORD_0 src1_sel:DWORD
	v_mul_u32_u24_sdwa v62, v63, v25 dst_sel:DWORD dst_unused:UNUSED_PAD src0_sel:WORD_1 src1_sel:DWORD
	v_pk_fma_f16 v65, v59, v57, v38
	v_add_nc_u32_e32 v38, 0x2800, v37
	v_pk_fma_f16 v64, v58, v57, v64
	v_pk_fma_f16 v48, v58, v60, v48
	;; [unrolled: 1-line block ×7, first 2 shown]
	ds_read2_b64 v[56:59], v38 offset1:32
	ds_read_b128 v[60:63], v36 offset:18752
	s_waitcnt lgkmcnt(0)
	v_mul_u32_u24_sdwa v67, v60, v25 dst_sel:DWORD dst_unused:UNUSED_PAD src0_sel:WORD_0 src1_sel:DWORD
	v_mul_u32_u24_sdwa v60, v60, v25 dst_sel:DWORD dst_unused:UNUSED_PAD src0_sel:WORD_1 src1_sel:DWORD
	v_mul_u32_u24_sdwa v68, v61, v25 dst_sel:DWORD dst_unused:UNUSED_PAD src0_sel:WORD_0 src1_sel:DWORD
	v_mul_u32_u24_sdwa v61, v61, v25 dst_sel:DWORD dst_unused:UNUSED_PAD src0_sel:WORD_1 src1_sel:DWORD
	v_pk_fma_f16 v64, v56, v67, v64
	v_pk_fma_f16 v48, v56, v60, v48
	v_pk_fma_f16 v47, v56, v68, v47
	v_pk_fma_f16 v49, v56, v61, v49
	v_pk_fma_f16 v56, v57, v67, v65
	v_pk_fma_f16 v60, v57, v60, v66
	v_pk_fma_f16 v23, v57, v68, v23
	v_pk_fma_f16 v22, v57, v61, v22
	v_mul_u32_u24_sdwa v57, v62, v25 dst_sel:DWORD dst_unused:UNUSED_PAD src0_sel:WORD_0 src1_sel:DWORD
	v_mul_u32_u24_sdwa v61, v62, v25 dst_sel:DWORD dst_unused:UNUSED_PAD src0_sel:WORD_1 src1_sel:DWORD
	v_mul_u32_u24_sdwa v62, v63, v25 dst_sel:DWORD dst_unused:UNUSED_PAD src0_sel:WORD_0 src1_sel:DWORD
	v_mul_u32_u24_sdwa v63, v63, v25 dst_sel:DWORD dst_unused:UNUSED_PAD src0_sel:WORD_1 src1_sel:DWORD
	v_pk_fma_f16 v64, v58, v57, v64
	v_pk_fma_f16 v48, v58, v61, v48
	v_pk_fma_f16 v47, v58, v62, v47
	v_pk_fma_f16 v49, v58, v63, v49
	v_pk_fma_f16 v65, v59, v57, v56
	v_pk_fma_f16 v66, v59, v61, v60
	v_pk_fma_f16 v23, v59, v62, v23
	v_pk_fma_f16 v22, v59, v63, v22
	ds_read2_b64 v[56:59], v38 offset0:64 offset1:96
	ds_read_b128 v[60:63], v36 offset:18768
	s_waitcnt lgkmcnt(0)
	v_mul_u32_u24_sdwa v67, v60, v25 dst_sel:DWORD dst_unused:UNUSED_PAD src0_sel:WORD_0 src1_sel:DWORD
	v_mul_u32_u24_sdwa v60, v60, v25 dst_sel:DWORD dst_unused:UNUSED_PAD src0_sel:WORD_1 src1_sel:DWORD
	v_mul_u32_u24_sdwa v68, v61, v25 dst_sel:DWORD dst_unused:UNUSED_PAD src0_sel:WORD_0 src1_sel:DWORD
	v_mul_u32_u24_sdwa v61, v61, v25 dst_sel:DWORD dst_unused:UNUSED_PAD src0_sel:WORD_1 src1_sel:DWORD
	v_pk_fma_f16 v64, v56, v67, v64
	v_pk_fma_f16 v48, v56, v60, v48
	v_pk_fma_f16 v47, v56, v68, v47
	v_pk_fma_f16 v49, v56, v61, v49
	v_pk_fma_f16 v56, v57, v67, v65
	v_pk_fma_f16 v60, v57, v60, v66
	v_pk_fma_f16 v23, v57, v68, v23
	v_pk_fma_f16 v22, v57, v61, v22
	v_mul_u32_u24_sdwa v57, v62, v25 dst_sel:DWORD dst_unused:UNUSED_PAD src0_sel:WORD_0 src1_sel:DWORD
	v_mul_u32_u24_sdwa v61, v62, v25 dst_sel:DWORD dst_unused:UNUSED_PAD src0_sel:WORD_1 src1_sel:DWORD
	v_mul_u32_u24_sdwa v62, v63, v25 dst_sel:DWORD dst_unused:UNUSED_PAD src0_sel:WORD_0 src1_sel:DWORD
	v_mul_u32_u24_sdwa v63, v63, v25 dst_sel:DWORD dst_unused:UNUSED_PAD src0_sel:WORD_1 src1_sel:DWORD
	v_pk_fma_f16 v64, v58, v57, v64
	v_pk_fma_f16 v48, v58, v61, v48
	v_pk_fma_f16 v47, v58, v62, v47
	v_pk_fma_f16 v49, v58, v63, v49
	v_pk_fma_f16 v65, v59, v57, v56
	v_pk_fma_f16 v66, v59, v61, v60
	v_pk_fma_f16 v23, v59, v62, v23
	v_pk_fma_f16 v22, v59, v63, v22
	ds_read2_b64 v[56:59], v38 offset0:128 offset1:160
	;; [unrolled: 27-line block ×3, first 2 shown]
	ds_read_b128 v[60:63], v36 offset:18800
	s_waitcnt lgkmcnt(0)
	v_mul_u32_u24_sdwa v67, v60, v25 dst_sel:DWORD dst_unused:UNUSED_PAD src0_sel:WORD_0 src1_sel:DWORD
	v_mul_u32_u24_sdwa v60, v60, v25 dst_sel:DWORD dst_unused:UNUSED_PAD src0_sel:WORD_1 src1_sel:DWORD
	v_mul_u32_u24_sdwa v68, v61, v25 dst_sel:DWORD dst_unused:UNUSED_PAD src0_sel:WORD_0 src1_sel:DWORD
	v_mul_u32_u24_sdwa v61, v61, v25 dst_sel:DWORD dst_unused:UNUSED_PAD src0_sel:WORD_1 src1_sel:DWORD
	v_pk_fma_f16 v64, v56, v67, v64
	v_pk_fma_f16 v48, v56, v60, v48
	;; [unrolled: 1-line block ×8, first 2 shown]
	v_mul_u32_u24_sdwa v57, v62, v25 dst_sel:DWORD dst_unused:UNUSED_PAD src0_sel:WORD_0 src1_sel:DWORD
	v_mul_u32_u24_sdwa v61, v62, v25 dst_sel:DWORD dst_unused:UNUSED_PAD src0_sel:WORD_1 src1_sel:DWORD
	v_mul_u32_u24_sdwa v62, v63, v25 dst_sel:DWORD dst_unused:UNUSED_PAD src0_sel:WORD_0 src1_sel:DWORD
	v_mul_u32_u24_sdwa v63, v63, v25 dst_sel:DWORD dst_unused:UNUSED_PAD src0_sel:WORD_1 src1_sel:DWORD
	v_pk_fma_f16 v64, v58, v57, v64
	v_pk_fma_f16 v48, v58, v61, v48
	;; [unrolled: 1-line block ×3, first 2 shown]
	v_add_nc_u32_e32 v23, 0x3000, v37
	v_pk_fma_f16 v47, v58, v62, v47
	v_pk_fma_f16 v49, v58, v63, v49
	v_pk_fma_f16 v65, v59, v57, v56
	v_pk_fma_f16 v66, v59, v61, v60
	v_pk_fma_f16 v22, v59, v63, v22
	ds_read2_b64 v[56:59], v23 offset1:32
	ds_read_b128 v[60:63], v36 offset:18816
	s_waitcnt lgkmcnt(0)
	v_mul_u32_u24_sdwa v68, v60, v25 dst_sel:DWORD dst_unused:UNUSED_PAD src0_sel:WORD_0 src1_sel:DWORD
	v_mul_u32_u24_sdwa v60, v60, v25 dst_sel:DWORD dst_unused:UNUSED_PAD src0_sel:WORD_1 src1_sel:DWORD
	v_mul_u32_u24_sdwa v69, v61, v25 dst_sel:DWORD dst_unused:UNUSED_PAD src0_sel:WORD_0 src1_sel:DWORD
	v_mul_u32_u24_sdwa v61, v61, v25 dst_sel:DWORD dst_unused:UNUSED_PAD src0_sel:WORD_1 src1_sel:DWORD
	v_pk_fma_f16 v64, v56, v68, v64
	v_pk_fma_f16 v48, v56, v60, v48
	v_pk_fma_f16 v47, v56, v69, v47
	v_pk_fma_f16 v49, v56, v61, v49
	v_pk_fma_f16 v56, v57, v68, v65
	v_pk_fma_f16 v60, v57, v60, v66
	v_pk_fma_f16 v65, v57, v69, v67
	v_pk_fma_f16 v22, v57, v61, v22
	v_mul_u32_u24_sdwa v57, v62, v25 dst_sel:DWORD dst_unused:UNUSED_PAD src0_sel:WORD_0 src1_sel:DWORD
	v_mul_u32_u24_sdwa v61, v62, v25 dst_sel:DWORD dst_unused:UNUSED_PAD src0_sel:WORD_1 src1_sel:DWORD
	v_mul_u32_u24_sdwa v62, v63, v25 dst_sel:DWORD dst_unused:UNUSED_PAD src0_sel:WORD_0 src1_sel:DWORD
	v_mul_u32_u24_sdwa v63, v63, v25 dst_sel:DWORD dst_unused:UNUSED_PAD src0_sel:WORD_1 src1_sel:DWORD
	v_pk_fma_f16 v64, v58, v57, v64
	v_pk_fma_f16 v48, v58, v61, v48
	v_pk_fma_f16 v47, v58, v62, v47
	v_pk_fma_f16 v49, v58, v63, v49
	v_pk_fma_f16 v66, v59, v57, v56
	v_pk_fma_f16 v67, v59, v61, v60
	v_pk_fma_f16 v65, v59, v62, v65
	v_pk_fma_f16 v22, v59, v63, v22
	ds_read2_b64 v[56:59], v23 offset0:64 offset1:96
	ds_read_b128 v[60:63], v36 offset:18832
	s_waitcnt lgkmcnt(0)
	v_mul_u32_u24_sdwa v68, v60, v25 dst_sel:DWORD dst_unused:UNUSED_PAD src0_sel:WORD_0 src1_sel:DWORD
	v_mul_u32_u24_sdwa v60, v60, v25 dst_sel:DWORD dst_unused:UNUSED_PAD src0_sel:WORD_1 src1_sel:DWORD
	v_mul_u32_u24_sdwa v69, v61, v25 dst_sel:DWORD dst_unused:UNUSED_PAD src0_sel:WORD_0 src1_sel:DWORD
	v_mul_u32_u24_sdwa v61, v61, v25 dst_sel:DWORD dst_unused:UNUSED_PAD src0_sel:WORD_1 src1_sel:DWORD
	v_pk_fma_f16 v64, v56, v68, v64
	v_pk_fma_f16 v48, v56, v60, v48
	v_pk_fma_f16 v47, v56, v69, v47
	v_pk_fma_f16 v49, v56, v61, v49
	v_pk_fma_f16 v56, v57, v68, v66
	v_pk_fma_f16 v60, v57, v60, v67
	v_pk_fma_f16 v65, v57, v69, v65
	v_pk_fma_f16 v22, v57, v61, v22
	v_mul_u32_u24_sdwa v57, v62, v25 dst_sel:DWORD dst_unused:UNUSED_PAD src0_sel:WORD_0 src1_sel:DWORD
	v_mul_u32_u24_sdwa v61, v62, v25 dst_sel:DWORD dst_unused:UNUSED_PAD src0_sel:WORD_1 src1_sel:DWORD
	v_mul_u32_u24_sdwa v62, v63, v25 dst_sel:DWORD dst_unused:UNUSED_PAD src0_sel:WORD_0 src1_sel:DWORD
	v_mul_u32_u24_sdwa v63, v63, v25 dst_sel:DWORD dst_unused:UNUSED_PAD src0_sel:WORD_1 src1_sel:DWORD
	v_pk_fma_f16 v64, v58, v57, v64
	v_pk_fma_f16 v48, v58, v61, v48
	v_pk_fma_f16 v47, v58, v62, v47
	v_pk_fma_f16 v49, v58, v63, v49
	v_pk_fma_f16 v66, v59, v57, v56
	v_pk_fma_f16 v67, v59, v61, v60
	v_pk_fma_f16 v65, v59, v62, v65
	v_pk_fma_f16 v22, v59, v63, v22
	ds_read2_b64 v[56:59], v23 offset0:128 offset1:160
	;; [unrolled: 27-line block ×3, first 2 shown]
	ds_read_b128 v[60:63], v36 offset:18864
	s_waitcnt lgkmcnt(0)
	v_mul_u32_u24_sdwa v68, v60, v25 dst_sel:DWORD dst_unused:UNUSED_PAD src0_sel:WORD_0 src1_sel:DWORD
	v_mul_u32_u24_sdwa v60, v60, v25 dst_sel:DWORD dst_unused:UNUSED_PAD src0_sel:WORD_1 src1_sel:DWORD
	v_mul_u32_u24_sdwa v69, v61, v25 dst_sel:DWORD dst_unused:UNUSED_PAD src0_sel:WORD_0 src1_sel:DWORD
	v_mul_u32_u24_sdwa v61, v61, v25 dst_sel:DWORD dst_unused:UNUSED_PAD src0_sel:WORD_1 src1_sel:DWORD
	v_pk_fma_f16 v64, v56, v68, v64
	v_pk_fma_f16 v48, v56, v60, v48
	;; [unrolled: 1-line block ×8, first 2 shown]
	v_mul_u32_u24_sdwa v57, v62, v25 dst_sel:DWORD dst_unused:UNUSED_PAD src0_sel:WORD_0 src1_sel:DWORD
	v_mul_u32_u24_sdwa v61, v62, v25 dst_sel:DWORD dst_unused:UNUSED_PAD src0_sel:WORD_1 src1_sel:DWORD
	v_mul_u32_u24_sdwa v62, v63, v25 dst_sel:DWORD dst_unused:UNUSED_PAD src0_sel:WORD_0 src1_sel:DWORD
	v_mul_u32_u24_sdwa v63, v63, v25 dst_sel:DWORD dst_unused:UNUSED_PAD src0_sel:WORD_1 src1_sel:DWORD
	v_pk_fma_f16 v64, v58, v57, v64
	v_pk_fma_f16 v48, v58, v61, v48
	;; [unrolled: 1-line block ×4, first 2 shown]
	v_add_nc_u32_e32 v22, 0x3800, v37
	v_pk_fma_f16 v49, v58, v63, v49
	v_pk_fma_f16 v66, v59, v57, v56
	;; [unrolled: 1-line block ×4, first 2 shown]
	ds_read2_b64 v[56:59], v22 offset1:32
	ds_read_b128 v[60:63], v36 offset:18880
	s_waitcnt lgkmcnt(0)
	v_mul_u32_u24_sdwa v69, v60, v25 dst_sel:DWORD dst_unused:UNUSED_PAD src0_sel:WORD_0 src1_sel:DWORD
	v_mul_u32_u24_sdwa v60, v60, v25 dst_sel:DWORD dst_unused:UNUSED_PAD src0_sel:WORD_1 src1_sel:DWORD
	v_mul_u32_u24_sdwa v70, v61, v25 dst_sel:DWORD dst_unused:UNUSED_PAD src0_sel:WORD_0 src1_sel:DWORD
	v_mul_u32_u24_sdwa v61, v61, v25 dst_sel:DWORD dst_unused:UNUSED_PAD src0_sel:WORD_1 src1_sel:DWORD
	v_pk_fma_f16 v64, v56, v69, v64
	v_pk_fma_f16 v48, v56, v60, v48
	v_pk_fma_f16 v47, v56, v70, v47
	v_pk_fma_f16 v49, v56, v61, v49
	v_pk_fma_f16 v56, v57, v69, v66
	v_pk_fma_f16 v60, v57, v60, v67
	v_pk_fma_f16 v65, v57, v70, v65
	v_pk_fma_f16 v57, v57, v61, v68
	v_mul_u32_u24_sdwa v61, v62, v25 dst_sel:DWORD dst_unused:UNUSED_PAD src0_sel:WORD_0 src1_sel:DWORD
	v_mul_u32_u24_sdwa v62, v62, v25 dst_sel:DWORD dst_unused:UNUSED_PAD src0_sel:WORD_1 src1_sel:DWORD
	v_mul_u32_u24_sdwa v66, v63, v25 dst_sel:DWORD dst_unused:UNUSED_PAD src0_sel:WORD_0 src1_sel:DWORD
	v_mul_u32_u24_sdwa v63, v63, v25 dst_sel:DWORD dst_unused:UNUSED_PAD src0_sel:WORD_1 src1_sel:DWORD
	v_pk_fma_f16 v64, v58, v61, v64
	v_pk_fma_f16 v48, v58, v62, v48
	v_pk_fma_f16 v47, v58, v66, v47
	v_pk_fma_f16 v49, v58, v63, v49
	v_pk_fma_f16 v67, v59, v61, v56
	v_pk_fma_f16 v68, v59, v62, v60
	v_pk_fma_f16 v65, v59, v66, v65
	v_pk_fma_f16 v66, v59, v63, v57
	ds_read2_b64 v[56:59], v22 offset0:64 offset1:96
	ds_read_b128 v[60:63], v36 offset:18896
	s_waitcnt lgkmcnt(0)
	v_mul_u32_u24_sdwa v69, v60, v25 dst_sel:DWORD dst_unused:UNUSED_PAD src0_sel:WORD_0 src1_sel:DWORD
	v_mul_u32_u24_sdwa v60, v60, v25 dst_sel:DWORD dst_unused:UNUSED_PAD src0_sel:WORD_1 src1_sel:DWORD
	v_mul_u32_u24_sdwa v70, v61, v25 dst_sel:DWORD dst_unused:UNUSED_PAD src0_sel:WORD_0 src1_sel:DWORD
	v_mul_u32_u24_sdwa v61, v61, v25 dst_sel:DWORD dst_unused:UNUSED_PAD src0_sel:WORD_1 src1_sel:DWORD
	v_pk_fma_f16 v64, v56, v69, v64
	v_pk_fma_f16 v48, v56, v60, v48
	v_pk_fma_f16 v47, v56, v70, v47
	v_pk_fma_f16 v49, v56, v61, v49
	v_pk_fma_f16 v56, v57, v69, v67
	v_pk_fma_f16 v60, v57, v60, v68
	v_pk_fma_f16 v65, v57, v70, v65
	v_pk_fma_f16 v57, v57, v61, v66
	v_mul_u32_u24_sdwa v61, v62, v25 dst_sel:DWORD dst_unused:UNUSED_PAD src0_sel:WORD_0 src1_sel:DWORD
	v_mul_u32_u24_sdwa v62, v62, v25 dst_sel:DWORD dst_unused:UNUSED_PAD src0_sel:WORD_1 src1_sel:DWORD
	v_mul_u32_u24_sdwa v66, v63, v25 dst_sel:DWORD dst_unused:UNUSED_PAD src0_sel:WORD_0 src1_sel:DWORD
	v_mul_u32_u24_sdwa v63, v63, v25 dst_sel:DWORD dst_unused:UNUSED_PAD src0_sel:WORD_1 src1_sel:DWORD
	v_pk_fma_f16 v64, v58, v61, v64
	v_pk_fma_f16 v48, v58, v62, v48
	v_pk_fma_f16 v47, v58, v66, v47
	v_pk_fma_f16 v49, v58, v63, v49
	v_pk_fma_f16 v67, v59, v61, v56
	v_pk_fma_f16 v68, v59, v62, v60
	v_pk_fma_f16 v65, v59, v66, v65
	v_pk_fma_f16 v66, v59, v63, v57
	ds_read2_b64 v[56:59], v22 offset0:128 offset1:160
	;; [unrolled: 27-line block ×3, first 2 shown]
	ds_read_b128 v[61:64], v36 offset:18928
	s_waitcnt lgkmcnt(0)
	s_barrier
	buffer_gl0_inv
	buffer_store_dword v50, off, s[0:3], 0
	buffer_store_dword v50, off, s[0:3], 0 offset:4
	buffer_store_dword v50, off, s[0:3], 0 offset:8
	;; [unrolled: 1-line block ×3, first 2 shown]
	v_mul_u32_u24_sdwa v69, v61, v25 dst_sel:DWORD dst_unused:UNUSED_PAD src0_sel:WORD_0 src1_sel:DWORD
	v_mul_u32_u24_sdwa v61, v61, v25 dst_sel:DWORD dst_unused:UNUSED_PAD src0_sel:WORD_1 src1_sel:DWORD
	v_mul_u32_u24_sdwa v70, v62, v25 dst_sel:DWORD dst_unused:UNUSED_PAD src0_sel:WORD_0 src1_sel:DWORD
	v_mul_u32_u24_sdwa v62, v62, v25 dst_sel:DWORD dst_unused:UNUSED_PAD src0_sel:WORD_1 src1_sel:DWORD
	v_pk_fma_f16 v67, v57, v69, v67
	v_pk_fma_f16 v48, v57, v61, v48
	;; [unrolled: 1-line block ×8, first 2 shown]
	v_mul_u32_u24_sdwa v58, v63, v25 dst_sel:DWORD dst_unused:UNUSED_PAD src0_sel:WORD_0 src1_sel:DWORD
	v_mul_u32_u24_sdwa v63, v63, v25 dst_sel:DWORD dst_unused:UNUSED_PAD src0_sel:WORD_1 src1_sel:DWORD
	v_mul_u32_u24_sdwa v66, v64, v25 dst_sel:DWORD dst_unused:UNUSED_PAD src0_sel:WORD_0 src1_sel:DWORD
	v_mul_u32_u24_sdwa v64, v64, v25 dst_sel:DWORD dst_unused:UNUSED_PAD src0_sel:WORD_1 src1_sel:DWORD
	v_pk_fma_f16 v47, v59, v58, v67
	v_pk_fma_f16 v48, v59, v63, v48
	;; [unrolled: 1-line block ×8, first 2 shown]
	flat_load_dwordx4 v[61:64], v[12:13]
	s_waitcnt vmcnt(0) lgkmcnt(0)
	ds_write_b128 v53, v[61:64]
	buffer_store_dword v50, off, s[0:3], 0
	buffer_store_dword v50, off, s[0:3], 0 offset:4
	buffer_store_dword v50, off, s[0:3], 0 offset:8
	;; [unrolled: 1-line block ×3, first 2 shown]
	flat_load_dwordx4 v[61:64], v[3:4]
	v_add_co_u32 v3, s6, s8, v10
	v_add_co_ci_u32_e64 v4, null, s9, v11, s6
	v_add_co_u32 v3, s6, v3, v44
	v_add_co_ci_u32_e64 v4, null, 0, v4, s6
	v_add_co_u32 v1, s6, s8, v1
	v_cndmask_b32_e32 v3, 0, v3, vcc_lo
	v_cndmask_b32_e32 v4, s7, v4, vcc_lo
	v_add_co_ci_u32_e64 v2, null, s9, v2, s6
	v_add_co_u32 v1, s6, v1, v44
	v_cmp_gt_i32_e32 vcc_lo, s10, v45
	v_add_co_ci_u32_e64 v2, null, 0, v2, s6
	v_cndmask_b32_e32 v1, 0, v1, vcc_lo
	v_cndmask_b32_e32 v2, s7, v2, vcc_lo
	s_waitcnt vmcnt(0) lgkmcnt(0)
	ds_write_b128 v52, v[61:64]
	buffer_store_dword v50, off, s[0:3], 0
	buffer_store_dword v50, off, s[0:3], 0 offset:4
	buffer_store_dword v50, off, s[0:3], 0 offset:8
	;; [unrolled: 1-line block ×3, first 2 shown]
	flat_load_dwordx4 v[10:13], v[3:4]
	s_waitcnt vmcnt(0) lgkmcnt(0)
	ds_write_b128 v46, v[10:13]
	buffer_store_dword v50, off, s[0:3], 0
	buffer_store_dword v50, off, s[0:3], 0 offset:4
	buffer_store_dword v50, off, s[0:3], 0 offset:8
	;; [unrolled: 1-line block ×3, first 2 shown]
	flat_load_dwordx4 v[1:4], v[1:2]
	s_waitcnt vmcnt(0) lgkmcnt(0)
	ds_write_b128 v41, v[1:4]
	s_waitcnt lgkmcnt(0)
	s_waitcnt_vscnt null, 0x0
	s_barrier
	buffer_gl0_inv
	ds_read2_b64 v[1:4], v37 offset1:32
	ds_read_b128 v[10:13], v36 offset:18944
	ds_read_b128 v[50:53], v36 offset:18960
	;; [unrolled: 1-line block ×4, first 2 shown]
	s_waitcnt lgkmcnt(3)
	v_mul_u32_u24_sdwa v41, v10, v25 dst_sel:DWORD dst_unused:UNUSED_PAD src0_sel:WORD_0 src1_sel:DWORD
	v_mul_u32_u24_sdwa v10, v10, v25 dst_sel:DWORD dst_unused:UNUSED_PAD src0_sel:WORD_1 src1_sel:DWORD
	v_mul_u32_u24_sdwa v44, v11, v25 dst_sel:DWORD dst_unused:UNUSED_PAD src0_sel:WORD_0 src1_sel:DWORD
	v_mul_u32_u24_sdwa v11, v11, v25 dst_sel:DWORD dst_unused:UNUSED_PAD src0_sel:WORD_1 src1_sel:DWORD
	v_pk_fma_f16 v45, v1, v41, v47
	v_pk_fma_f16 v46, v1, v10, v48
	;; [unrolled: 1-line block ×8, first 2 shown]
	v_mul_u32_u24_sdwa v11, v12, v25 dst_sel:DWORD dst_unused:UNUSED_PAD src0_sel:WORD_0 src1_sel:DWORD
	v_mul_u32_u24_sdwa v12, v12, v25 dst_sel:DWORD dst_unused:UNUSED_PAD src0_sel:WORD_1 src1_sel:DWORD
	v_mul_u32_u24_sdwa v48, v13, v25 dst_sel:DWORD dst_unused:UNUSED_PAD src0_sel:WORD_0 src1_sel:DWORD
	v_mul_u32_u24_sdwa v13, v13, v25 dst_sel:DWORD dst_unused:UNUSED_PAD src0_sel:WORD_1 src1_sel:DWORD
	v_pk_fma_f16 v45, v3, v11, v45
	v_pk_fma_f16 v46, v3, v12, v46
	;; [unrolled: 1-line block ×8, first 2 shown]
	ds_read2_b64 v[1:4], v37 offset0:64 offset1:96
	s_waitcnt lgkmcnt(3)
	v_mul_u32_u24_sdwa v41, v50, v25 dst_sel:DWORD dst_unused:UNUSED_PAD src0_sel:WORD_0 src1_sel:DWORD
	v_mul_u32_u24_sdwa v44, v50, v25 dst_sel:DWORD dst_unused:UNUSED_PAD src0_sel:WORD_1 src1_sel:DWORD
	v_mul_u32_u24_sdwa v48, v51, v25 dst_sel:DWORD dst_unused:UNUSED_PAD src0_sel:WORD_0 src1_sel:DWORD
	v_mul_u32_u24_sdwa v50, v51, v25 dst_sel:DWORD dst_unused:UNUSED_PAD src0_sel:WORD_1 src1_sel:DWORD
	s_waitcnt lgkmcnt(0)
	v_pk_fma_f16 v45, v1, v41, v45
	v_pk_fma_f16 v46, v1, v44, v46
	;; [unrolled: 1-line block ×8, first 2 shown]
	v_mul_u32_u24_sdwa v13, v52, v25 dst_sel:DWORD dst_unused:UNUSED_PAD src0_sel:WORD_0 src1_sel:DWORD
	v_mul_u32_u24_sdwa v41, v52, v25 dst_sel:DWORD dst_unused:UNUSED_PAD src0_sel:WORD_1 src1_sel:DWORD
	v_mul_u32_u24_sdwa v44, v53, v25 dst_sel:DWORD dst_unused:UNUSED_PAD src0_sel:WORD_0 src1_sel:DWORD
	v_mul_u32_u24_sdwa v48, v53, v25 dst_sel:DWORD dst_unused:UNUSED_PAD src0_sel:WORD_1 src1_sel:DWORD
	v_mul_u32_u24_sdwa v50, v62, v25 dst_sel:DWORD dst_unused:UNUSED_PAD src0_sel:WORD_1 src1_sel:DWORD
	v_pk_fma_f16 v45, v3, v13, v45
	v_pk_fma_f16 v46, v3, v41, v46
	;; [unrolled: 1-line block ×8, first 2 shown]
	ds_read2_b64 v[1:4], v37 offset0:128 offset1:160
	v_mul_u32_u24_sdwa v41, v61, v25 dst_sel:DWORD dst_unused:UNUSED_PAD src0_sel:WORD_0 src1_sel:DWORD
	v_mul_u32_u24_sdwa v44, v61, v25 dst_sel:DWORD dst_unused:UNUSED_PAD src0_sel:WORD_1 src1_sel:DWORD
	v_mul_u32_u24_sdwa v48, v62, v25 dst_sel:DWORD dst_unused:UNUSED_PAD src0_sel:WORD_0 src1_sel:DWORD
	s_waitcnt lgkmcnt(0)
	v_pk_fma_f16 v45, v1, v41, v45
	v_pk_fma_f16 v46, v1, v44, v46
	;; [unrolled: 1-line block ×8, first 2 shown]
	v_mul_u32_u24_sdwa v13, v63, v25 dst_sel:DWORD dst_unused:UNUSED_PAD src0_sel:WORD_0 src1_sel:DWORD
	v_mul_u32_u24_sdwa v41, v63, v25 dst_sel:DWORD dst_unused:UNUSED_PAD src0_sel:WORD_1 src1_sel:DWORD
	v_mul_u32_u24_sdwa v44, v64, v25 dst_sel:DWORD dst_unused:UNUSED_PAD src0_sel:WORD_0 src1_sel:DWORD
	v_mul_u32_u24_sdwa v48, v64, v25 dst_sel:DWORD dst_unused:UNUSED_PAD src0_sel:WORD_1 src1_sel:DWORD
	v_pk_fma_f16 v45, v3, v13, v45
	v_pk_fma_f16 v46, v3, v41, v46
	;; [unrolled: 1-line block ×8, first 2 shown]
	ds_read2_b64 v[1:4], v37 offset0:192 offset1:224
	v_mul_u32_u24_sdwa v37, v65, v25 dst_sel:DWORD dst_unused:UNUSED_PAD src0_sel:WORD_0 src1_sel:DWORD
	v_mul_u32_u24_sdwa v41, v65, v25 dst_sel:DWORD dst_unused:UNUSED_PAD src0_sel:WORD_1 src1_sel:DWORD
	v_mul_u32_u24_sdwa v44, v66, v25 dst_sel:DWORD dst_unused:UNUSED_PAD src0_sel:WORD_0 src1_sel:DWORD
	v_mul_u32_u24_sdwa v48, v66, v25 dst_sel:DWORD dst_unused:UNUSED_PAD src0_sel:WORD_1 src1_sel:DWORD
	s_waitcnt lgkmcnt(0)
	v_pk_fma_f16 v45, v1, v37, v45
	v_pk_fma_f16 v46, v1, v41, v46
	;; [unrolled: 1-line block ×8, first 2 shown]
	v_mul_u32_u24_sdwa v13, v67, v25 dst_sel:DWORD dst_unused:UNUSED_PAD src0_sel:WORD_0 src1_sel:DWORD
	v_mul_u32_u24_sdwa v37, v67, v25 dst_sel:DWORD dst_unused:UNUSED_PAD src0_sel:WORD_1 src1_sel:DWORD
	v_mul_u32_u24_sdwa v41, v68, v25 dst_sel:DWORD dst_unused:UNUSED_PAD src0_sel:WORD_0 src1_sel:DWORD
	v_mul_u32_u24_sdwa v44, v68, v25 dst_sel:DWORD dst_unused:UNUSED_PAD src0_sel:WORD_1 src1_sel:DWORD
	v_pk_fma_f16 v45, v3, v13, v45
	v_pk_fma_f16 v46, v3, v37, v46
	;; [unrolled: 1-line block ×8, first 2 shown]
	ds_read2_b64 v[1:4], v42 offset1:32
	ds_read_b128 v[10:13], v36 offset:19008
	s_waitcnt lgkmcnt(0)
	v_mul_u32_u24_sdwa v50, v10, v25 dst_sel:DWORD dst_unused:UNUSED_PAD src0_sel:WORD_0 src1_sel:DWORD
	v_mul_u32_u24_sdwa v10, v10, v25 dst_sel:DWORD dst_unused:UNUSED_PAD src0_sel:WORD_1 src1_sel:DWORD
	v_mul_u32_u24_sdwa v51, v11, v25 dst_sel:DWORD dst_unused:UNUSED_PAD src0_sel:WORD_0 src1_sel:DWORD
	v_mul_u32_u24_sdwa v11, v11, v25 dst_sel:DWORD dst_unused:UNUSED_PAD src0_sel:WORD_1 src1_sel:DWORD
	v_pk_fma_f16 v45, v1, v50, v45
	v_pk_fma_f16 v46, v1, v10, v46
	v_pk_fma_f16 v47, v1, v51, v47
	v_pk_fma_f16 v1, v1, v11, v48
	v_pk_fma_f16 v48, v2, v50, v49
	v_pk_fma_f16 v10, v2, v10, v37
	v_pk_fma_f16 v37, v2, v51, v41
	v_pk_fma_f16 v2, v2, v11, v44
	v_mul_u32_u24_sdwa v11, v12, v25 dst_sel:DWORD dst_unused:UNUSED_PAD src0_sel:WORD_0 src1_sel:DWORD
	v_mul_u32_u24_sdwa v12, v12, v25 dst_sel:DWORD dst_unused:UNUSED_PAD src0_sel:WORD_1 src1_sel:DWORD
	v_mul_u32_u24_sdwa v41, v13, v25 dst_sel:DWORD dst_unused:UNUSED_PAD src0_sel:WORD_0 src1_sel:DWORD
	v_mul_u32_u24_sdwa v13, v13, v25 dst_sel:DWORD dst_unused:UNUSED_PAD src0_sel:WORD_1 src1_sel:DWORD
	v_pk_fma_f16 v44, v3, v11, v45
	v_pk_fma_f16 v45, v3, v12, v46
	v_pk_fma_f16 v46, v3, v41, v47
	v_pk_fma_f16 v47, v3, v13, v1
	v_pk_fma_f16 v48, v4, v11, v48
	v_pk_fma_f16 v49, v4, v12, v10
	v_pk_fma_f16 v37, v4, v41, v37
	v_pk_fma_f16 v41, v4, v13, v2
	ds_read2_b64 v[1:4], v42 offset0:64 offset1:96
	ds_read_b128 v[10:13], v36 offset:19024
	s_waitcnt lgkmcnt(0)
	v_mul_u32_u24_sdwa v50, v10, v25 dst_sel:DWORD dst_unused:UNUSED_PAD src0_sel:WORD_0 src1_sel:DWORD
	v_mul_u32_u24_sdwa v10, v10, v25 dst_sel:DWORD dst_unused:UNUSED_PAD src0_sel:WORD_1 src1_sel:DWORD
	v_mul_u32_u24_sdwa v51, v11, v25 dst_sel:DWORD dst_unused:UNUSED_PAD src0_sel:WORD_0 src1_sel:DWORD
	v_mul_u32_u24_sdwa v11, v11, v25 dst_sel:DWORD dst_unused:UNUSED_PAD src0_sel:WORD_1 src1_sel:DWORD
	v_pk_fma_f16 v44, v1, v50, v44
	v_pk_fma_f16 v45, v1, v10, v45
	v_pk_fma_f16 v46, v1, v51, v46
	v_pk_fma_f16 v1, v1, v11, v47
	v_pk_fma_f16 v47, v2, v50, v48
	v_pk_fma_f16 v10, v2, v10, v49
	v_pk_fma_f16 v37, v2, v51, v37
	v_pk_fma_f16 v2, v2, v11, v41
	v_mul_u32_u24_sdwa v11, v12, v25 dst_sel:DWORD dst_unused:UNUSED_PAD src0_sel:WORD_0 src1_sel:DWORD
	v_mul_u32_u24_sdwa v12, v12, v25 dst_sel:DWORD dst_unused:UNUSED_PAD src0_sel:WORD_1 src1_sel:DWORD
	v_mul_u32_u24_sdwa v41, v13, v25 dst_sel:DWORD dst_unused:UNUSED_PAD src0_sel:WORD_0 src1_sel:DWORD
	v_mul_u32_u24_sdwa v13, v13, v25 dst_sel:DWORD dst_unused:UNUSED_PAD src0_sel:WORD_1 src1_sel:DWORD
	v_pk_fma_f16 v44, v3, v11, v44
	v_pk_fma_f16 v45, v3, v12, v45
	v_pk_fma_f16 v46, v3, v41, v46
	v_pk_fma_f16 v48, v3, v13, v1
	v_pk_fma_f16 v47, v4, v11, v47
	v_pk_fma_f16 v49, v4, v12, v10
	v_pk_fma_f16 v37, v4, v41, v37
	v_pk_fma_f16 v41, v4, v13, v2
	ds_read2_b64 v[1:4], v42 offset0:128 offset1:160
	;; [unrolled: 27-line block ×3, first 2 shown]
	ds_read_b128 v[10:13], v36 offset:19056
	s_waitcnt lgkmcnt(0)
	v_mul_u32_u24_sdwa v42, v10, v25 dst_sel:DWORD dst_unused:UNUSED_PAD src0_sel:WORD_0 src1_sel:DWORD
	v_mul_u32_u24_sdwa v10, v10, v25 dst_sel:DWORD dst_unused:UNUSED_PAD src0_sel:WORD_1 src1_sel:DWORD
	v_mul_u32_u24_sdwa v50, v11, v25 dst_sel:DWORD dst_unused:UNUSED_PAD src0_sel:WORD_0 src1_sel:DWORD
	v_mul_u32_u24_sdwa v11, v11, v25 dst_sel:DWORD dst_unused:UNUSED_PAD src0_sel:WORD_1 src1_sel:DWORD
	v_pk_fma_f16 v44, v1, v42, v44
	v_pk_fma_f16 v45, v1, v10, v45
	;; [unrolled: 1-line block ×8, first 2 shown]
	v_mul_u32_u24_sdwa v11, v12, v25 dst_sel:DWORD dst_unused:UNUSED_PAD src0_sel:WORD_0 src1_sel:DWORD
	v_mul_u32_u24_sdwa v12, v12, v25 dst_sel:DWORD dst_unused:UNUSED_PAD src0_sel:WORD_1 src1_sel:DWORD
	v_mul_u32_u24_sdwa v41, v13, v25 dst_sel:DWORD dst_unused:UNUSED_PAD src0_sel:WORD_0 src1_sel:DWORD
	v_mul_u32_u24_sdwa v13, v13, v25 dst_sel:DWORD dst_unused:UNUSED_PAD src0_sel:WORD_1 src1_sel:DWORD
	v_pk_fma_f16 v44, v3, v11, v44
	v_pk_fma_f16 v45, v3, v12, v45
	;; [unrolled: 1-line block ×8, first 2 shown]
	ds_read2_b64 v[1:4], v43 offset1:32
	ds_read_b128 v[10:13], v36 offset:19072
	s_waitcnt lgkmcnt(0)
	v_mul_u32_u24_sdwa v49, v10, v25 dst_sel:DWORD dst_unused:UNUSED_PAD src0_sel:WORD_0 src1_sel:DWORD
	v_mul_u32_u24_sdwa v10, v10, v25 dst_sel:DWORD dst_unused:UNUSED_PAD src0_sel:WORD_1 src1_sel:DWORD
	v_mul_u32_u24_sdwa v50, v11, v25 dst_sel:DWORD dst_unused:UNUSED_PAD src0_sel:WORD_0 src1_sel:DWORD
	v_mul_u32_u24_sdwa v11, v11, v25 dst_sel:DWORD dst_unused:UNUSED_PAD src0_sel:WORD_1 src1_sel:DWORD
	v_pk_fma_f16 v44, v1, v49, v44
	v_pk_fma_f16 v45, v1, v10, v45
	v_pk_fma_f16 v46, v1, v50, v46
	v_pk_fma_f16 v1, v1, v11, v47
	v_pk_fma_f16 v42, v2, v49, v42
	v_pk_fma_f16 v10, v2, v10, v48
	v_pk_fma_f16 v37, v2, v50, v37
	v_pk_fma_f16 v2, v2, v11, v41
	v_mul_u32_u24_sdwa v11, v12, v25 dst_sel:DWORD dst_unused:UNUSED_PAD src0_sel:WORD_0 src1_sel:DWORD
	v_mul_u32_u24_sdwa v12, v12, v25 dst_sel:DWORD dst_unused:UNUSED_PAD src0_sel:WORD_1 src1_sel:DWORD
	v_mul_u32_u24_sdwa v41, v13, v25 dst_sel:DWORD dst_unused:UNUSED_PAD src0_sel:WORD_0 src1_sel:DWORD
	v_mul_u32_u24_sdwa v13, v13, v25 dst_sel:DWORD dst_unused:UNUSED_PAD src0_sel:WORD_1 src1_sel:DWORD
	v_pk_fma_f16 v44, v3, v11, v44
	v_pk_fma_f16 v45, v3, v12, v45
	v_pk_fma_f16 v46, v3, v41, v46
	v_pk_fma_f16 v47, v3, v13, v1
	v_pk_fma_f16 v42, v4, v11, v42
	v_pk_fma_f16 v48, v4, v12, v10
	v_pk_fma_f16 v37, v4, v41, v37
	v_pk_fma_f16 v41, v4, v13, v2
	ds_read2_b64 v[1:4], v43 offset0:64 offset1:96
	ds_read_b128 v[10:13], v36 offset:19088
	s_waitcnt lgkmcnt(0)
	v_mul_u32_u24_sdwa v49, v10, v25 dst_sel:DWORD dst_unused:UNUSED_PAD src0_sel:WORD_0 src1_sel:DWORD
	v_mul_u32_u24_sdwa v10, v10, v25 dst_sel:DWORD dst_unused:UNUSED_PAD src0_sel:WORD_1 src1_sel:DWORD
	v_mul_u32_u24_sdwa v50, v11, v25 dst_sel:DWORD dst_unused:UNUSED_PAD src0_sel:WORD_0 src1_sel:DWORD
	v_mul_u32_u24_sdwa v11, v11, v25 dst_sel:DWORD dst_unused:UNUSED_PAD src0_sel:WORD_1 src1_sel:DWORD
	v_pk_fma_f16 v44, v1, v49, v44
	v_pk_fma_f16 v45, v1, v10, v45
	v_pk_fma_f16 v46, v1, v50, v46
	v_pk_fma_f16 v1, v1, v11, v47
	v_pk_fma_f16 v42, v2, v49, v42
	v_pk_fma_f16 v10, v2, v10, v48
	v_pk_fma_f16 v37, v2, v50, v37
	v_pk_fma_f16 v2, v2, v11, v41
	v_mul_u32_u24_sdwa v11, v12, v25 dst_sel:DWORD dst_unused:UNUSED_PAD src0_sel:WORD_0 src1_sel:DWORD
	v_mul_u32_u24_sdwa v12, v12, v25 dst_sel:DWORD dst_unused:UNUSED_PAD src0_sel:WORD_1 src1_sel:DWORD
	v_mul_u32_u24_sdwa v41, v13, v25 dst_sel:DWORD dst_unused:UNUSED_PAD src0_sel:WORD_0 src1_sel:DWORD
	v_mul_u32_u24_sdwa v13, v13, v25 dst_sel:DWORD dst_unused:UNUSED_PAD src0_sel:WORD_1 src1_sel:DWORD
	v_pk_fma_f16 v44, v3, v11, v44
	v_pk_fma_f16 v45, v3, v12, v45
	v_pk_fma_f16 v46, v3, v41, v46
	v_pk_fma_f16 v47, v3, v13, v1
	v_pk_fma_f16 v42, v4, v11, v42
	v_pk_fma_f16 v48, v4, v12, v10
	v_pk_fma_f16 v37, v4, v41, v37
	v_pk_fma_f16 v41, v4, v13, v2
	ds_read2_b64 v[1:4], v43 offset0:128 offset1:160
	;; [unrolled: 27-line block ×3, first 2 shown]
	ds_read_b128 v[10:13], v36 offset:19120
	s_waitcnt lgkmcnt(0)
	v_mul_u32_u24_sdwa v43, v10, v25 dst_sel:DWORD dst_unused:UNUSED_PAD src0_sel:WORD_0 src1_sel:DWORD
	v_mul_u32_u24_sdwa v10, v10, v25 dst_sel:DWORD dst_unused:UNUSED_PAD src0_sel:WORD_1 src1_sel:DWORD
	v_mul_u32_u24_sdwa v49, v11, v25 dst_sel:DWORD dst_unused:UNUSED_PAD src0_sel:WORD_0 src1_sel:DWORD
	v_mul_u32_u24_sdwa v11, v11, v25 dst_sel:DWORD dst_unused:UNUSED_PAD src0_sel:WORD_1 src1_sel:DWORD
	v_pk_fma_f16 v44, v1, v43, v44
	v_pk_fma_f16 v45, v1, v10, v45
	;; [unrolled: 1-line block ×8, first 2 shown]
	v_mul_u32_u24_sdwa v11, v12, v25 dst_sel:DWORD dst_unused:UNUSED_PAD src0_sel:WORD_0 src1_sel:DWORD
	v_mul_u32_u24_sdwa v12, v12, v25 dst_sel:DWORD dst_unused:UNUSED_PAD src0_sel:WORD_1 src1_sel:DWORD
	v_mul_u32_u24_sdwa v41, v13, v25 dst_sel:DWORD dst_unused:UNUSED_PAD src0_sel:WORD_0 src1_sel:DWORD
	v_mul_u32_u24_sdwa v13, v13, v25 dst_sel:DWORD dst_unused:UNUSED_PAD src0_sel:WORD_1 src1_sel:DWORD
	v_pk_fma_f16 v43, v3, v11, v44
	v_pk_fma_f16 v44, v3, v12, v45
	;; [unrolled: 1-line block ×8, first 2 shown]
	ds_read2_b64 v[1:4], v40 offset1:32
	ds_read_b128 v[10:13], v36 offset:19136
	s_waitcnt lgkmcnt(0)
	v_mul_u32_u24_sdwa v48, v10, v25 dst_sel:DWORD dst_unused:UNUSED_PAD src0_sel:WORD_0 src1_sel:DWORD
	v_mul_u32_u24_sdwa v10, v10, v25 dst_sel:DWORD dst_unused:UNUSED_PAD src0_sel:WORD_1 src1_sel:DWORD
	v_mul_u32_u24_sdwa v49, v11, v25 dst_sel:DWORD dst_unused:UNUSED_PAD src0_sel:WORD_0 src1_sel:DWORD
	v_mul_u32_u24_sdwa v11, v11, v25 dst_sel:DWORD dst_unused:UNUSED_PAD src0_sel:WORD_1 src1_sel:DWORD
	v_pk_fma_f16 v43, v1, v48, v43
	v_pk_fma_f16 v44, v1, v10, v44
	v_pk_fma_f16 v45, v1, v49, v45
	v_pk_fma_f16 v1, v1, v11, v46
	v_pk_fma_f16 v42, v2, v48, v42
	v_pk_fma_f16 v10, v2, v10, v47
	v_pk_fma_f16 v37, v2, v49, v37
	v_pk_fma_f16 v2, v2, v11, v41
	v_mul_u32_u24_sdwa v11, v12, v25 dst_sel:DWORD dst_unused:UNUSED_PAD src0_sel:WORD_0 src1_sel:DWORD
	v_mul_u32_u24_sdwa v12, v12, v25 dst_sel:DWORD dst_unused:UNUSED_PAD src0_sel:WORD_1 src1_sel:DWORD
	v_mul_u32_u24_sdwa v41, v13, v25 dst_sel:DWORD dst_unused:UNUSED_PAD src0_sel:WORD_0 src1_sel:DWORD
	v_mul_u32_u24_sdwa v13, v13, v25 dst_sel:DWORD dst_unused:UNUSED_PAD src0_sel:WORD_1 src1_sel:DWORD
	v_pk_fma_f16 v43, v3, v11, v43
	v_pk_fma_f16 v44, v3, v12, v44
	v_pk_fma_f16 v45, v3, v41, v45
	v_pk_fma_f16 v46, v3, v13, v1
	v_pk_fma_f16 v42, v4, v11, v42
	v_pk_fma_f16 v47, v4, v12, v10
	v_pk_fma_f16 v37, v4, v41, v37
	v_pk_fma_f16 v41, v4, v13, v2
	ds_read2_b64 v[1:4], v40 offset0:64 offset1:96
	ds_read_b128 v[10:13], v36 offset:19152
	s_waitcnt lgkmcnt(0)
	v_mul_u32_u24_sdwa v48, v10, v25 dst_sel:DWORD dst_unused:UNUSED_PAD src0_sel:WORD_0 src1_sel:DWORD
	v_mul_u32_u24_sdwa v10, v10, v25 dst_sel:DWORD dst_unused:UNUSED_PAD src0_sel:WORD_1 src1_sel:DWORD
	v_mul_u32_u24_sdwa v49, v11, v25 dst_sel:DWORD dst_unused:UNUSED_PAD src0_sel:WORD_0 src1_sel:DWORD
	v_mul_u32_u24_sdwa v11, v11, v25 dst_sel:DWORD dst_unused:UNUSED_PAD src0_sel:WORD_1 src1_sel:DWORD
	v_pk_fma_f16 v43, v1, v48, v43
	v_pk_fma_f16 v44, v1, v10, v44
	v_pk_fma_f16 v45, v1, v49, v45
	v_pk_fma_f16 v1, v1, v11, v46
	v_pk_fma_f16 v42, v2, v48, v42
	v_pk_fma_f16 v10, v2, v10, v47
	v_pk_fma_f16 v37, v2, v49, v37
	v_pk_fma_f16 v2, v2, v11, v41
	v_mul_u32_u24_sdwa v11, v12, v25 dst_sel:DWORD dst_unused:UNUSED_PAD src0_sel:WORD_0 src1_sel:DWORD
	v_mul_u32_u24_sdwa v12, v12, v25 dst_sel:DWORD dst_unused:UNUSED_PAD src0_sel:WORD_1 src1_sel:DWORD
	v_mul_u32_u24_sdwa v41, v13, v25 dst_sel:DWORD dst_unused:UNUSED_PAD src0_sel:WORD_0 src1_sel:DWORD
	v_mul_u32_u24_sdwa v13, v13, v25 dst_sel:DWORD dst_unused:UNUSED_PAD src0_sel:WORD_1 src1_sel:DWORD
	v_pk_fma_f16 v43, v3, v11, v43
	v_pk_fma_f16 v44, v3, v12, v44
	v_pk_fma_f16 v45, v3, v41, v45
	v_pk_fma_f16 v46, v3, v13, v1
	v_pk_fma_f16 v42, v4, v11, v42
	v_pk_fma_f16 v47, v4, v12, v10
	v_pk_fma_f16 v37, v4, v41, v37
	v_pk_fma_f16 v41, v4, v13, v2
	ds_read2_b64 v[1:4], v40 offset0:128 offset1:160
	;; [unrolled: 27-line block ×3, first 2 shown]
	ds_read_b128 v[10:13], v36 offset:19184
	s_waitcnt lgkmcnt(0)
	v_mul_u32_u24_sdwa v40, v10, v25 dst_sel:DWORD dst_unused:UNUSED_PAD src0_sel:WORD_0 src1_sel:DWORD
	v_mul_u32_u24_sdwa v10, v10, v25 dst_sel:DWORD dst_unused:UNUSED_PAD src0_sel:WORD_1 src1_sel:DWORD
	v_mul_u32_u24_sdwa v48, v11, v25 dst_sel:DWORD dst_unused:UNUSED_PAD src0_sel:WORD_0 src1_sel:DWORD
	v_mul_u32_u24_sdwa v11, v11, v25 dst_sel:DWORD dst_unused:UNUSED_PAD src0_sel:WORD_1 src1_sel:DWORD
	v_pk_fma_f16 v43, v1, v40, v43
	v_pk_fma_f16 v44, v1, v10, v44
	;; [unrolled: 1-line block ×8, first 2 shown]
	v_mul_u32_u24_sdwa v11, v12, v25 dst_sel:DWORD dst_unused:UNUSED_PAD src0_sel:WORD_0 src1_sel:DWORD
	v_mul_u32_u24_sdwa v12, v12, v25 dst_sel:DWORD dst_unused:UNUSED_PAD src0_sel:WORD_1 src1_sel:DWORD
	v_mul_u32_u24_sdwa v41, v13, v25 dst_sel:DWORD dst_unused:UNUSED_PAD src0_sel:WORD_0 src1_sel:DWORD
	v_mul_u32_u24_sdwa v13, v13, v25 dst_sel:DWORD dst_unused:UNUSED_PAD src0_sel:WORD_1 src1_sel:DWORD
	v_pk_fma_f16 v42, v3, v11, v43
	v_pk_fma_f16 v43, v3, v12, v44
	;; [unrolled: 1-line block ×8, first 2 shown]
	ds_read2_b64 v[1:4], v39 offset1:32
	ds_read_b128 v[10:13], v36 offset:19200
	s_waitcnt lgkmcnt(0)
	v_mul_u32_u24_sdwa v47, v10, v25 dst_sel:DWORD dst_unused:UNUSED_PAD src0_sel:WORD_0 src1_sel:DWORD
	v_mul_u32_u24_sdwa v10, v10, v25 dst_sel:DWORD dst_unused:UNUSED_PAD src0_sel:WORD_1 src1_sel:DWORD
	v_mul_u32_u24_sdwa v48, v11, v25 dst_sel:DWORD dst_unused:UNUSED_PAD src0_sel:WORD_0 src1_sel:DWORD
	v_mul_u32_u24_sdwa v11, v11, v25 dst_sel:DWORD dst_unused:UNUSED_PAD src0_sel:WORD_1 src1_sel:DWORD
	v_pk_fma_f16 v42, v1, v47, v42
	v_pk_fma_f16 v43, v1, v10, v43
	v_pk_fma_f16 v44, v1, v48, v44
	v_pk_fma_f16 v1, v1, v11, v45
	v_pk_fma_f16 v40, v2, v47, v40
	v_pk_fma_f16 v10, v2, v10, v46
	v_pk_fma_f16 v37, v2, v48, v37
	v_pk_fma_f16 v2, v2, v11, v41
	v_mul_u32_u24_sdwa v11, v12, v25 dst_sel:DWORD dst_unused:UNUSED_PAD src0_sel:WORD_0 src1_sel:DWORD
	v_mul_u32_u24_sdwa v12, v12, v25 dst_sel:DWORD dst_unused:UNUSED_PAD src0_sel:WORD_1 src1_sel:DWORD
	v_mul_u32_u24_sdwa v41, v13, v25 dst_sel:DWORD dst_unused:UNUSED_PAD src0_sel:WORD_0 src1_sel:DWORD
	v_mul_u32_u24_sdwa v13, v13, v25 dst_sel:DWORD dst_unused:UNUSED_PAD src0_sel:WORD_1 src1_sel:DWORD
	v_pk_fma_f16 v42, v3, v11, v42
	v_pk_fma_f16 v43, v3, v12, v43
	v_pk_fma_f16 v44, v3, v41, v44
	v_pk_fma_f16 v45, v3, v13, v1
	v_pk_fma_f16 v40, v4, v11, v40
	v_pk_fma_f16 v46, v4, v12, v10
	v_pk_fma_f16 v37, v4, v41, v37
	v_pk_fma_f16 v41, v4, v13, v2
	ds_read2_b64 v[1:4], v39 offset0:64 offset1:96
	ds_read_b128 v[10:13], v36 offset:19216
	s_waitcnt lgkmcnt(0)
	v_mul_u32_u24_sdwa v47, v10, v25 dst_sel:DWORD dst_unused:UNUSED_PAD src0_sel:WORD_0 src1_sel:DWORD
	v_mul_u32_u24_sdwa v10, v10, v25 dst_sel:DWORD dst_unused:UNUSED_PAD src0_sel:WORD_1 src1_sel:DWORD
	v_mul_u32_u24_sdwa v48, v11, v25 dst_sel:DWORD dst_unused:UNUSED_PAD src0_sel:WORD_0 src1_sel:DWORD
	v_mul_u32_u24_sdwa v11, v11, v25 dst_sel:DWORD dst_unused:UNUSED_PAD src0_sel:WORD_1 src1_sel:DWORD
	v_pk_fma_f16 v42, v1, v47, v42
	v_pk_fma_f16 v43, v1, v10, v43
	v_pk_fma_f16 v44, v1, v48, v44
	v_pk_fma_f16 v1, v1, v11, v45
	v_pk_fma_f16 v40, v2, v47, v40
	v_pk_fma_f16 v10, v2, v10, v46
	v_pk_fma_f16 v37, v2, v48, v37
	v_pk_fma_f16 v2, v2, v11, v41
	v_mul_u32_u24_sdwa v11, v12, v25 dst_sel:DWORD dst_unused:UNUSED_PAD src0_sel:WORD_0 src1_sel:DWORD
	v_mul_u32_u24_sdwa v12, v12, v25 dst_sel:DWORD dst_unused:UNUSED_PAD src0_sel:WORD_1 src1_sel:DWORD
	v_mul_u32_u24_sdwa v41, v13, v25 dst_sel:DWORD dst_unused:UNUSED_PAD src0_sel:WORD_0 src1_sel:DWORD
	v_mul_u32_u24_sdwa v13, v13, v25 dst_sel:DWORD dst_unused:UNUSED_PAD src0_sel:WORD_1 src1_sel:DWORD
	v_pk_fma_f16 v42, v3, v11, v42
	v_pk_fma_f16 v43, v3, v12, v43
	v_pk_fma_f16 v44, v3, v41, v44
	v_pk_fma_f16 v45, v3, v13, v1
	v_pk_fma_f16 v40, v4, v11, v40
	v_pk_fma_f16 v46, v4, v12, v10
	v_pk_fma_f16 v37, v4, v41, v37
	v_pk_fma_f16 v41, v4, v13, v2
	ds_read2_b64 v[1:4], v39 offset0:128 offset1:160
	;; [unrolled: 27-line block ×3, first 2 shown]
	ds_read_b128 v[10:13], v36 offset:19248
	s_waitcnt lgkmcnt(0)
	v_mul_u32_u24_sdwa v39, v10, v25 dst_sel:DWORD dst_unused:UNUSED_PAD src0_sel:WORD_0 src1_sel:DWORD
	v_mul_u32_u24_sdwa v10, v10, v25 dst_sel:DWORD dst_unused:UNUSED_PAD src0_sel:WORD_1 src1_sel:DWORD
	v_mul_u32_u24_sdwa v47, v11, v25 dst_sel:DWORD dst_unused:UNUSED_PAD src0_sel:WORD_0 src1_sel:DWORD
	v_mul_u32_u24_sdwa v11, v11, v25 dst_sel:DWORD dst_unused:UNUSED_PAD src0_sel:WORD_1 src1_sel:DWORD
	v_pk_fma_f16 v42, v1, v39, v42
	v_pk_fma_f16 v43, v1, v10, v43
	;; [unrolled: 1-line block ×8, first 2 shown]
	v_mul_u32_u24_sdwa v11, v12, v25 dst_sel:DWORD dst_unused:UNUSED_PAD src0_sel:WORD_0 src1_sel:DWORD
	v_mul_u32_u24_sdwa v12, v12, v25 dst_sel:DWORD dst_unused:UNUSED_PAD src0_sel:WORD_1 src1_sel:DWORD
	v_mul_u32_u24_sdwa v40, v13, v25 dst_sel:DWORD dst_unused:UNUSED_PAD src0_sel:WORD_0 src1_sel:DWORD
	v_mul_u32_u24_sdwa v13, v13, v25 dst_sel:DWORD dst_unused:UNUSED_PAD src0_sel:WORD_1 src1_sel:DWORD
	v_pk_fma_f16 v41, v3, v11, v42
	v_pk_fma_f16 v42, v3, v12, v43
	;; [unrolled: 1-line block ×8, first 2 shown]
	ds_read2_b64 v[1:4], v38 offset1:32
	ds_read_b128 v[10:13], v36 offset:19264
	s_waitcnt lgkmcnt(0)
	v_mul_u32_u24_sdwa v46, v10, v25 dst_sel:DWORD dst_unused:UNUSED_PAD src0_sel:WORD_0 src1_sel:DWORD
	v_mul_u32_u24_sdwa v10, v10, v25 dst_sel:DWORD dst_unused:UNUSED_PAD src0_sel:WORD_1 src1_sel:DWORD
	v_mul_u32_u24_sdwa v47, v11, v25 dst_sel:DWORD dst_unused:UNUSED_PAD src0_sel:WORD_0 src1_sel:DWORD
	v_mul_u32_u24_sdwa v11, v11, v25 dst_sel:DWORD dst_unused:UNUSED_PAD src0_sel:WORD_1 src1_sel:DWORD
	v_pk_fma_f16 v41, v1, v46, v41
	v_pk_fma_f16 v42, v1, v10, v42
	v_pk_fma_f16 v43, v1, v47, v43
	v_pk_fma_f16 v1, v1, v11, v44
	v_pk_fma_f16 v39, v2, v46, v39
	v_pk_fma_f16 v10, v2, v10, v45
	v_pk_fma_f16 v37, v2, v47, v37
	v_pk_fma_f16 v2, v2, v11, v40
	v_mul_u32_u24_sdwa v11, v12, v25 dst_sel:DWORD dst_unused:UNUSED_PAD src0_sel:WORD_0 src1_sel:DWORD
	v_mul_u32_u24_sdwa v12, v12, v25 dst_sel:DWORD dst_unused:UNUSED_PAD src0_sel:WORD_1 src1_sel:DWORD
	v_mul_u32_u24_sdwa v40, v13, v25 dst_sel:DWORD dst_unused:UNUSED_PAD src0_sel:WORD_0 src1_sel:DWORD
	v_mul_u32_u24_sdwa v13, v13, v25 dst_sel:DWORD dst_unused:UNUSED_PAD src0_sel:WORD_1 src1_sel:DWORD
	v_pk_fma_f16 v41, v3, v11, v41
	v_pk_fma_f16 v42, v3, v12, v42
	v_pk_fma_f16 v43, v3, v40, v43
	v_pk_fma_f16 v44, v3, v13, v1
	v_pk_fma_f16 v39, v4, v11, v39
	v_pk_fma_f16 v45, v4, v12, v10
	v_pk_fma_f16 v37, v4, v40, v37
	v_pk_fma_f16 v40, v4, v13, v2
	ds_read2_b64 v[1:4], v38 offset0:64 offset1:96
	ds_read_b128 v[10:13], v36 offset:19280
	s_waitcnt lgkmcnt(0)
	v_mul_u32_u24_sdwa v46, v10, v25 dst_sel:DWORD dst_unused:UNUSED_PAD src0_sel:WORD_0 src1_sel:DWORD
	v_mul_u32_u24_sdwa v10, v10, v25 dst_sel:DWORD dst_unused:UNUSED_PAD src0_sel:WORD_1 src1_sel:DWORD
	v_mul_u32_u24_sdwa v47, v11, v25 dst_sel:DWORD dst_unused:UNUSED_PAD src0_sel:WORD_0 src1_sel:DWORD
	v_mul_u32_u24_sdwa v11, v11, v25 dst_sel:DWORD dst_unused:UNUSED_PAD src0_sel:WORD_1 src1_sel:DWORD
	v_pk_fma_f16 v41, v1, v46, v41
	v_pk_fma_f16 v42, v1, v10, v42
	v_pk_fma_f16 v43, v1, v47, v43
	v_pk_fma_f16 v1, v1, v11, v44
	v_pk_fma_f16 v39, v2, v46, v39
	v_pk_fma_f16 v10, v2, v10, v45
	v_pk_fma_f16 v37, v2, v47, v37
	v_pk_fma_f16 v2, v2, v11, v40
	v_mul_u32_u24_sdwa v11, v12, v25 dst_sel:DWORD dst_unused:UNUSED_PAD src0_sel:WORD_0 src1_sel:DWORD
	v_mul_u32_u24_sdwa v12, v12, v25 dst_sel:DWORD dst_unused:UNUSED_PAD src0_sel:WORD_1 src1_sel:DWORD
	v_mul_u32_u24_sdwa v40, v13, v25 dst_sel:DWORD dst_unused:UNUSED_PAD src0_sel:WORD_0 src1_sel:DWORD
	v_mul_u32_u24_sdwa v13, v13, v25 dst_sel:DWORD dst_unused:UNUSED_PAD src0_sel:WORD_1 src1_sel:DWORD
	v_pk_fma_f16 v41, v3, v11, v41
	v_pk_fma_f16 v42, v3, v12, v42
	v_pk_fma_f16 v43, v3, v40, v43
	v_pk_fma_f16 v44, v3, v13, v1
	v_pk_fma_f16 v39, v4, v11, v39
	v_pk_fma_f16 v45, v4, v12, v10
	v_pk_fma_f16 v37, v4, v40, v37
	v_pk_fma_f16 v40, v4, v13, v2
	ds_read2_b64 v[1:4], v38 offset0:128 offset1:160
	;; [unrolled: 27-line block ×3, first 2 shown]
	ds_read_b128 v[10:13], v36 offset:19312
	s_waitcnt lgkmcnt(0)
	v_mul_u32_u24_sdwa v38, v10, v25 dst_sel:DWORD dst_unused:UNUSED_PAD src0_sel:WORD_0 src1_sel:DWORD
	v_mul_u32_u24_sdwa v10, v10, v25 dst_sel:DWORD dst_unused:UNUSED_PAD src0_sel:WORD_1 src1_sel:DWORD
	v_mul_u32_u24_sdwa v46, v11, v25 dst_sel:DWORD dst_unused:UNUSED_PAD src0_sel:WORD_0 src1_sel:DWORD
	v_mul_u32_u24_sdwa v11, v11, v25 dst_sel:DWORD dst_unused:UNUSED_PAD src0_sel:WORD_1 src1_sel:DWORD
	v_pk_fma_f16 v41, v1, v38, v41
	v_pk_fma_f16 v42, v1, v10, v42
	;; [unrolled: 1-line block ×8, first 2 shown]
	v_mul_u32_u24_sdwa v11, v12, v25 dst_sel:DWORD dst_unused:UNUSED_PAD src0_sel:WORD_0 src1_sel:DWORD
	v_mul_u32_u24_sdwa v12, v12, v25 dst_sel:DWORD dst_unused:UNUSED_PAD src0_sel:WORD_1 src1_sel:DWORD
	v_mul_u32_u24_sdwa v39, v13, v25 dst_sel:DWORD dst_unused:UNUSED_PAD src0_sel:WORD_0 src1_sel:DWORD
	v_mul_u32_u24_sdwa v13, v13, v25 dst_sel:DWORD dst_unused:UNUSED_PAD src0_sel:WORD_1 src1_sel:DWORD
	v_pk_fma_f16 v40, v3, v11, v41
	v_pk_fma_f16 v41, v3, v12, v42
	;; [unrolled: 1-line block ×8, first 2 shown]
	ds_read2_b64 v[1:4], v23 offset1:32
	ds_read_b128 v[10:13], v36 offset:19328
	s_waitcnt lgkmcnt(0)
	v_mul_u32_u24_sdwa v45, v10, v25 dst_sel:DWORD dst_unused:UNUSED_PAD src0_sel:WORD_0 src1_sel:DWORD
	v_mul_u32_u24_sdwa v10, v10, v25 dst_sel:DWORD dst_unused:UNUSED_PAD src0_sel:WORD_1 src1_sel:DWORD
	v_mul_u32_u24_sdwa v46, v11, v25 dst_sel:DWORD dst_unused:UNUSED_PAD src0_sel:WORD_0 src1_sel:DWORD
	v_mul_u32_u24_sdwa v11, v11, v25 dst_sel:DWORD dst_unused:UNUSED_PAD src0_sel:WORD_1 src1_sel:DWORD
	v_pk_fma_f16 v40, v1, v45, v40
	v_pk_fma_f16 v41, v1, v10, v41
	v_pk_fma_f16 v42, v1, v46, v42
	v_pk_fma_f16 v1, v1, v11, v43
	v_pk_fma_f16 v38, v2, v45, v38
	v_pk_fma_f16 v10, v2, v10, v44
	v_pk_fma_f16 v37, v2, v46, v37
	v_pk_fma_f16 v2, v2, v11, v39
	v_mul_u32_u24_sdwa v11, v12, v25 dst_sel:DWORD dst_unused:UNUSED_PAD src0_sel:WORD_0 src1_sel:DWORD
	v_mul_u32_u24_sdwa v12, v12, v25 dst_sel:DWORD dst_unused:UNUSED_PAD src0_sel:WORD_1 src1_sel:DWORD
	v_mul_u32_u24_sdwa v39, v13, v25 dst_sel:DWORD dst_unused:UNUSED_PAD src0_sel:WORD_0 src1_sel:DWORD
	v_mul_u32_u24_sdwa v13, v13, v25 dst_sel:DWORD dst_unused:UNUSED_PAD src0_sel:WORD_1 src1_sel:DWORD
	v_pk_fma_f16 v40, v3, v11, v40
	v_pk_fma_f16 v41, v3, v12, v41
	v_pk_fma_f16 v42, v3, v39, v42
	v_pk_fma_f16 v43, v3, v13, v1
	v_pk_fma_f16 v38, v4, v11, v38
	v_pk_fma_f16 v44, v4, v12, v10
	v_pk_fma_f16 v37, v4, v39, v37
	v_pk_fma_f16 v39, v4, v13, v2
	ds_read2_b64 v[1:4], v23 offset0:64 offset1:96
	ds_read_b128 v[10:13], v36 offset:19344
	s_waitcnt lgkmcnt(0)
	v_mul_u32_u24_sdwa v45, v10, v25 dst_sel:DWORD dst_unused:UNUSED_PAD src0_sel:WORD_0 src1_sel:DWORD
	v_mul_u32_u24_sdwa v10, v10, v25 dst_sel:DWORD dst_unused:UNUSED_PAD src0_sel:WORD_1 src1_sel:DWORD
	v_mul_u32_u24_sdwa v46, v11, v25 dst_sel:DWORD dst_unused:UNUSED_PAD src0_sel:WORD_0 src1_sel:DWORD
	v_mul_u32_u24_sdwa v11, v11, v25 dst_sel:DWORD dst_unused:UNUSED_PAD src0_sel:WORD_1 src1_sel:DWORD
	v_pk_fma_f16 v40, v1, v45, v40
	v_pk_fma_f16 v41, v1, v10, v41
	v_pk_fma_f16 v42, v1, v46, v42
	v_pk_fma_f16 v1, v1, v11, v43
	v_pk_fma_f16 v38, v2, v45, v38
	v_pk_fma_f16 v10, v2, v10, v44
	v_pk_fma_f16 v37, v2, v46, v37
	v_pk_fma_f16 v2, v2, v11, v39
	v_mul_u32_u24_sdwa v11, v12, v25 dst_sel:DWORD dst_unused:UNUSED_PAD src0_sel:WORD_0 src1_sel:DWORD
	v_mul_u32_u24_sdwa v12, v12, v25 dst_sel:DWORD dst_unused:UNUSED_PAD src0_sel:WORD_1 src1_sel:DWORD
	v_mul_u32_u24_sdwa v39, v13, v25 dst_sel:DWORD dst_unused:UNUSED_PAD src0_sel:WORD_0 src1_sel:DWORD
	v_mul_u32_u24_sdwa v13, v13, v25 dst_sel:DWORD dst_unused:UNUSED_PAD src0_sel:WORD_1 src1_sel:DWORD
	v_pk_fma_f16 v40, v3, v11, v40
	v_pk_fma_f16 v41, v3, v12, v41
	v_pk_fma_f16 v42, v3, v39, v42
	v_pk_fma_f16 v43, v3, v13, v1
	v_pk_fma_f16 v38, v4, v11, v38
	v_pk_fma_f16 v44, v4, v12, v10
	v_pk_fma_f16 v37, v4, v39, v37
	v_pk_fma_f16 v39, v4, v13, v2
	ds_read2_b64 v[1:4], v23 offset0:128 offset1:160
	;; [unrolled: 27-line block ×3, first 2 shown]
	ds_read_b128 v[10:13], v36 offset:19376
	s_waitcnt lgkmcnt(0)
	v_mul_u32_u24_sdwa v23, v10, v25 dst_sel:DWORD dst_unused:UNUSED_PAD src0_sel:WORD_0 src1_sel:DWORD
	v_mul_u32_u24_sdwa v10, v10, v25 dst_sel:DWORD dst_unused:UNUSED_PAD src0_sel:WORD_1 src1_sel:DWORD
	v_mul_u32_u24_sdwa v45, v11, v25 dst_sel:DWORD dst_unused:UNUSED_PAD src0_sel:WORD_0 src1_sel:DWORD
	v_mul_u32_u24_sdwa v11, v11, v25 dst_sel:DWORD dst_unused:UNUSED_PAD src0_sel:WORD_1 src1_sel:DWORD
	v_pk_fma_f16 v40, v1, v23, v40
	v_pk_fma_f16 v41, v1, v10, v41
	;; [unrolled: 1-line block ×8, first 2 shown]
	v_mul_u32_u24_sdwa v11, v12, v25 dst_sel:DWORD dst_unused:UNUSED_PAD src0_sel:WORD_0 src1_sel:DWORD
	v_mul_u32_u24_sdwa v12, v12, v25 dst_sel:DWORD dst_unused:UNUSED_PAD src0_sel:WORD_1 src1_sel:DWORD
	v_mul_u32_u24_sdwa v38, v13, v25 dst_sel:DWORD dst_unused:UNUSED_PAD src0_sel:WORD_0 src1_sel:DWORD
	v_mul_u32_u24_sdwa v13, v13, v25 dst_sel:DWORD dst_unused:UNUSED_PAD src0_sel:WORD_1 src1_sel:DWORD
	v_pk_fma_f16 v39, v3, v11, v40
	v_pk_fma_f16 v40, v3, v12, v41
	;; [unrolled: 1-line block ×8, first 2 shown]
	ds_read2_b64 v[1:4], v22 offset1:32
	ds_read_b128 v[10:13], v36 offset:19392
	s_waitcnt lgkmcnt(0)
	v_mul_u32_u24_sdwa v44, v10, v25 dst_sel:DWORD dst_unused:UNUSED_PAD src0_sel:WORD_0 src1_sel:DWORD
	v_mul_u32_u24_sdwa v10, v10, v25 dst_sel:DWORD dst_unused:UNUSED_PAD src0_sel:WORD_1 src1_sel:DWORD
	v_mul_u32_u24_sdwa v45, v11, v25 dst_sel:DWORD dst_unused:UNUSED_PAD src0_sel:WORD_0 src1_sel:DWORD
	v_mul_u32_u24_sdwa v11, v11, v25 dst_sel:DWORD dst_unused:UNUSED_PAD src0_sel:WORD_1 src1_sel:DWORD
	v_pk_fma_f16 v39, v1, v44, v39
	v_pk_fma_f16 v40, v1, v10, v40
	v_pk_fma_f16 v41, v1, v45, v41
	v_pk_fma_f16 v1, v1, v11, v42
	v_pk_fma_f16 v23, v2, v44, v23
	v_pk_fma_f16 v10, v2, v10, v43
	v_pk_fma_f16 v37, v2, v45, v37
	v_pk_fma_f16 v2, v2, v11, v38
	v_mul_u32_u24_sdwa v11, v12, v25 dst_sel:DWORD dst_unused:UNUSED_PAD src0_sel:WORD_0 src1_sel:DWORD
	v_mul_u32_u24_sdwa v12, v12, v25 dst_sel:DWORD dst_unused:UNUSED_PAD src0_sel:WORD_1 src1_sel:DWORD
	v_mul_u32_u24_sdwa v38, v13, v25 dst_sel:DWORD dst_unused:UNUSED_PAD src0_sel:WORD_0 src1_sel:DWORD
	v_mul_u32_u24_sdwa v13, v13, v25 dst_sel:DWORD dst_unused:UNUSED_PAD src0_sel:WORD_1 src1_sel:DWORD
	v_pk_fma_f16 v39, v3, v11, v39
	v_pk_fma_f16 v40, v3, v12, v40
	v_pk_fma_f16 v41, v3, v38, v41
	v_pk_fma_f16 v42, v3, v13, v1
	v_pk_fma_f16 v23, v4, v11, v23
	v_pk_fma_f16 v43, v4, v12, v10
	v_pk_fma_f16 v37, v4, v38, v37
	v_pk_fma_f16 v38, v4, v13, v2
	ds_read2_b64 v[1:4], v22 offset0:64 offset1:96
	ds_read_b128 v[10:13], v36 offset:19408
	s_waitcnt lgkmcnt(0)
	v_mul_u32_u24_sdwa v44, v10, v25 dst_sel:DWORD dst_unused:UNUSED_PAD src0_sel:WORD_0 src1_sel:DWORD
	v_mul_u32_u24_sdwa v10, v10, v25 dst_sel:DWORD dst_unused:UNUSED_PAD src0_sel:WORD_1 src1_sel:DWORD
	v_mul_u32_u24_sdwa v45, v11, v25 dst_sel:DWORD dst_unused:UNUSED_PAD src0_sel:WORD_0 src1_sel:DWORD
	v_mul_u32_u24_sdwa v11, v11, v25 dst_sel:DWORD dst_unused:UNUSED_PAD src0_sel:WORD_1 src1_sel:DWORD
	v_pk_fma_f16 v39, v1, v44, v39
	v_pk_fma_f16 v40, v1, v10, v40
	v_pk_fma_f16 v41, v1, v45, v41
	v_pk_fma_f16 v1, v1, v11, v42
	v_pk_fma_f16 v23, v2, v44, v23
	v_pk_fma_f16 v10, v2, v10, v43
	v_pk_fma_f16 v37, v2, v45, v37
	v_pk_fma_f16 v2, v2, v11, v38
	v_mul_u32_u24_sdwa v11, v12, v25 dst_sel:DWORD dst_unused:UNUSED_PAD src0_sel:WORD_0 src1_sel:DWORD
	v_mul_u32_u24_sdwa v12, v12, v25 dst_sel:DWORD dst_unused:UNUSED_PAD src0_sel:WORD_1 src1_sel:DWORD
	v_mul_u32_u24_sdwa v38, v13, v25 dst_sel:DWORD dst_unused:UNUSED_PAD src0_sel:WORD_0 src1_sel:DWORD
	v_mul_u32_u24_sdwa v13, v13, v25 dst_sel:DWORD dst_unused:UNUSED_PAD src0_sel:WORD_1 src1_sel:DWORD
	v_pk_fma_f16 v39, v3, v11, v39
	v_pk_fma_f16 v40, v3, v12, v40
	v_pk_fma_f16 v41, v3, v38, v41
	v_pk_fma_f16 v42, v3, v13, v1
	v_pk_fma_f16 v23, v4, v11, v23
	v_pk_fma_f16 v43, v4, v12, v10
	v_pk_fma_f16 v37, v4, v38, v37
	v_pk_fma_f16 v38, v4, v13, v2
	ds_read2_b64 v[1:4], v22 offset0:128 offset1:160
	;; [unrolled: 27-line block ×3, first 2 shown]
	ds_read_b128 v[10:13], v36 offset:19440
	s_waitcnt lgkmcnt(0)
	s_barrier
	buffer_gl0_inv
	v_mul_u32_u24_sdwa v22, v10, v25 dst_sel:DWORD dst_unused:UNUSED_PAD src0_sel:WORD_0 src1_sel:DWORD
	v_mul_u32_u24_sdwa v10, v10, v25 dst_sel:DWORD dst_unused:UNUSED_PAD src0_sel:WORD_1 src1_sel:DWORD
	v_mul_u32_u24_sdwa v36, v11, v25 dst_sel:DWORD dst_unused:UNUSED_PAD src0_sel:WORD_0 src1_sel:DWORD
	v_mul_u32_u24_sdwa v11, v11, v25 dst_sel:DWORD dst_unused:UNUSED_PAD src0_sel:WORD_1 src1_sel:DWORD
	v_pk_fma_f16 v39, v1, v22, v39
	v_pk_fma_f16 v40, v1, v10, v40
	;; [unrolled: 1-line block ×8, first 2 shown]
	v_mul_u32_u24_sdwa v11, v12, v25 dst_sel:DWORD dst_unused:UNUSED_PAD src0_sel:WORD_0 src1_sel:DWORD
	v_mul_u32_u24_sdwa v12, v12, v25 dst_sel:DWORD dst_unused:UNUSED_PAD src0_sel:WORD_1 src1_sel:DWORD
	v_mul_u32_u24_sdwa v36, v13, v25 dst_sel:DWORD dst_unused:UNUSED_PAD src0_sel:WORD_0 src1_sel:DWORD
	v_mul_u32_u24_sdwa v13, v13, v25 dst_sel:DWORD dst_unused:UNUSED_PAD src0_sel:WORD_1 src1_sel:DWORD
	v_mov_b32_e32 v25, v20
	v_pk_fma_f16 v49, v3, v11, v39
	v_pk_fma_f16 v48, v3, v12, v40
	;; [unrolled: 1-line block ×8, first 2 shown]
	v_mov_b32_e32 v22, v5
	v_mov_b32_e32 v2, v6
	;; [unrolled: 1-line block ×7, first 2 shown]
.LBB56_128:
	v_cmp_lt_i32_e32 vcc_lo, v19, v18
	s_cmp_eq_u64 s[20:21], 0
	s_cselect_b32 s6, -1, 0
	s_cmp_lg_u32 s34, 0
	v_cndmask_b32_e32 v1, v35, v19, vcc_lo
	v_cmp_lt_i32_e32 vcc_lo, v17, v18
	s_cselect_b32 s7, -1, 0
	s_or_b32 s6, s7, s6
	v_lshlrev_b32_e32 v1, 2, v1
	v_cndmask_b32_e32 v9, v35, v17, vcc_lo
	v_cmp_lt_i32_e32 vcc_lo, v16, v18
	ds_bpermute_b32 v6, v1, v25
	ds_bpermute_b32 v7, v1, v24
	;; [unrolled: 1-line block ×4, first 2 shown]
	v_lshlrev_b32_e32 v9, 2, v9
	v_cndmask_b32_e32 v13, v35, v16, vcc_lo
	v_cmp_lt_i32_e32 vcc_lo, v15, v18
	v_lshlrev_b32_e32 v13, 2, v13
	s_waitcnt lgkmcnt(3)
	v_add_f32_e32 v6, v25, v6
	s_waitcnt lgkmcnt(2)
	v_add_f32_e32 v7, v24, v7
	;; [unrolled: 2-line block ×4, first 2 shown]
	ds_bpermute_b32 v10, v9, v6
	ds_bpermute_b32 v11, v9, v7
	;; [unrolled: 1-line block ×4, first 2 shown]
	s_waitcnt lgkmcnt(3)
	v_add_f32_e32 v6, v6, v10
	s_waitcnt lgkmcnt(2)
	v_add_f32_e32 v7, v7, v11
	;; [unrolled: 2-line block ×4, first 2 shown]
	ds_bpermute_b32 v9, v13, v6
	ds_bpermute_b32 v10, v13, v7
	;; [unrolled: 1-line block ×4, first 2 shown]
	v_cndmask_b32_e32 v13, v35, v15, vcc_lo
	v_cmp_lt_i32_e32 vcc_lo, v14, v18
	v_lshlrev_b32_e32 v13, 2, v13
	s_waitcnt lgkmcnt(3)
	v_add_f32_e32 v6, v6, v9
	s_waitcnt lgkmcnt(2)
	v_add_f32_e32 v7, v7, v10
	;; [unrolled: 2-line block ×4, first 2 shown]
	ds_bpermute_b32 v9, v13, v6
	ds_bpermute_b32 v10, v13, v7
	;; [unrolled: 1-line block ×4, first 2 shown]
	v_cndmask_b32_e32 v13, v35, v14, vcc_lo
	s_and_b32 vcc_lo, exec_lo, s6
	v_lshlrev_b32_e32 v13, 2, v13
	s_waitcnt lgkmcnt(3)
	v_add_f32_e32 v6, v6, v9
	s_waitcnt lgkmcnt(2)
	v_add_f32_e32 v7, v7, v10
	;; [unrolled: 2-line block ×4, first 2 shown]
	ds_bpermute_b32 v9, v13, v6
	ds_bpermute_b32 v10, v13, v7
	;; [unrolled: 1-line block ×4, first 2 shown]
	s_waitcnt lgkmcnt(3)
	v_add_f32_e32 v6, v6, v9
	s_waitcnt lgkmcnt(2)
	v_add_f32_e32 v7, v7, v10
	;; [unrolled: 2-line block ×4, first 2 shown]
	s_cbranch_vccnz .LBB56_131
; %bb.129:
	s_lshl_b64 s[6:7], s[44:45], 2
	v_mov_b32_e32 v1, 0
	s_add_u32 s6, s20, s6
	s_addc_u32 s7, s21, s7
	v_max_f32_e32 v10, v2, v2
	v_max_f32_e32 v12, v3, v3
	global_load_dword v1, v1, s[6:7]
	v_max_f32_e32 v13, v4, v4
	v_max_f32_e32 v17, v5, v5
	v_mov_b32_e32 v18, 0x10001
	s_waitcnt vmcnt(0)
	v_max_f32_e32 v11, v1, v1
	v_max_f32_e32 v14, v10, v11
	;; [unrolled: 1-line block ×5, first 2 shown]
	v_sub_f32_e32 v2, v2, v14
	v_sub_f32_e32 v10, v1, v14
	;; [unrolled: 1-line block ×5, first 2 shown]
	v_mul_f32_e32 v13, 0x3fb8aa3b, v2
	v_mul_f32_e32 v19, 0x3fb8aa3b, v10
	;; [unrolled: 1-line block ×4, first 2 shown]
	v_sub_f32_e32 v12, v1, v16
	v_fma_f32 v35, 0x3fb8aa3b, v2, -v13
	v_rndne_f32_e32 v36, v13
	v_fma_f32 v37, 0x3fb8aa3b, v10, -v19
	v_rndne_f32_e32 v38, v19
	v_fma_f32 v39, 0x3fb8aa3b, v3, -v20
	v_fmac_f32_e32 v35, 0x32a5705f, v2
	v_sub_f32_e32 v13, v13, v36
	v_rndne_f32_e32 v40, v20
	v_fmac_f32_e32 v37, 0x32a5705f, v10
	v_sub_f32_e32 v19, v19, v38
	v_mul_f32_e32 v22, 0x3fb8aa3b, v4
	v_add_f32_e32 v13, v13, v35
	v_fma_f32 v41, 0x3fb8aa3b, v11, -v21
	v_rndne_f32_e32 v42, v21
	v_fmac_f32_e32 v39, 0x32a5705f, v3
	v_sub_f32_e32 v20, v20, v40
	v_add_f32_e32 v19, v19, v37
	v_exp_f32_e32 v13, v13
	v_sub_f32_e32 v5, v5, v17
	v_mul_f32_e32 v23, 0x3fb8aa3b, v12
	v_fma_f32 v43, 0x3fb8aa3b, v4, -v22
	v_rndne_f32_e32 v44, v22
	v_cvt_i32_f32_e32 v36, v36
	v_fmac_f32_e32 v41, 0x32a5705f, v11
	v_sub_f32_e32 v21, v21, v42
	v_add_f32_e32 v20, v20, v39
	v_exp_f32_e32 v19, v19
	v_sub_f32_e32 v1, v1, v17
	v_mul_f32_e32 v24, 0x3fb8aa3b, v5
	v_fma_f32 v45, 0x3fb8aa3b, v12, -v23
	v_rndne_f32_e32 v46, v23
	v_cvt_i32_f32_e32 v38, v38
	v_fmac_f32_e32 v43, 0x32a5705f, v4
	v_sub_f32_e32 v22, v22, v44
	v_add_f32_e32 v21, v21, v41
	v_exp_f32_e32 v20, v20
	v_ldexp_f32 v13, v13, v36
	v_cmp_ngt_f32_e32 vcc_lo, 0xc2ce8ed0, v2
	v_mul_f32_e32 v25, 0x3fb8aa3b, v1
	v_fma_f32 v55, 0x3fb8aa3b, v5, -v24
	v_rndne_f32_e32 v56, v24
	v_cvt_i32_f32_e32 v40, v40
	v_fmac_f32_e32 v45, 0x32a5705f, v12
	v_sub_f32_e32 v23, v23, v46
	v_add_f32_e32 v22, v22, v43
	v_exp_f32_e32 v21, v21
	v_ldexp_f32 v19, v19, v38
	v_cndmask_b32_e32 v13, 0, v13, vcc_lo
	v_cmp_ngt_f32_e32 vcc_lo, 0xc2ce8ed0, v10
	v_fma_f32 v57, 0x3fb8aa3b, v1, -v25
	v_rndne_f32_e32 v58, v25
	v_cvt_i32_f32_e32 v42, v42
	v_fmac_f32_e32 v55, 0x32a5705f, v5
	v_sub_f32_e32 v24, v24, v56
	v_add_f32_e32 v23, v23, v45
	v_exp_f32_e32 v22, v22
	v_ldexp_f32 v20, v20, v40
	v_cndmask_b32_e32 v19, 0, v19, vcc_lo
	v_cmp_ngt_f32_e32 vcc_lo, 0xc2ce8ed0, v3
	v_cvt_i32_f32_e32 v44, v44
	v_fmac_f32_e32 v57, 0x32a5705f, v1
	v_sub_f32_e32 v25, v25, v58
	v_add_f32_e32 v24, v24, v55
	v_exp_f32_e32 v23, v23
	v_ldexp_f32 v21, v21, v42
	v_cndmask_b32_e32 v20, 0, v20, vcc_lo
	v_cmp_ngt_f32_e32 vcc_lo, 0xc2ce8ed0, v11
	v_cvt_i32_f32_e32 v46, v46
	v_add_f32_e32 v25, v25, v57
	v_exp_f32_e32 v24, v24
	v_ldexp_f32 v22, v22, v44
	v_cndmask_b32_e32 v21, 0, v21, vcc_lo
	v_cmp_ngt_f32_e32 vcc_lo, 0xc2ce8ed0, v4
	v_exp_f32_e32 v25, v25
	v_cvt_i32_f32_e32 v35, v56
	v_ldexp_f32 v23, v23, v46
	v_cvt_i32_f32_e32 v37, v58
	v_cndmask_b32_e32 v22, 0, v22, vcc_lo
	v_cmp_ngt_f32_e32 vcc_lo, 0xc2ce8ed0, v12
	v_ldexp_f32 v24, v24, v35
	v_cndmask_b32_e32 v23, 0, v23, vcc_lo
	v_cmp_ngt_f32_e32 vcc_lo, 0xc2ce8ed0, v5
	v_ldexp_f32 v25, v25, v37
	v_cndmask_b32_e32 v24, 0, v24, vcc_lo
	v_cmp_ngt_f32_e32 vcc_lo, 0xc2ce8ed0, v1
	v_cndmask_b32_e32 v25, 0, v25, vcc_lo
	v_cmp_nlt_f32_e32 vcc_lo, 0x42b17218, v2
	v_cndmask_b32_e32 v2, 0x7f800000, v13, vcc_lo
	v_cmp_nlt_f32_e32 vcc_lo, 0x42b17218, v10
	;; [unrolled: 2-line block ×3, first 2 shown]
	v_fmac_f32_e32 v10, v6, v2
	v_cndmask_b32_e32 v3, 0x7f800000, v20, vcc_lo
	v_cmp_nlt_f32_e32 vcc_lo, 0x42b17218, v11
	v_cndmask_b32_e32 v11, 0x7f800000, v21, vcc_lo
	v_cmp_nlt_f32_e32 vcc_lo, 0x42b17218, v4
	v_fmac_f32_e32 v11, v7, v3
	v_cndmask_b32_e32 v4, 0x7f800000, v22, vcc_lo
	v_cmp_nlt_f32_e32 vcc_lo, 0x42b17218, v12
	v_cndmask_b32_e32 v12, 0x7f800000, v23, vcc_lo
	v_cmp_nlt_f32_e32 vcc_lo, 0x42b17218, v5
	v_fmac_f32_e32 v12, v8, v4
	v_cndmask_b32_e32 v5, 0x7f800000, v24, vcc_lo
	v_cmp_nlt_f32_e32 vcc_lo, 0x42b17218, v1
	v_cvt_f16_f32_e32 v1, v2
	v_cvt_f16_f32_e32 v2, v3
	;; [unrolled: 1-line block ×4, first 2 shown]
	v_cndmask_b32_e32 v13, 0x7f800000, v25, vcc_lo
	v_mul_u32_u24_sdwa v1, v1, v18 dst_sel:DWORD dst_unused:UNUSED_PAD src0_sel:WORD_0 src1_sel:DWORD
	v_mul_u32_u24_sdwa v2, v2, v18 dst_sel:DWORD dst_unused:UNUSED_PAD src0_sel:WORD_0 src1_sel:DWORD
	;; [unrolled: 1-line block ×4, first 2 shown]
	v_fmac_f32_e32 v13, v9, v5
	v_mov_b32_e32 v6, v10
	v_pk_mul_f16 v48, v48, v2
	v_pk_mul_f16 v53, v53, v2
	;; [unrolled: 1-line block ×6, first 2 shown]
	v_mov_b32_e32 v2, v14
	v_mov_b32_e32 v7, v11
	;; [unrolled: 1-line block ×4, first 2 shown]
	v_pk_mul_f16 v49, v49, v1
	v_pk_mul_f16 v54, v54, v1
	v_mov_b32_e32 v3, v15
	v_mov_b32_e32 v4, v16
	;; [unrolled: 1-line block ×3, first 2 shown]
	s_mov_b32 s6, exec_lo
	v_cmpx_gt_i32_e64 s30, v33
	s_cbranch_execnz .LBB56_132
.LBB56_130:
	s_endpgm
.LBB56_131:
	v_mov_b32_e32 v10, v6
	v_mov_b32_e32 v11, v7
	;; [unrolled: 1-line block ×4, first 2 shown]
	s_mov_b32 s6, exec_lo
	v_cmpx_gt_i32_e64 s30, v33
	s_cbranch_execz .LBB56_130
.LBB56_132:
	s_load_dword s5, s[4:5], 0xd4
	v_mov_b32_e32 v1, 1.0
	s_waitcnt lgkmcnt(0)
	s_cmp_lg_u32 s5, 1
	s_cselect_b32 s8, -1, 0
	s_cmp_eq_u32 s5, 1
	s_cselect_b32 s7, -1, 0
	s_and_b32 vcc_lo, exec_lo, s8
	s_cbranch_vccnz .LBB56_134
; %bb.133:
	v_div_scale_f32 v1, null, v10, v10, 1.0
	v_rcp_f32_e32 v14, v1
	v_fma_f32 v15, -v1, v14, 1.0
	v_fmac_f32_e32 v14, v15, v14
	v_div_scale_f32 v15, vcc_lo, 1.0, v10, 1.0
	v_mul_f32_e32 v16, v15, v14
	v_fma_f32 v17, -v1, v16, v15
	v_fmac_f32_e32 v16, v17, v14
	v_fma_f32 v1, -v1, v16, v15
	v_div_fmas_f32 v1, v1, v14, v16
	v_div_fixup_f32 v1, v1, v10, 1.0
.LBB56_134:
	s_mul_i32 s6, s33, s30
	v_mov_b32_e32 v16, 0
	s_add_i32 s6, s6, s18
	v_cmp_eq_u32_e32 vcc_lo, 0, v0
	v_add_nc_u32_e32 v10, s6, v31
	v_cvt_f32_f16_e32 v0, v49
	v_cvt_f32_f16_e32 v17, v54
	v_cvt_f32_f16_sdwa v18, v54 dst_sel:DWORD dst_unused:UNUSED_PAD src0_sel:WORD_1
	v_mad_u64_u32 v[14:15], null, v10, s31, s[44:45]
	v_cvt_f32_f16_sdwa v10, v49 dst_sel:DWORD dst_unused:UNUSED_PAD src0_sel:WORD_1
	v_mul_f32_e32 v17, v1, v17
	v_mul_f32_e32 v18, v1, v18
	v_mad_u64_u32 v[14:15], null, s5, v14, s[34:35]
	v_lshl_add_u32 v15, v14, 7, v32
	v_lshlrev_b64 v[19:20], 2, v[15:16]
	v_mul_f32_e32 v15, v1, v0
	v_mul_f32_e32 v16, v1, v10
	v_add_co_u32 v0, s4, s24, v19
	v_add_co_ci_u32_e64 v1, null, s25, v20, s4
	s_and_b32 s4, vcc_lo, s8
	global_store_dwordx4 v[0:1], v[15:18], off
	s_and_saveexec_b32 s8, s4
	s_cbranch_execz .LBB56_136
; %bb.135:
	v_ashrrev_i32_e32 v15, 31, v14
	v_lshlrev_b64 v[0:1], 3, v[14:15]
	v_mov_b32_e32 v14, v2
	v_mov_b32_e32 v15, v6
	v_add_co_u32 v0, vcc_lo, s26, v0
	v_add_co_ci_u32_e64 v1, null, s27, v1, vcc_lo
	global_store_dwordx2 v[0:1], v[14:15], off
.LBB56_136:
	s_or_b32 exec_lo, exec_lo, s8
	v_cmp_gt_i32_e32 vcc_lo, s30, v34
	s_and_b32 exec_lo, exec_lo, vcc_lo
	s_cbranch_execz .LBB56_130
; %bb.137:
	v_cndmask_b32_e64 v2, 0, 1, s7
	v_mov_b32_e32 v6, 1.0
	s_andn2_b32 vcc_lo, exec_lo, s7
	s_cbranch_vccnz .LBB56_139
; %bb.138:
	v_div_scale_f32 v0, null, v11, v11, 1.0
	v_rcp_f32_e32 v1, v0
	v_fma_f32 v6, -v0, v1, 1.0
	v_fmac_f32_e32 v1, v6, v1
	v_div_scale_f32 v6, vcc_lo, 1.0, v11, 1.0
	v_mul_f32_e32 v10, v6, v1
	v_fma_f32 v14, -v0, v10, v6
	v_fmac_f32_e32 v10, v14, v1
	v_fma_f32 v0, -v0, v10, v6
	v_div_fmas_f32 v0, v0, v1, v10
	v_div_fixup_f32 v6, v0, v11, 1.0
.LBB56_139:
	v_add_nc_u32_e32 v0, s6, v29
	v_mov_b32_e32 v11, 0
	v_cvt_f32_f16_sdwa v15, v48 dst_sel:DWORD dst_unused:UNUSED_PAD src0_sel:WORD_1
	v_cvt_f32_f16_e32 v16, v53
	v_cvt_f32_f16_sdwa v17, v53 dst_sel:DWORD dst_unused:UNUSED_PAD src0_sel:WORD_1
	v_mad_u64_u32 v[0:1], null, v0, s31, s[44:45]
	v_mul_f32_e32 v15, v6, v15
	v_mul_f32_e32 v16, v6, v16
	;; [unrolled: 1-line block ×3, first 2 shown]
	v_mad_u64_u32 v[0:1], null, s5, v0, s[34:35]
	v_cvt_f32_f16_e32 v1, v48
	v_mul_f32_e32 v14, v6, v1
	v_lshl_add_u32 v10, v0, 7, v32
	v_lshlrev_b64 v[10:11], 2, v[10:11]
	v_add_co_u32 v10, vcc_lo, s24, v10
	v_add_co_ci_u32_e64 v11, null, s25, v11, vcc_lo
	global_store_dwordx4 v[10:11], v[14:17], off
	s_and_saveexec_b32 s7, s4
	s_cbranch_execz .LBB56_141
; %bb.140:
	v_ashrrev_i32_e32 v1, 31, v0
	v_mov_b32_e32 v6, v3
	v_lshlrev_b64 v[0:1], 3, v[0:1]
	v_add_co_u32 v0, vcc_lo, s26, v0
	v_add_co_ci_u32_e64 v1, null, s27, v1, vcc_lo
	global_store_dwordx2 v[0:1], v[6:7], off
.LBB56_141:
	s_or_b32 exec_lo, exec_lo, s7
	v_cmp_gt_i32_e32 vcc_lo, s30, v30
	s_and_b32 exec_lo, exec_lo, vcc_lo
	s_cbranch_execz .LBB56_130
; %bb.142:
	v_cmp_ne_u32_e32 vcc_lo, 1, v2
	v_mov_b32_e32 v3, 1.0
	s_cbranch_vccnz .LBB56_144
; %bb.143:
	v_div_scale_f32 v0, null, v12, v12, 1.0
	v_rcp_f32_e32 v1, v0
	v_fma_f32 v3, -v0, v1, 1.0
	v_fmac_f32_e32 v1, v3, v1
	v_div_scale_f32 v3, vcc_lo, 1.0, v12, 1.0
	v_mul_f32_e32 v6, v3, v1
	v_fma_f32 v7, -v0, v6, v3
	v_fmac_f32_e32 v6, v7, v1
	v_fma_f32 v0, -v0, v6, v3
	v_div_fmas_f32 v0, v0, v1, v6
	v_div_fixup_f32 v3, v0, v12, 1.0
.LBB56_144:
	v_add_nc_u32_e32 v0, s6, v28
	v_mov_b32_e32 v7, 0
	v_cvt_f32_f16_sdwa v10, v47 dst_sel:DWORD dst_unused:UNUSED_PAD src0_sel:WORD_1
	v_cvt_f32_f16_e32 v11, v52
	v_cvt_f32_f16_sdwa v12, v52 dst_sel:DWORD dst_unused:UNUSED_PAD src0_sel:WORD_1
	v_mad_u64_u32 v[0:1], null, v0, s31, s[44:45]
	v_mul_f32_e32 v15, v3, v10
	v_mul_f32_e32 v16, v3, v11
	v_mul_f32_e32 v17, v3, v12
	v_mad_u64_u32 v[0:1], null, s5, v0, s[34:35]
	v_cvt_f32_f16_e32 v1, v47
	v_mul_f32_e32 v14, v3, v1
	v_lshl_add_u32 v6, v0, 7, v32
	v_lshlrev_b64 v[6:7], 2, v[6:7]
	v_add_co_u32 v6, vcc_lo, s24, v6
	v_add_co_ci_u32_e64 v7, null, s25, v7, vcc_lo
	global_store_dwordx4 v[6:7], v[14:17], off
	s_and_saveexec_b32 s7, s4
	s_cbranch_execz .LBB56_146
; %bb.145:
	v_ashrrev_i32_e32 v1, 31, v0
	v_mov_b32_e32 v7, v4
	v_lshlrev_b64 v[0:1], 3, v[0:1]
	v_add_co_u32 v0, vcc_lo, s26, v0
	v_add_co_ci_u32_e64 v1, null, s27, v1, vcc_lo
	global_store_dwordx2 v[0:1], v[7:8], off
.LBB56_146:
	s_or_b32 exec_lo, exec_lo, s7
	v_cmp_gt_i32_e32 vcc_lo, s30, v27
	s_and_b32 exec_lo, exec_lo, vcc_lo
	s_cbranch_execz .LBB56_130
; %bb.147:
	v_cmp_ne_u32_e32 vcc_lo, 1, v2
	v_mov_b32_e32 v2, 1.0
	s_cbranch_vccnz .LBB56_149
; %bb.148:
	v_div_scale_f32 v0, null, v13, v13, 1.0
	v_rcp_f32_e32 v1, v0
	v_fma_f32 v2, -v0, v1, 1.0
	v_fmac_f32_e32 v1, v2, v1
	v_div_scale_f32 v2, vcc_lo, 1.0, v13, 1.0
	v_mul_f32_e32 v3, v2, v1
	v_fma_f32 v4, -v0, v3, v2
	v_fmac_f32_e32 v3, v4, v1
	v_fma_f32 v0, -v0, v3, v2
	v_div_fmas_f32 v0, v0, v1, v3
	v_div_fixup_f32 v2, v0, v13, 1.0
.LBB56_149:
	v_add_nc_u32_e32 v0, s6, v26
	v_mov_b32_e32 v4, 0
	v_cvt_f32_f16_sdwa v6, v51 dst_sel:DWORD dst_unused:UNUSED_PAD src0_sel:WORD_1
	v_cvt_f32_f16_e32 v7, v50
	v_cvt_f32_f16_sdwa v8, v50 dst_sel:DWORD dst_unused:UNUSED_PAD src0_sel:WORD_1
	v_mad_u64_u32 v[0:1], null, v0, s31, s[44:45]
	v_mul_f32_e32 v11, v2, v6
	v_mul_f32_e32 v12, v2, v7
	;; [unrolled: 1-line block ×3, first 2 shown]
	v_mad_u64_u32 v[0:1], null, s5, v0, s[34:35]
	v_cvt_f32_f16_e32 v1, v51
	v_mul_f32_e32 v10, v2, v1
	v_lshl_add_u32 v3, v0, 7, v32
	v_lshlrev_b64 v[3:4], 2, v[3:4]
	v_add_co_u32 v1, vcc_lo, s24, v3
	v_add_co_ci_u32_e64 v2, null, s25, v4, vcc_lo
	global_store_dwordx4 v[1:2], v[10:13], off
	s_and_b32 exec_lo, exec_lo, s4
	s_cbranch_execz .LBB56_130
; %bb.150:
	v_ashrrev_i32_e32 v1, 31, v0
	v_mov_b32_e32 v8, v5
	v_lshlrev_b64 v[0:1], 3, v[0:1]
	v_add_co_u32 v0, vcc_lo, s26, v0
	v_add_co_ci_u32_e64 v1, null, s27, v1, vcc_lo
	global_store_dwordx2 v[0:1], v[8:9], off
	s_endpgm
	.section	.rodata,"a",@progbits
	.p2align	6, 0x0
	.amdhsa_kernel _ZL15flash_attn_tileILi128ELi128ELi32ELi1ELb0EEvPKcS1_S1_S1_S1_PKiPfP15HIP_vector_typeIfLj2EEffffjfiS5_IjLj3EEiiiiiiiiiiiliiliiiiil
		.amdhsa_group_segment_fixed_size 34816
		.amdhsa_private_segment_fixed_size 32
		.amdhsa_kernarg_size 464
		.amdhsa_user_sgpr_count 8
		.amdhsa_user_sgpr_private_segment_buffer 1
		.amdhsa_user_sgpr_dispatch_ptr 0
		.amdhsa_user_sgpr_queue_ptr 0
		.amdhsa_user_sgpr_kernarg_segment_ptr 1
		.amdhsa_user_sgpr_dispatch_id 0
		.amdhsa_user_sgpr_flat_scratch_init 1
		.amdhsa_user_sgpr_private_segment_size 0
		.amdhsa_wavefront_size32 1
		.amdhsa_uses_dynamic_stack 0
		.amdhsa_system_sgpr_private_segment_wavefront_offset 1
		.amdhsa_system_sgpr_workgroup_id_x 1
		.amdhsa_system_sgpr_workgroup_id_y 1
		.amdhsa_system_sgpr_workgroup_id_z 1
		.amdhsa_system_sgpr_workgroup_info 0
		.amdhsa_system_vgpr_workitem_id 1
		.amdhsa_next_free_vgpr 145
		.amdhsa_next_free_sgpr 52
		.amdhsa_reserve_vcc 1
		.amdhsa_reserve_flat_scratch 1
		.amdhsa_float_round_mode_32 0
		.amdhsa_float_round_mode_16_64 0
		.amdhsa_float_denorm_mode_32 3
		.amdhsa_float_denorm_mode_16_64 3
		.amdhsa_dx10_clamp 1
		.amdhsa_ieee_mode 1
		.amdhsa_fp16_overflow 0
		.amdhsa_workgroup_processor_mode 1
		.amdhsa_memory_ordered 1
		.amdhsa_forward_progress 1
		.amdhsa_shared_vgpr_count 0
		.amdhsa_exception_fp_ieee_invalid_op 0
		.amdhsa_exception_fp_denorm_src 0
		.amdhsa_exception_fp_ieee_div_zero 0
		.amdhsa_exception_fp_ieee_overflow 0
		.amdhsa_exception_fp_ieee_underflow 0
		.amdhsa_exception_fp_ieee_inexact 0
		.amdhsa_exception_int_div_zero 0
	.end_amdhsa_kernel
	.section	.text._ZL15flash_attn_tileILi128ELi128ELi32ELi1ELb0EEvPKcS1_S1_S1_S1_PKiPfP15HIP_vector_typeIfLj2EEffffjfiS5_IjLj3EEiiiiiiiiiiiliiliiiiil,"axG",@progbits,_ZL15flash_attn_tileILi128ELi128ELi32ELi1ELb0EEvPKcS1_S1_S1_S1_PKiPfP15HIP_vector_typeIfLj2EEffffjfiS5_IjLj3EEiiiiiiiiiiiliiliiiiil,comdat
.Lfunc_end56:
	.size	_ZL15flash_attn_tileILi128ELi128ELi32ELi1ELb0EEvPKcS1_S1_S1_S1_PKiPfP15HIP_vector_typeIfLj2EEffffjfiS5_IjLj3EEiiiiiiiiiiiliiliiiiil, .Lfunc_end56-_ZL15flash_attn_tileILi128ELi128ELi32ELi1ELb0EEvPKcS1_S1_S1_S1_PKiPfP15HIP_vector_typeIfLj2EEffffjfiS5_IjLj3EEiiiiiiiiiiiliiliiiiil
                                        ; -- End function
	.set _ZL15flash_attn_tileILi128ELi128ELi32ELi1ELb0EEvPKcS1_S1_S1_S1_PKiPfP15HIP_vector_typeIfLj2EEffffjfiS5_IjLj3EEiiiiiiiiiiiliiliiiiil.num_vgpr, 130
	.set _ZL15flash_attn_tileILi128ELi128ELi32ELi1ELb0EEvPKcS1_S1_S1_S1_PKiPfP15HIP_vector_typeIfLj2EEffffjfiS5_IjLj3EEiiiiiiiiiiiliiliiiiil.num_agpr, 0
	.set _ZL15flash_attn_tileILi128ELi128ELi32ELi1ELb0EEvPKcS1_S1_S1_S1_PKiPfP15HIP_vector_typeIfLj2EEffffjfiS5_IjLj3EEiiiiiiiiiiiliiliiiiil.numbered_sgpr, 52
	.set _ZL15flash_attn_tileILi128ELi128ELi32ELi1ELb0EEvPKcS1_S1_S1_S1_PKiPfP15HIP_vector_typeIfLj2EEffffjfiS5_IjLj3EEiiiiiiiiiiiliiliiiiil.num_named_barrier, 0
	.set _ZL15flash_attn_tileILi128ELi128ELi32ELi1ELb0EEvPKcS1_S1_S1_S1_PKiPfP15HIP_vector_typeIfLj2EEffffjfiS5_IjLj3EEiiiiiiiiiiiliiliiiiil.private_seg_size, 32
	.set _ZL15flash_attn_tileILi128ELi128ELi32ELi1ELb0EEvPKcS1_S1_S1_S1_PKiPfP15HIP_vector_typeIfLj2EEffffjfiS5_IjLj3EEiiiiiiiiiiiliiliiiiil.uses_vcc, 1
	.set _ZL15flash_attn_tileILi128ELi128ELi32ELi1ELb0EEvPKcS1_S1_S1_S1_PKiPfP15HIP_vector_typeIfLj2EEffffjfiS5_IjLj3EEiiiiiiiiiiiliiliiiiil.uses_flat_scratch, 1
	.set _ZL15flash_attn_tileILi128ELi128ELi32ELi1ELb0EEvPKcS1_S1_S1_S1_PKiPfP15HIP_vector_typeIfLj2EEffffjfiS5_IjLj3EEiiiiiiiiiiiliiliiiiil.has_dyn_sized_stack, 0
	.set _ZL15flash_attn_tileILi128ELi128ELi32ELi1ELb0EEvPKcS1_S1_S1_S1_PKiPfP15HIP_vector_typeIfLj2EEffffjfiS5_IjLj3EEiiiiiiiiiiiliiliiiiil.has_recursion, 0
	.set _ZL15flash_attn_tileILi128ELi128ELi32ELi1ELb0EEvPKcS1_S1_S1_S1_PKiPfP15HIP_vector_typeIfLj2EEffffjfiS5_IjLj3EEiiiiiiiiiiiliiliiiiil.has_indirect_call, 0
	.section	.AMDGPU.csdata,"",@progbits
; Kernel info:
; codeLenInByte = 88788
; TotalNumSgprs: 54
; NumVgprs: 130
; ScratchSize: 32
; MemoryBound: 0
; FloatMode: 240
; IeeeMode: 1
; LDSByteSize: 34816 bytes/workgroup (compile time only)
; SGPRBlocks: 0
; VGPRBlocks: 18
; NumSGPRsForWavesPerEU: 54
; NumVGPRsForWavesPerEU: 145
; Occupancy: 6
; WaveLimiterHint : 0
; COMPUTE_PGM_RSRC2:SCRATCH_EN: 1
; COMPUTE_PGM_RSRC2:USER_SGPR: 8
; COMPUTE_PGM_RSRC2:TRAP_HANDLER: 0
; COMPUTE_PGM_RSRC2:TGID_X_EN: 1
; COMPUTE_PGM_RSRC2:TGID_Y_EN: 1
; COMPUTE_PGM_RSRC2:TGID_Z_EN: 1
; COMPUTE_PGM_RSRC2:TIDIG_COMP_CNT: 1
	.section	.text._ZL33flash_attn_stream_k_fixup_uniformILi128ELi32ELi1EEvPfPK15HIP_vector_typeIfLj2EEiiiiiiS1_IjLj3EES5_S5_,"axG",@progbits,_ZL33flash_attn_stream_k_fixup_uniformILi128ELi32ELi1EEvPfPK15HIP_vector_typeIfLj2EEiiiiiiS1_IjLj3EES5_S5_,comdat
	.globl	_ZL33flash_attn_stream_k_fixup_uniformILi128ELi32ELi1EEvPfPK15HIP_vector_typeIfLj2EEiiiiiiS1_IjLj3EES5_S5_ ; -- Begin function _ZL33flash_attn_stream_k_fixup_uniformILi128ELi32ELi1EEvPfPK15HIP_vector_typeIfLj2EEiiiiiiS1_IjLj3EES5_S5_
	.p2align	8
	.type	_ZL33flash_attn_stream_k_fixup_uniformILi128ELi32ELi1EEvPfPK15HIP_vector_typeIfLj2EEiiiiiiS1_IjLj3EES5_S5_,@function
_ZL33flash_attn_stream_k_fixup_uniformILi128ELi32ELi1EEvPfPK15HIP_vector_typeIfLj2EEiiiiiiS1_IjLj3EES5_S5_: ; @_ZL33flash_attn_stream_k_fixup_uniformILi128ELi32ELi1EEvPfPK15HIP_vector_typeIfLj2EEiiiiiiS1_IjLj3EES5_S5_
; %bb.0:
	s_clause 0x2
	s_load_dwordx8 s[12:19], s[4:5], 0x1c
	s_load_dwordx4 s[20:23], s[4:5], 0x3c
	s_load_dwordx2 s[10:11], s[4:5], 0x10
	s_waitcnt lgkmcnt(0)
	s_mul_hi_u32 s0, s15, s6
	s_add_i32 s0, s6, s0
	s_lshr_b32 s0, s0, s16
	s_mul_i32 s1, s0, s17
	s_sub_i32 s2, s6, s1
	s_mul_hi_u32 s1, s2, s18
	s_add_i32 s1, s2, s1
	s_lshr_b32 s1, s1, s19
	s_mul_i32 s3, s1, s20
	s_sub_i32 s2, s2, s3
	;; [unrolled: 5-line block ×3, first 2 shown]
	s_lshl_b32 s2, s15, 5
	s_add_i32 s2, s2, s7
	s_cmp_lt_i32 s2, s10
	s_cselect_b32 s2, -1, 0
	s_add_i32 s3, s9, s8
	s_cmp_lt_i32 s3, s13
	s_cselect_b32 s3, -1, 0
	s_and_b32 s2, s2, s3
	s_andn2_b32 vcc_lo, exec_lo, s2
	s_cbranch_vccnz .LBB57_6
; %bb.1:
	s_mul_i32 s0, s0, s10
	s_mul_i32 s10, s1, s13
	s_add_i32 s0, s0, s7
	s_mul_i32 s0, s0, s11
	s_add_i32 s13, s0, s8
	s_load_dwordx4 s[0:3], s[4:5], 0x0
	s_add_i32 s4, s13, s10
	s_mul_i32 s5, s11, s15
	s_add_i32 s4, s4, s9
	s_lshl_b32 s5, s5, 12
	s_lshl_b32 s4, s4, 7
	s_add_i32 s8, s7, s8
	s_add_i32 s5, s5, s4
	s_mul_i32 s4, s14, s6
	v_or_b32_e32 v1, s5, v0
	s_add_i32 s9, s4, s14
	v_ashrrev_i32_e32 v2, 31, v1
	v_lshlrev_b64 v[1:2], 2, v[1:2]
	s_waitcnt lgkmcnt(0)
	v_add_co_u32 v1, vcc_lo, s0, v1
	v_add_co_ci_u32_e64 v2, null, s1, v2, vcc_lo
	s_lshl_b32 s0, s9, 5
	s_add_i32 s0, s8, s0
	global_load_dword v5, v[1:2], off
	s_sub_i32 s0, s0, 32
	s_ashr_i32 s1, s0, 31
	s_lshl_b64 s[0:1], s[0:1], 3
	s_add_u32 s0, s2, s0
	s_addc_u32 s1, s3, s1
	s_add_i32 s5, s9, -2
	s_load_dword s10, s[0:1], 0x4
	s_cmp_lt_i32 s5, s4
	s_cbranch_scc1 .LBB57_4
; %bb.2:
	s_lshl_b32 s16, s12, 7
	s_load_dword s11, s[0:1], 0x0
	s_ashr_i32 s17, s16, 31
	s_waitcnt lgkmcnt(0)
	v_mov_b32_e32 v6, s10
	s_lshl_b64 s[0:1], s[16:17], 2
	s_add_u32 s5, s2, s0
	s_addc_u32 s7, s3, s1
	s_add_i32 s6, s6, 1
	s_lshl_b32 s1, s8, 7
	s_mul_i32 s0, s14, s6
	s_lshl_b32 s6, s0, 12
	s_lshl_b32 s0, s0, 5
	s_add_i32 s1, s1, s6
	s_add_i32 s0, s8, s0
	v_or_b32_e32 v0, s1, v0
	s_lshl_b32 s1, s12, 5
	s_add_i32 s6, s9, -1
	s_add_i32 s0, s0, s1
	v_add_nc_u32_e32 v3, 0xffffe000, v0
	v_mov_b32_e32 v0, s11
	s_sub_i32 s0, s0, 64
.LBB57_3:                               ; =>This Inner Loop Header: Depth=1
	v_ashrrev_i32_e32 v4, 31, v3
	s_ashr_i32 s1, s0, 31
	s_lshl_b64 s[8:9], s[0:1], 3
	s_add_u32 s8, s2, s8
	v_lshlrev_b64 v[7:8], 2, v[3:4]
	s_addc_u32 s9, s3, s9
	v_add_nc_u32_e32 v3, 0xfffff000, v3
	s_add_i32 s6, s6, -1
	s_sub_i32 s0, s0, 32
	s_cmp_le_i32 s6, s4
	v_add_co_u32 v7, vcc_lo, s5, v7
	v_add_co_ci_u32_e64 v8, null, s7, v8, vcc_lo
	s_load_dwordx2 s[8:9], s[8:9], 0x0
	global_load_dword v4, v[7:8], off
	v_max_f32_e32 v7, v0, v0
	s_waitcnt lgkmcnt(0)
	v_max_f32_e64 v8, s8, s8
	v_max_f32_e32 v7, v7, v8
	v_sub_f32_e32 v8, s8, v7
	v_sub_f32_e32 v0, v0, v7
	v_mul_f32_e32 v9, 0x3fb8aa3b, v8
	v_mul_f32_e32 v12, 0x3fb8aa3b, v0
	v_cmp_ngt_f32_e32 vcc_lo, 0xc2ce8ed0, v8
	v_fma_f32 v10, 0x3fb8aa3b, v8, -v9
	v_rndne_f32_e32 v11, v9
	v_fma_f32 v13, 0x3fb8aa3b, v0, -v12
	v_rndne_f32_e32 v14, v12
	v_fmac_f32_e32 v10, 0x32a5705f, v8
	v_sub_f32_e32 v9, v9, v11
	v_fmac_f32_e32 v13, 0x32a5705f, v0
	v_cvt_i32_f32_e32 v11, v11
	v_add_f32_e32 v9, v9, v10
	v_sub_f32_e32 v10, v12, v14
	v_exp_f32_e32 v9, v9
	v_add_f32_e32 v10, v10, v13
	v_exp_f32_e32 v10, v10
	v_ldexp_f32 v9, v9, v11
	v_cvt_i32_f32_e32 v11, v14
	v_cndmask_b32_e32 v9, 0, v9, vcc_lo
	v_cmp_nlt_f32_e32 vcc_lo, 0x42b17218, v8
	v_ldexp_f32 v10, v10, v11
	v_mov_b32_e32 v11, v6
	v_cndmask_b32_e32 v9, 0x7f800000, v9, vcc_lo
	v_cmp_ngt_f32_e32 vcc_lo, 0xc2ce8ed0, v0
	v_cndmask_b32_e32 v10, 0, v10, vcc_lo
	v_cmp_le_f32_e32 vcc_lo, 0xc1a00000, v8
	v_cndmask_b32_e32 v8, 0, v9, vcc_lo
	v_cmp_nlt_f32_e32 vcc_lo, 0x42b17218, v0
	s_waitcnt vmcnt(1)
	v_mov_b32_e32 v9, v5
	v_cndmask_b32_e32 v5, 0x7f800000, v10, vcc_lo
	v_mul_f32_e32 v10, s9, v8
	v_cmp_le_f32_e32 vcc_lo, 0xc1a00000, v0
	v_mov_b32_e32 v0, v7
	v_mov_b32_e32 v6, v10
	v_cndmask_b32_e32 v12, 0, v5, vcc_lo
	v_fmac_f32_e32 v6, v11, v12
	s_waitcnt vmcnt(0)
	v_mul_f32_e32 v5, v4, v8
	v_fmac_f32_e32 v5, v9, v12
	s_cbranch_scc0 .LBB57_3
	s_branch .LBB57_5
.LBB57_4:
	s_waitcnt lgkmcnt(0)
	v_mov_b32_e32 v6, s10
.LBB57_5:
	s_waitcnt vmcnt(0)
	v_div_scale_f32 v0, null, v6, v6, v5
	v_rcp_f32_e32 v3, v0
	v_fma_f32 v4, -v0, v3, 1.0
	v_fmac_f32_e32 v3, v4, v3
	v_div_scale_f32 v4, vcc_lo, v5, v6, v5
	v_mul_f32_e32 v7, v4, v3
	v_fma_f32 v8, -v0, v7, v4
	v_fmac_f32_e32 v7, v8, v3
	v_fma_f32 v0, -v0, v7, v4
	v_div_fmas_f32 v0, v0, v3, v7
	v_div_fixup_f32 v0, v0, v6, v5
	global_store_dword v[1:2], v0, off
.LBB57_6:
	s_endpgm
	.section	.rodata,"a",@progbits
	.p2align	6, 0x0
	.amdhsa_kernel _ZL33flash_attn_stream_k_fixup_uniformILi128ELi32ELi1EEvPfPK15HIP_vector_typeIfLj2EEiiiiiiS1_IjLj3EES5_S5_
		.amdhsa_group_segment_fixed_size 0
		.amdhsa_private_segment_fixed_size 0
		.amdhsa_kernarg_size 76
		.amdhsa_user_sgpr_count 6
		.amdhsa_user_sgpr_private_segment_buffer 1
		.amdhsa_user_sgpr_dispatch_ptr 0
		.amdhsa_user_sgpr_queue_ptr 0
		.amdhsa_user_sgpr_kernarg_segment_ptr 1
		.amdhsa_user_sgpr_dispatch_id 0
		.amdhsa_user_sgpr_flat_scratch_init 0
		.amdhsa_user_sgpr_private_segment_size 0
		.amdhsa_wavefront_size32 1
		.amdhsa_uses_dynamic_stack 0
		.amdhsa_system_sgpr_private_segment_wavefront_offset 0
		.amdhsa_system_sgpr_workgroup_id_x 1
		.amdhsa_system_sgpr_workgroup_id_y 1
		.amdhsa_system_sgpr_workgroup_id_z 1
		.amdhsa_system_sgpr_workgroup_info 0
		.amdhsa_system_vgpr_workitem_id 0
		.amdhsa_next_free_vgpr 15
		.amdhsa_next_free_sgpr 24
		.amdhsa_reserve_vcc 1
		.amdhsa_reserve_flat_scratch 0
		.amdhsa_float_round_mode_32 0
		.amdhsa_float_round_mode_16_64 0
		.amdhsa_float_denorm_mode_32 3
		.amdhsa_float_denorm_mode_16_64 3
		.amdhsa_dx10_clamp 1
		.amdhsa_ieee_mode 1
		.amdhsa_fp16_overflow 0
		.amdhsa_workgroup_processor_mode 1
		.amdhsa_memory_ordered 1
		.amdhsa_forward_progress 1
		.amdhsa_shared_vgpr_count 0
		.amdhsa_exception_fp_ieee_invalid_op 0
		.amdhsa_exception_fp_denorm_src 0
		.amdhsa_exception_fp_ieee_div_zero 0
		.amdhsa_exception_fp_ieee_overflow 0
		.amdhsa_exception_fp_ieee_underflow 0
		.amdhsa_exception_fp_ieee_inexact 0
		.amdhsa_exception_int_div_zero 0
	.end_amdhsa_kernel
	.section	.text._ZL33flash_attn_stream_k_fixup_uniformILi128ELi32ELi1EEvPfPK15HIP_vector_typeIfLj2EEiiiiiiS1_IjLj3EES5_S5_,"axG",@progbits,_ZL33flash_attn_stream_k_fixup_uniformILi128ELi32ELi1EEvPfPK15HIP_vector_typeIfLj2EEiiiiiiS1_IjLj3EES5_S5_,comdat
.Lfunc_end57:
	.size	_ZL33flash_attn_stream_k_fixup_uniformILi128ELi32ELi1EEvPfPK15HIP_vector_typeIfLj2EEiiiiiiS1_IjLj3EES5_S5_, .Lfunc_end57-_ZL33flash_attn_stream_k_fixup_uniformILi128ELi32ELi1EEvPfPK15HIP_vector_typeIfLj2EEiiiiiiS1_IjLj3EES5_S5_
                                        ; -- End function
	.set _ZL33flash_attn_stream_k_fixup_uniformILi128ELi32ELi1EEvPfPK15HIP_vector_typeIfLj2EEiiiiiiS1_IjLj3EES5_S5_.num_vgpr, 15
	.set _ZL33flash_attn_stream_k_fixup_uniformILi128ELi32ELi1EEvPfPK15HIP_vector_typeIfLj2EEiiiiiiS1_IjLj3EES5_S5_.num_agpr, 0
	.set _ZL33flash_attn_stream_k_fixup_uniformILi128ELi32ELi1EEvPfPK15HIP_vector_typeIfLj2EEiiiiiiS1_IjLj3EES5_S5_.numbered_sgpr, 24
	.set _ZL33flash_attn_stream_k_fixup_uniformILi128ELi32ELi1EEvPfPK15HIP_vector_typeIfLj2EEiiiiiiS1_IjLj3EES5_S5_.num_named_barrier, 0
	.set _ZL33flash_attn_stream_k_fixup_uniformILi128ELi32ELi1EEvPfPK15HIP_vector_typeIfLj2EEiiiiiiS1_IjLj3EES5_S5_.private_seg_size, 0
	.set _ZL33flash_attn_stream_k_fixup_uniformILi128ELi32ELi1EEvPfPK15HIP_vector_typeIfLj2EEiiiiiiS1_IjLj3EES5_S5_.uses_vcc, 1
	.set _ZL33flash_attn_stream_k_fixup_uniformILi128ELi32ELi1EEvPfPK15HIP_vector_typeIfLj2EEiiiiiiS1_IjLj3EES5_S5_.uses_flat_scratch, 0
	.set _ZL33flash_attn_stream_k_fixup_uniformILi128ELi32ELi1EEvPfPK15HIP_vector_typeIfLj2EEiiiiiiS1_IjLj3EES5_S5_.has_dyn_sized_stack, 0
	.set _ZL33flash_attn_stream_k_fixup_uniformILi128ELi32ELi1EEvPfPK15HIP_vector_typeIfLj2EEiiiiiiS1_IjLj3EES5_S5_.has_recursion, 0
	.set _ZL33flash_attn_stream_k_fixup_uniformILi128ELi32ELi1EEvPfPK15HIP_vector_typeIfLj2EEiiiiiiS1_IjLj3EES5_S5_.has_indirect_call, 0
	.section	.AMDGPU.csdata,"",@progbits
; Kernel info:
; codeLenInByte = 828
; TotalNumSgprs: 26
; NumVgprs: 15
; ScratchSize: 0
; MemoryBound: 0
; FloatMode: 240
; IeeeMode: 1
; LDSByteSize: 0 bytes/workgroup (compile time only)
; SGPRBlocks: 0
; VGPRBlocks: 1
; NumSGPRsForWavesPerEU: 26
; NumVGPRsForWavesPerEU: 15
; Occupancy: 16
; WaveLimiterHint : 0
; COMPUTE_PGM_RSRC2:SCRATCH_EN: 0
; COMPUTE_PGM_RSRC2:USER_SGPR: 6
; COMPUTE_PGM_RSRC2:TRAP_HANDLER: 0
; COMPUTE_PGM_RSRC2:TGID_X_EN: 1
; COMPUTE_PGM_RSRC2:TGID_Y_EN: 1
; COMPUTE_PGM_RSRC2:TGID_Z_EN: 1
; COMPUTE_PGM_RSRC2:TIDIG_COMP_CNT: 0
	.section	.text._ZL33flash_attn_stream_k_fixup_generalILi128ELi32ELi1EEvPfPK15HIP_vector_typeIfLj2EEiiiiS1_IjLj3EES5_S5_S5_,"axG",@progbits,_ZL33flash_attn_stream_k_fixup_generalILi128ELi32ELi1EEvPfPK15HIP_vector_typeIfLj2EEiiiiS1_IjLj3EES5_S5_S5_,comdat
	.globl	_ZL33flash_attn_stream_k_fixup_generalILi128ELi32ELi1EEvPfPK15HIP_vector_typeIfLj2EEiiiiS1_IjLj3EES5_S5_S5_ ; -- Begin function _ZL33flash_attn_stream_k_fixup_generalILi128ELi32ELi1EEvPfPK15HIP_vector_typeIfLj2EEiiiiS1_IjLj3EES5_S5_S5_
	.p2align	8
	.type	_ZL33flash_attn_stream_k_fixup_generalILi128ELi32ELi1EEvPfPK15HIP_vector_typeIfLj2EEiiiiS1_IjLj3EES5_S5_S5_,@function
_ZL33flash_attn_stream_k_fixup_generalILi128ELi32ELi1EEvPfPK15HIP_vector_typeIfLj2EEiiiiS1_IjLj3EES5_S5_S5_: ; @_ZL33flash_attn_stream_k_fixup_generalILi128ELi32ELi1EEvPfPK15HIP_vector_typeIfLj2EEiiiiS1_IjLj3EES5_S5_S5_
; %bb.0:
	s_clause 0x1
	s_load_dwordx4 s[0:3], s[4:5], 0x10
	s_load_dword s9, s[4:5], 0x50
	s_mov_b32 s16, 0
	s_waitcnt lgkmcnt(0)
	s_mul_hi_i32 s17, s3, s6
	s_mul_i32 s18, s3, s6
	s_cmp_lg_u64 s[16:17], 0
	s_cbranch_scc0 .LBB58_21
; %bb.1:
	s_add_u32 s10, s9, 0
	s_addc_u32 s11, 0, 0
	s_xor_b64 s[10:11], s[10:11], 0
	v_cvt_f32_u32_e32 v1, s10
	v_cvt_f32_u32_e32 v2, s11
	s_sub_u32 s14, 0, s10
	s_subb_u32 s15, 0, s11
	v_fmamk_f32 v1, v2, 0x4f800000, v1
	v_rcp_f32_e32 v1, v1
	v_mul_f32_e32 v1, 0x5f7ffffc, v1
	v_mul_f32_e32 v2, 0x2f800000, v1
	v_trunc_f32_e32 v2, v2
	v_fmamk_f32 v1, v2, 0xcf800000, v1
	v_cvt_u32_f32_e32 v2, v2
	v_cvt_u32_f32_e32 v1, v1
	v_readfirstlane_b32 s12, v2
	v_readfirstlane_b32 s13, v1
	s_mul_i32 s19, s14, s12
	s_mul_hi_u32 s21, s14, s13
	s_mul_i32 s20, s15, s13
	s_add_i32 s19, s21, s19
	s_mul_i32 s22, s14, s13
	s_add_i32 s19, s19, s20
	s_mul_hi_u32 s21, s13, s22
	s_mul_i32 s24, s13, s19
	s_mul_hi_u32 s23, s12, s22
	s_mul_i32 s20, s12, s22
	s_mul_hi_u32 s22, s13, s19
	s_add_u32 s21, s21, s24
	s_addc_u32 s22, 0, s22
	s_mul_hi_u32 s25, s12, s19
	s_add_u32 s20, s21, s20
	s_mul_i32 s19, s12, s19
	s_addc_u32 s20, s22, s23
	s_addc_u32 s21, s25, 0
	s_add_u32 s19, s20, s19
	s_addc_u32 s20, 0, s21
	s_add_u32 s13, s13, s19
	s_cselect_b32 s19, -1, 0
	s_mul_hi_u32 s21, s14, s13
	s_cmp_lg_u32 s19, 0
	s_mul_i32 s19, s14, s13
	s_addc_u32 s12, s12, s20
	s_mul_i32 s15, s15, s13
	s_mul_i32 s14, s14, s12
	s_mul_hi_u32 s20, s13, s19
	s_add_i32 s14, s21, s14
	s_mul_hi_u32 s21, s12, s19
	s_add_i32 s14, s14, s15
	s_mul_i32 s15, s12, s19
	s_mul_i32 s23, s13, s14
	s_mul_hi_u32 s22, s13, s14
	s_add_u32 s20, s20, s23
	s_addc_u32 s22, 0, s22
	s_mul_hi_u32 s19, s12, s14
	s_add_u32 s15, s20, s15
	s_mul_i32 s14, s12, s14
	s_addc_u32 s15, s22, s21
	s_addc_u32 s19, s19, 0
	s_add_u32 s14, s15, s14
	s_addc_u32 s15, 0, s19
	s_add_u32 s19, s13, s14
	s_cselect_b32 s13, -1, 0
	s_cmp_lg_u32 s13, 0
	s_addc_u32 s20, s12, s15
	s_ashr_i32 s12, s17, 31
	s_add_u32 s14, s18, s12
	s_mov_b32 s13, s12
	s_addc_u32 s15, s17, s12
	s_xor_b64 s[14:15], s[14:15], s[12:13]
	s_mul_i32 s21, s14, s20
	s_mul_hi_u32 s22, s14, s19
	s_mul_hi_u32 s17, s14, s20
	;; [unrolled: 1-line block ×3, first 2 shown]
	s_mul_i32 s19, s15, s19
	s_add_u32 s21, s22, s21
	s_addc_u32 s17, 0, s17
	s_mul_hi_u32 s23, s15, s20
	s_add_u32 s19, s21, s19
	s_mul_i32 s20, s15, s20
	s_addc_u32 s17, s17, s24
	s_addc_u32 s19, s23, 0
	s_add_u32 s17, s17, s20
	s_addc_u32 s19, 0, s19
	s_mul_hi_u32 s20, s10, s17
	s_mul_i32 s21, s10, s19
	s_mul_i32 s22, s11, s17
	s_add_i32 s20, s20, s21
	s_mul_i32 s21, s10, s17
	s_add_i32 s20, s20, s22
	s_sub_i32 s22, s15, s20
	s_sub_u32 s14, s14, s21
	s_cselect_b32 s21, -1, 0
	s_cmp_lg_u32 s21, 0
	s_subb_u32 s22, s22, s11
	s_sub_u32 s23, s14, s10
	s_cselect_b32 s24, -1, 0
	s_cmp_lg_u32 s24, 0
	s_subb_u32 s22, s22, 0
	s_cmp_ge_u32 s22, s11
	s_cselect_b32 s24, -1, 0
	s_cmp_ge_u32 s23, s10
	s_cselect_b32 s23, -1, 0
	s_cmp_eq_u32 s22, s11
	s_cselect_b32 s22, s23, s24
	s_add_u32 s23, s17, 1
	s_addc_u32 s24, s19, 0
	s_add_u32 s25, s17, 2
	s_addc_u32 s26, s19, 0
	s_cmp_lg_u32 s22, 0
	s_cselect_b32 s22, s25, s23
	s_cselect_b32 s23, s26, s24
	s_cmp_lg_u32 s21, 0
	s_subb_u32 s15, s15, s20
	s_cmp_ge_u32 s15, s11
	s_cselect_b32 s20, -1, 0
	s_cmp_ge_u32 s14, s10
	s_cselect_b32 s10, -1, 0
	s_cmp_eq_u32 s15, s11
	s_cselect_b32 s10, s10, s20
	s_cmp_lg_u32 s10, 0
	s_cselect_b32 s11, s23, s19
	s_cselect_b32 s10, s22, s17
	s_xor_b64 s[12:13], s[12:13], 0
	s_xor_b64 s[10:11], s[10:11], s[12:13]
	s_sub_u32 s10, s10, s12
	s_load_dwordx4 s[12:15], s[4:5], 0x44
	s_andn2_b32 vcc_lo, exec_lo, s16
	s_cbranch_vccnz .LBB58_3
.LBB58_2:
	v_cvt_f32_u32_e32 v1, s9
	s_sub_i32 s11, 0, s9
	v_rcp_iflag_f32_e32 v1, v1
	v_mul_f32_e32 v1, 0x4f7ffffe, v1
	v_cvt_u32_f32_e32 v1, v1
	v_readfirstlane_b32 s10, v1
	s_mul_i32 s11, s11, s10
	s_mul_hi_u32 s11, s10, s11
	s_add_i32 s10, s10, s11
	s_mul_hi_u32 s10, s18, s10
	s_mul_i32 s11, s10, s9
	s_waitcnt lgkmcnt(0)
	s_add_i32 s15, s10, 1
	s_sub_i32 s11, s18, s11
	s_sub_i32 s16, s11, s9
	s_cmp_ge_u32 s11, s9
	s_cselect_b32 s10, s15, s10
	s_cselect_b32 s11, s16, s11
	s_add_i32 s15, s10, 1
	s_cmp_ge_u32 s11, s9
	s_cselect_b32 s10, s15, s10
.LBB58_3:
	s_add_i32 s11, s6, 1
	s_mov_b32 s16, 0
	s_mul_hi_i32 s17, s3, s11
	s_mul_i32 s11, s3, s11
	s_cmp_lg_u64 s[16:17], 0
	s_cbranch_scc0 .LBB58_22
; %bb.4:
	s_add_u32 s18, s9, 0
	s_addc_u32 s19, 0, 0
	s_xor_b64 s[18:19], s[18:19], 0
	v_cvt_f32_u32_e32 v1, s18
	v_cvt_f32_u32_e32 v2, s19
	s_sub_u32 s21, 0, s18
	s_subb_u32 s22, 0, s19
	v_fmamk_f32 v1, v2, 0x4f800000, v1
	v_rcp_f32_e32 v1, v1
	v_mul_f32_e32 v1, 0x5f7ffffc, v1
	v_mul_f32_e32 v2, 0x2f800000, v1
	v_trunc_f32_e32 v2, v2
	v_fmamk_f32 v1, v2, 0xcf800000, v1
	v_cvt_u32_f32_e32 v2, v2
	v_cvt_u32_f32_e32 v1, v1
	s_waitcnt lgkmcnt(0)
	v_readfirstlane_b32 s15, v2
	v_readfirstlane_b32 s20, v1
	s_mul_i32 s23, s21, s15
	s_mul_hi_u32 s25, s21, s20
	s_mul_i32 s24, s22, s20
	s_add_i32 s23, s25, s23
	s_mul_i32 s26, s21, s20
	s_add_i32 s23, s23, s24
	s_mul_hi_u32 s25, s20, s26
	s_mul_i32 s28, s20, s23
	s_mul_hi_u32 s27, s15, s26
	s_mul_i32 s24, s15, s26
	s_mul_hi_u32 s26, s20, s23
	s_add_u32 s25, s25, s28
	s_addc_u32 s26, 0, s26
	s_mul_hi_u32 s29, s15, s23
	s_add_u32 s24, s25, s24
	s_mul_i32 s23, s15, s23
	s_addc_u32 s24, s26, s27
	s_addc_u32 s25, s29, 0
	s_add_u32 s23, s24, s23
	s_addc_u32 s24, 0, s25
	s_add_u32 s20, s20, s23
	s_cselect_b32 s23, -1, 0
	s_mul_hi_u32 s25, s21, s20
	s_cmp_lg_u32 s23, 0
	s_mul_i32 s23, s21, s20
	s_addc_u32 s15, s15, s24
	s_mul_i32 s22, s22, s20
	s_mul_i32 s21, s21, s15
	s_mul_hi_u32 s24, s20, s23
	s_add_i32 s21, s25, s21
	s_mul_hi_u32 s25, s15, s23
	s_add_i32 s21, s21, s22
	s_mul_i32 s22, s15, s23
	s_mul_i32 s27, s20, s21
	s_mul_hi_u32 s26, s20, s21
	s_add_u32 s24, s24, s27
	s_addc_u32 s26, 0, s26
	s_mul_hi_u32 s23, s15, s21
	s_add_u32 s22, s24, s22
	s_mul_i32 s21, s15, s21
	s_addc_u32 s22, s26, s25
	s_addc_u32 s23, s23, 0
	s_add_u32 s21, s22, s21
	s_addc_u32 s22, 0, s23
	s_add_u32 s24, s20, s21
	s_cselect_b32 s20, -1, 0
	s_cmp_lg_u32 s20, 0
	s_addc_u32 s15, s15, s22
	s_ashr_i32 s20, s17, 31
	s_add_u32 s22, s11, s20
	s_mov_b32 s21, s20
	s_addc_u32 s23, s17, s20
	s_xor_b64 s[22:23], s[22:23], s[20:21]
	s_mul_i32 s25, s22, s15
	s_mul_hi_u32 s26, s22, s24
	s_mul_hi_u32 s17, s22, s15
	;; [unrolled: 1-line block ×3, first 2 shown]
	s_mul_i32 s24, s23, s24
	s_add_u32 s25, s26, s25
	s_addc_u32 s17, 0, s17
	s_mul_hi_u32 s27, s23, s15
	s_add_u32 s24, s25, s24
	s_mul_i32 s15, s23, s15
	s_addc_u32 s17, s17, s28
	s_addc_u32 s24, s27, 0
	s_add_u32 s15, s17, s15
	s_addc_u32 s17, 0, s24
	s_mul_hi_u32 s24, s18, s15
	s_mul_i32 s25, s18, s17
	s_mul_i32 s26, s19, s15
	s_add_i32 s24, s24, s25
	s_mul_i32 s25, s18, s15
	s_add_i32 s24, s24, s26
	s_sub_i32 s26, s23, s24
	s_sub_u32 s22, s22, s25
	s_cselect_b32 s25, -1, 0
	s_cmp_lg_u32 s25, 0
	s_subb_u32 s26, s26, s19
	s_sub_u32 s27, s22, s18
	s_cselect_b32 s28, -1, 0
	s_cmp_lg_u32 s28, 0
	s_subb_u32 s26, s26, 0
	s_cmp_ge_u32 s26, s19
	s_cselect_b32 s28, -1, 0
	s_cmp_ge_u32 s27, s18
	s_cselect_b32 s27, -1, 0
	s_cmp_eq_u32 s26, s19
	s_cselect_b32 s26, s27, s28
	s_add_u32 s27, s15, 1
	s_addc_u32 s28, s17, 0
	s_add_u32 s29, s15, 2
	s_addc_u32 s30, s17, 0
	s_cmp_lg_u32 s26, 0
	s_cselect_b32 s26, s29, s27
	s_cselect_b32 s27, s30, s28
	s_cmp_lg_u32 s25, 0
	s_subb_u32 s23, s23, s24
	s_cmp_ge_u32 s23, s19
	s_cselect_b32 s24, -1, 0
	s_cmp_ge_u32 s22, s18
	s_cselect_b32 s18, -1, 0
	s_cmp_eq_u32 s23, s19
	s_cselect_b32 s18, s18, s24
	s_cmp_lg_u32 s18, 0
	s_cselect_b32 s19, s27, s17
	s_cselect_b32 s18, s26, s15
	s_xor_b64 s[20:21], s[20:21], 0
	s_xor_b64 s[18:19], s[18:19], s[20:21]
	s_sub_u32 s18, s18, s20
	s_andn2_b32 vcc_lo, exec_lo, s16
	s_cbranch_vccnz .LBB58_6
.LBB58_5:
	v_cvt_f32_u32_e32 v1, s9
	s_sub_i32 s16, 0, s9
	v_rcp_iflag_f32_e32 v1, v1
	v_mul_f32_e32 v1, 0x4f7ffffe, v1
	v_cvt_u32_f32_e32 v1, v1
	s_waitcnt lgkmcnt(0)
	v_readfirstlane_b32 s15, v1
	s_mul_i32 s16, s16, s15
	s_mul_hi_u32 s16, s15, s16
	s_add_i32 s15, s15, s16
	s_mul_hi_u32 s15, s11, s15
	s_mul_i32 s16, s15, s9
	s_sub_i32 s11, s11, s16
	s_add_i32 s16, s15, 1
	s_sub_i32 s17, s11, s9
	s_cmp_ge_u32 s11, s9
	s_cselect_b32 s15, s16, s15
	s_cselect_b32 s11, s17, s11
	s_add_i32 s16, s15, 1
	s_cmp_ge_u32 s11, s9
	s_cselect_b32 s18, s16, s15
.LBB58_6:
	s_cmp_eq_u32 s10, s18
	s_waitcnt lgkmcnt(0)
	s_mul_hi_u32 s11, s10, s12
	s_cselect_b32 s15, -1, 0
	s_add_i32 s11, s11, s10
	s_lshr_b32 s11, s11, s13
	s_mul_i32 s16, s11, s14
	s_cmp_eq_u32 s16, s10
	s_mul_hi_u32 s16, s18, s12
	s_cselect_b32 s17, -1, 0
	s_add_i32 s16, s16, s18
	s_lshr_b32 s16, s16, s13
	s_cmp_eq_u32 s11, s16
	s_mul_i32 s16, s16, s14
	s_cselect_b32 s19, -1, 0
	s_cmp_lg_u32 s16, s18
	s_cselect_b32 s16, -1, 0
	s_or_b32 s15, s15, s17
	s_and_b32 s16, s19, s16
	s_or_b32 s15, s15, s16
	s_and_b32 vcc_lo, exec_lo, s15
	s_cbranch_vccnz .LBB58_24
; %bb.7:
	s_load_dwordx8 s[20:27], s[4:5], 0x20
	s_waitcnt lgkmcnt(0)
	s_mul_hi_u32 s15, s10, s20
	s_add_i32 s15, s15, s10
	s_lshr_b32 s20, s15, s21
	s_load_dword s15, s[4:5], 0x40
	s_mul_i32 s16, s20, s22
	s_sub_i32 s16, s10, s16
	s_mul_hi_u32 s17, s16, s23
	s_add_i32 s17, s16, s17
	s_lshr_b32 s22, s17, s24
	s_mul_i32 s17, s22, s25
	s_sub_i32 s16, s16, s17
	s_mul_hi_u32 s17, s16, s26
	s_add_i32 s17, s16, s17
	s_lshr_b32 s23, s17, s27
	s_waitcnt lgkmcnt(0)
	s_mul_i32 s15, s23, s15
	s_sub_i32 s15, s16, s15
	s_mul_hi_u32 s16, s15, s12
	s_add_i32 s15, s15, s16
	s_lshr_b32 s24, s15, s13
	s_lshl_b32 s15, s24, 5
	s_add_i32 s15, s15, s7
	s_cmp_lt_i32 s15, s0
	s_cselect_b32 s15, -1, 0
	s_add_i32 s16, s23, s8
	s_cmp_lt_i32 s16, s2
	s_cselect_b32 s16, -1, 0
	s_and_b32 s15, s15, s16
	s_andn2_b32 vcc_lo, exec_lo, s15
	s_cbranch_vccnz .LBB58_24
; %bb.8:
	s_load_dwordx4 s[16:19], s[4:5], 0x0
	s_mov_b32 s4, 0
	s_lshl_b32 s26, s9, 7
	s_mov_b32 s27, s4
	s_add_i32 s15, s7, s8
	s_lshl_b64 s[26:27], s[26:27], 2
	s_mul_i32 s0, s20, s0
	s_mul_i32 s22, s22, s2
	v_cvt_f32_u32_e32 v4, s9
	v_rcp_iflag_f32_e32 v4, v4
	s_waitcnt lgkmcnt(0)
	s_add_u32 s20, s18, s26
	s_addc_u32 s21, s19, s27
	s_add_i32 s0, s0, s7
	v_mul_f32_e32 v4, 0x4f7ffffe, v4
	s_mul_i32 s0, s0, s1
	s_mul_i32 s1, s1, s24
	s_add_i32 s0, s0, s8
	s_lshl_b32 s1, s1, 12
	s_add_i32 s0, s0, s22
	v_cvt_u32_f32_e32 v4, v4
	s_add_i32 s0, s0, s23
	s_lshl_b32 s0, s0, 7
	s_add_i32 s1, s1, s0
	s_lshl_b32 s0, s6, 5
	v_or_b32_e32 v1, s1, v0
	s_add_i32 s0, s0, s15
	v_lshl_or_b32 v0, s15, 7, v0
	s_ashr_i32 s1, s0, 31
	v_ashrrev_i32_e32 v2, 31, v1
	s_lshl_b64 s[0:1], s[0:1], 3
	s_add_u32 s0, s18, s0
	s_addc_u32 s1, s19, s1
	v_lshlrev_b64 v[1:2], 2, v[1:2]
	s_load_dwordx2 s[0:1], s[0:1], 0x0
	s_add_i32 s8, s6, -1
	s_sub_i32 s2, 0, s9
	v_add_co_u32 v1, vcc_lo, s16, v1
	v_add_co_ci_u32_e64 v2, null, s17, v2, vcc_lo
	global_load_dword v3, v[1:2], off
	s_waitcnt lgkmcnt(0)
	v_mov_b32_e32 v5, s1
	v_mov_b32_e32 v6, s0
.LBB58_9:                               ; =>This Inner Loop Header: Depth=1
	s_mul_hi_i32 s5, s8, s3
	s_mul_i32 s6, s8, s3
	s_cmp_lg_u64 s[4:5], 0
	s_mov_b32 s7, -1
                                        ; implicit-def: $sgpr0_sgpr1
	s_cbranch_scc0 .LBB58_11
; %bb.10:                               ;   in Loop: Header=BB58_9 Depth=1
	s_add_u32 s0, s9, 0
	s_addc_u32 s1, 0, 0
	s_xor_b64 s[0:1], s[0:1], 0
	v_cvt_f32_u32_e32 v7, s0
	v_cvt_f32_u32_e32 v8, s1
	s_sub_u32 s17, 0, s0
	s_subb_u32 s22, 0, s1
	v_fmac_f32_e32 v7, 0x4f800000, v8
	v_rcp_f32_e32 v7, v7
	v_mul_f32_e32 v7, 0x5f7ffffc, v7
	v_mul_f32_e32 v8, 0x2f800000, v7
	v_trunc_f32_e32 v8, v8
	v_fmac_f32_e32 v7, 0xcf800000, v8
	v_cvt_u32_f32_e32 v8, v8
	v_cvt_u32_f32_e32 v7, v7
	v_readfirstlane_b32 s7, v8
	v_readfirstlane_b32 s16, v7
	s_mul_i32 s23, s17, s7
	s_mul_hi_u32 s25, s17, s16
	s_mul_i32 s24, s22, s16
	s_add_i32 s23, s25, s23
	s_mul_i32 s26, s17, s16
	s_add_i32 s23, s23, s24
	s_mul_hi_u32 s25, s16, s26
	s_mul_i32 s28, s16, s23
	s_mul_hi_u32 s27, s7, s26
	s_mul_i32 s24, s7, s26
	s_mul_hi_u32 s26, s16, s23
	s_add_u32 s25, s25, s28
	s_addc_u32 s26, 0, s26
	s_mul_hi_u32 s29, s7, s23
	s_add_u32 s24, s25, s24
	s_mul_i32 s23, s7, s23
	s_addc_u32 s24, s26, s27
	s_addc_u32 s25, s29, 0
	s_add_u32 s23, s24, s23
	s_addc_u32 s24, 0, s25
	s_add_u32 s16, s16, s23
	s_cselect_b32 s23, -1, 0
	s_mul_hi_u32 s25, s17, s16
	s_cmp_lg_u32 s23, 0
	s_mul_i32 s23, s17, s16
	s_addc_u32 s7, s7, s24
	s_mul_i32 s22, s22, s16
	s_mul_i32 s17, s17, s7
	s_mul_hi_u32 s24, s16, s23
	s_add_i32 s17, s25, s17
	s_mul_hi_u32 s25, s7, s23
	s_add_i32 s17, s17, s22
	s_mul_i32 s22, s7, s23
	s_mul_i32 s27, s16, s17
	s_mul_hi_u32 s26, s16, s17
	s_add_u32 s24, s24, s27
	s_addc_u32 s26, 0, s26
	s_mul_hi_u32 s23, s7, s17
	s_add_u32 s22, s24, s22
	s_mul_i32 s17, s7, s17
	s_addc_u32 s22, s26, s25
	s_addc_u32 s23, s23, 0
	s_add_u32 s17, s22, s17
	s_addc_u32 s22, 0, s23
	s_add_u32 s24, s16, s17
	s_cselect_b32 s16, -1, 0
	s_cmp_lg_u32 s16, 0
	s_addc_u32 s7, s7, s22
	s_ashr_i32 s16, s5, 31
	s_add_u32 s22, s6, s16
	s_mov_b32 s17, s16
	s_addc_u32 s23, s5, s16
	s_xor_b64 s[22:23], s[22:23], s[16:17]
	s_mul_i32 s25, s22, s7
	s_mul_hi_u32 s26, s22, s24
	s_mul_hi_u32 s5, s22, s7
	;; [unrolled: 1-line block ×3, first 2 shown]
	s_mul_i32 s24, s23, s24
	s_add_u32 s25, s26, s25
	s_addc_u32 s5, 0, s5
	s_mul_hi_u32 s27, s23, s7
	s_add_u32 s24, s25, s24
	s_mul_i32 s7, s23, s7
	s_addc_u32 s5, s5, s28
	s_addc_u32 s24, s27, 0
	s_add_u32 s5, s5, s7
	s_addc_u32 s7, 0, s24
	s_mul_hi_u32 s24, s0, s5
	s_mul_i32 s25, s0, s7
	s_mul_i32 s26, s1, s5
	s_add_i32 s24, s24, s25
	s_mul_i32 s25, s0, s5
	s_add_i32 s24, s24, s26
	s_sub_i32 s26, s23, s24
	s_sub_u32 s22, s22, s25
	s_cselect_b32 s25, -1, 0
	s_cmp_lg_u32 s25, 0
	s_subb_u32 s26, s26, s1
	s_sub_u32 s27, s22, s0
	s_cselect_b32 s28, -1, 0
	s_cmp_lg_u32 s28, 0
	s_subb_u32 s26, s26, 0
	s_cmp_ge_u32 s26, s1
	s_cselect_b32 s28, -1, 0
	s_cmp_ge_u32 s27, s0
	s_cselect_b32 s27, -1, 0
	s_cmp_eq_u32 s26, s1
	s_cselect_b32 s26, s27, s28
	s_add_u32 s27, s5, 1
	s_addc_u32 s28, s7, 0
	s_add_u32 s29, s5, 2
	s_addc_u32 s30, s7, 0
	s_cmp_lg_u32 s26, 0
	s_cselect_b32 s26, s29, s27
	s_cselect_b32 s27, s30, s28
	s_cmp_lg_u32 s25, 0
	s_subb_u32 s23, s23, s24
	s_cmp_ge_u32 s23, s1
	s_cselect_b32 s24, -1, 0
	s_cmp_ge_u32 s22, s0
	s_cselect_b32 s0, -1, 0
	s_cmp_eq_u32 s23, s1
	s_cselect_b32 s0, s0, s24
	s_cmp_lg_u32 s0, 0
	s_cselect_b32 s1, s27, s7
	s_cselect_b32 s0, s26, s5
	s_xor_b64 s[16:17], s[16:17], 0
	s_mov_b32 s7, 0
	s_xor_b64 s[0:1], s[0:1], s[16:17]
	s_sub_u32 s0, s0, s16
.LBB58_11:                              ;   in Loop: Header=BB58_9 Depth=1
	s_andn2_b32 vcc_lo, exec_lo, s7
	s_cbranch_vccnz .LBB58_13
; %bb.12:                               ;   in Loop: Header=BB58_9 Depth=1
	v_readfirstlane_b32 s0, v4
	s_mul_i32 s1, s2, s0
	s_mul_hi_u32 s1, s0, s1
	s_add_i32 s0, s0, s1
	s_mul_hi_u32 s0, s6, s0
	s_mul_i32 s1, s0, s9
	s_add_i32 s5, s0, 1
	s_sub_i32 s1, s6, s1
	s_sub_i32 s6, s1, s9
	s_cmp_ge_u32 s1, s9
	s_cselect_b32 s0, s5, s0
	s_cselect_b32 s1, s6, s1
	s_add_i32 s5, s0, 1
	s_cmp_ge_u32 s1, s9
	s_cselect_b32 s0, s5, s0
.LBB58_13:                              ;   in Loop: Header=BB58_9 Depth=1
	s_cmp_lg_u32 s10, s0
	s_mov_b32 s6, -1
                                        ; implicit-def: $sgpr5
                                        ; implicit-def: $vgpr8
                                        ; implicit-def: $vgpr7
                                        ; implicit-def: $vgpr9
                                        ; implicit-def: $sgpr1
                                        ; implicit-def: $sgpr16
	s_cbranch_scc0 .LBB58_18
; %bb.14:                               ;   in Loop: Header=BB58_9 Depth=1
	s_add_i32 s1, s8, s9
	s_mov_b32 s7, s4
	s_lshl_b32 s1, s1, 5
	s_mov_b32 s16, s10
	s_add_i32 s6, s1, s15
	s_mul_hi_u32 s1, s0, s12
	s_lshl_b64 s[6:7], s[6:7], 3
	s_add_u32 s6, s18, s6
	s_addc_u32 s7, s19, s7
	s_add_i32 s1, s1, s0
	s_lshr_b32 s1, s1, s13
	s_mul_i32 s5, s1, s14
	s_cmp_eq_u32 s5, s0
	s_cselect_b32 s5, -1, 0
	s_cmp_lt_u32 s1, s11
	s_cselect_b32 s1, -1, 0
	s_or_b32 s1, s1, s5
	s_mov_b32 s5, -1
	s_and_b32 vcc_lo, exec_lo, s1
	s_mov_b32 s1, s8
	s_cbranch_vccnz .LBB58_16
; %bb.15:                               ;   in Loop: Header=BB58_9 Depth=1
	s_add_i32 s1, s8, -1
	s_mov_b32 s5, 0
	s_mov_b32 s16, s0
.LBB58_16:                              ;   in Loop: Header=BB58_9 Depth=1
	v_lshl_add_u32 v7, s8, 12, v0
	s_load_dwordx2 s[6:7], s[6:7], 0x0
	v_ashrrev_i32_e32 v8, 31, v7
	v_lshlrev_b64 v[7:8], 2, v[7:8]
	v_add_co_u32 v7, vcc_lo, s20, v7
	v_add_co_ci_u32_e64 v8, null, s21, v8, vcc_lo
	s_waitcnt lgkmcnt(0)
	v_max_f32_e64 v9, s6, s6
	global_load_dword v8, v[7:8], off
	v_max_f32_e32 v7, v6, v6
	v_max_f32_e32 v7, v7, v9
	v_sub_f32_e32 v9, s6, v7
	v_sub_f32_e32 v10, v6, v7
	v_mul_f32_e32 v11, 0x3fb8aa3b, v9
	v_mul_f32_e32 v12, 0x3fb8aa3b, v10
	v_cmp_ngt_f32_e32 vcc_lo, 0xc2ce8ed0, v9
	v_fma_f32 v13, 0x3fb8aa3b, v9, -v11
	v_rndne_f32_e32 v14, v11
	v_fma_f32 v15, 0x3fb8aa3b, v10, -v12
	v_rndne_f32_e32 v16, v12
	v_fmac_f32_e32 v13, 0x32a5705f, v9
	v_sub_f32_e32 v11, v11, v14
	v_fmac_f32_e32 v15, 0x32a5705f, v10
	v_sub_f32_e32 v12, v12, v16
	v_add_f32_e32 v11, v11, v13
	v_cvt_i32_f32_e32 v13, v14
	v_add_f32_e32 v12, v12, v15
	v_cvt_i32_f32_e32 v14, v16
	v_exp_f32_e32 v11, v11
	v_exp_f32_e32 v12, v12
	v_ldexp_f32 v11, v11, v13
	v_ldexp_f32 v12, v12, v14
	v_cndmask_b32_e32 v11, 0, v11, vcc_lo
	v_cmp_ngt_f32_e32 vcc_lo, 0xc2ce8ed0, v10
	v_cndmask_b32_e32 v12, 0, v12, vcc_lo
	v_cmp_nlt_f32_e32 vcc_lo, 0x42b17218, v9
	v_cndmask_b32_e32 v11, 0x7f800000, v11, vcc_lo
	v_cmp_nlt_f32_e32 vcc_lo, 0x42b17218, v10
	v_cndmask_b32_e32 v12, 0x7f800000, v12, vcc_lo
	v_cmp_le_f32_e32 vcc_lo, 0xc1a00000, v9
	v_cndmask_b32_e32 v9, 0, v11, vcc_lo
	v_cmp_le_f32_e32 vcc_lo, 0xc1a00000, v10
	v_cndmask_b32_e32 v10, 0, v12, vcc_lo
	s_waitcnt vmcnt(0)
	v_mul_f32_e32 v8, v8, v9
	v_mul_f32_e32 v9, s7, v9
	v_fmac_f32_e32 v8, v3, v10
	v_fmac_f32_e32 v9, v5, v10
	s_cbranch_execz .LBB58_19
.LBB58_17:                              ;   in Loop: Header=BB58_9 Depth=1
	s_andn2_b32 vcc_lo, exec_lo, s5
	s_cbranch_vccnz .LBB58_20
	s_branch .LBB58_23
.LBB58_18:                              ;   in Loop: Header=BB58_9 Depth=1
	s_andn2_b32 vcc_lo, exec_lo, s6
	s_cbranch_vccnz .LBB58_17
.LBB58_19:                              ;   in Loop: Header=BB58_9 Depth=1
	v_mov_b32_e32 v9, v5
	v_mov_b32_e32 v7, v6
	s_waitcnt vmcnt(0)
	v_mov_b32_e32 v8, v3
	s_add_i32 s1, s8, -1
	s_mov_b32 s16, s10
	s_cbranch_execz .LBB58_23
.LBB58_20:                              ;   in Loop: Header=BB58_9 Depth=1
	v_mov_b32_e32 v5, v9
	v_mov_b32_e32 v6, v7
	s_waitcnt vmcnt(0)
	v_mov_b32_e32 v3, v8
	s_mov_b32 s10, s16
	s_mov_b32 s8, s1
	s_branch .LBB58_9
.LBB58_21:
                                        ; implicit-def: $sgpr10_sgpr11
	s_load_dwordx4 s[12:15], s[4:5], 0x44
	s_branch .LBB58_2
.LBB58_22:
                                        ; implicit-def: $sgpr18_sgpr19
	s_branch .LBB58_5
.LBB58_23:
	v_div_scale_f32 v0, null, v9, v9, v8
	s_waitcnt vmcnt(0)
	v_rcp_f32_e32 v3, v0
	v_fma_f32 v4, -v0, v3, 1.0
	v_fmac_f32_e32 v3, v4, v3
	v_div_scale_f32 v4, vcc_lo, v8, v9, v8
	v_mul_f32_e32 v5, v4, v3
	v_fma_f32 v6, -v0, v5, v4
	v_fmac_f32_e32 v5, v6, v3
	v_fma_f32 v0, -v0, v5, v4
	v_div_fmas_f32 v0, v0, v3, v5
	v_div_fixup_f32 v0, v0, v9, v8
	global_store_dword v[1:2], v0, off
.LBB58_24:
	s_endpgm
	.section	.rodata,"a",@progbits
	.p2align	6, 0x0
	.amdhsa_kernel _ZL33flash_attn_stream_k_fixup_generalILi128ELi32ELi1EEvPfPK15HIP_vector_typeIfLj2EEiiiiS1_IjLj3EES5_S5_S5_
		.amdhsa_group_segment_fixed_size 0
		.amdhsa_private_segment_fixed_size 0
		.amdhsa_kernarg_size 336
		.amdhsa_user_sgpr_count 6
		.amdhsa_user_sgpr_private_segment_buffer 1
		.amdhsa_user_sgpr_dispatch_ptr 0
		.amdhsa_user_sgpr_queue_ptr 0
		.amdhsa_user_sgpr_kernarg_segment_ptr 1
		.amdhsa_user_sgpr_dispatch_id 0
		.amdhsa_user_sgpr_flat_scratch_init 0
		.amdhsa_user_sgpr_private_segment_size 0
		.amdhsa_wavefront_size32 1
		.amdhsa_uses_dynamic_stack 0
		.amdhsa_system_sgpr_private_segment_wavefront_offset 0
		.amdhsa_system_sgpr_workgroup_id_x 1
		.amdhsa_system_sgpr_workgroup_id_y 1
		.amdhsa_system_sgpr_workgroup_id_z 1
		.amdhsa_system_sgpr_workgroup_info 0
		.amdhsa_system_vgpr_workitem_id 0
		.amdhsa_next_free_vgpr 17
		.amdhsa_next_free_sgpr 31
		.amdhsa_reserve_vcc 1
		.amdhsa_reserve_flat_scratch 0
		.amdhsa_float_round_mode_32 0
		.amdhsa_float_round_mode_16_64 0
		.amdhsa_float_denorm_mode_32 3
		.amdhsa_float_denorm_mode_16_64 3
		.amdhsa_dx10_clamp 1
		.amdhsa_ieee_mode 1
		.amdhsa_fp16_overflow 0
		.amdhsa_workgroup_processor_mode 1
		.amdhsa_memory_ordered 1
		.amdhsa_forward_progress 1
		.amdhsa_shared_vgpr_count 0
		.amdhsa_exception_fp_ieee_invalid_op 0
		.amdhsa_exception_fp_denorm_src 0
		.amdhsa_exception_fp_ieee_div_zero 0
		.amdhsa_exception_fp_ieee_overflow 0
		.amdhsa_exception_fp_ieee_underflow 0
		.amdhsa_exception_fp_ieee_inexact 0
		.amdhsa_exception_int_div_zero 0
	.end_amdhsa_kernel
	.section	.text._ZL33flash_attn_stream_k_fixup_generalILi128ELi32ELi1EEvPfPK15HIP_vector_typeIfLj2EEiiiiS1_IjLj3EES5_S5_S5_,"axG",@progbits,_ZL33flash_attn_stream_k_fixup_generalILi128ELi32ELi1EEvPfPK15HIP_vector_typeIfLj2EEiiiiS1_IjLj3EES5_S5_S5_,comdat
.Lfunc_end58:
	.size	_ZL33flash_attn_stream_k_fixup_generalILi128ELi32ELi1EEvPfPK15HIP_vector_typeIfLj2EEiiiiS1_IjLj3EES5_S5_S5_, .Lfunc_end58-_ZL33flash_attn_stream_k_fixup_generalILi128ELi32ELi1EEvPfPK15HIP_vector_typeIfLj2EEiiiiS1_IjLj3EES5_S5_S5_
                                        ; -- End function
	.set _ZL33flash_attn_stream_k_fixup_generalILi128ELi32ELi1EEvPfPK15HIP_vector_typeIfLj2EEiiiiS1_IjLj3EES5_S5_S5_.num_vgpr, 17
	.set _ZL33flash_attn_stream_k_fixup_generalILi128ELi32ELi1EEvPfPK15HIP_vector_typeIfLj2EEiiiiS1_IjLj3EES5_S5_S5_.num_agpr, 0
	.set _ZL33flash_attn_stream_k_fixup_generalILi128ELi32ELi1EEvPfPK15HIP_vector_typeIfLj2EEiiiiS1_IjLj3EES5_S5_S5_.numbered_sgpr, 31
	.set _ZL33flash_attn_stream_k_fixup_generalILi128ELi32ELi1EEvPfPK15HIP_vector_typeIfLj2EEiiiiS1_IjLj3EES5_S5_S5_.num_named_barrier, 0
	.set _ZL33flash_attn_stream_k_fixup_generalILi128ELi32ELi1EEvPfPK15HIP_vector_typeIfLj2EEiiiiS1_IjLj3EES5_S5_S5_.private_seg_size, 0
	.set _ZL33flash_attn_stream_k_fixup_generalILi128ELi32ELi1EEvPfPK15HIP_vector_typeIfLj2EEiiiiS1_IjLj3EES5_S5_S5_.uses_vcc, 1
	.set _ZL33flash_attn_stream_k_fixup_generalILi128ELi32ELi1EEvPfPK15HIP_vector_typeIfLj2EEiiiiS1_IjLj3EES5_S5_S5_.uses_flat_scratch, 0
	.set _ZL33flash_attn_stream_k_fixup_generalILi128ELi32ELi1EEvPfPK15HIP_vector_typeIfLj2EEiiiiS1_IjLj3EES5_S5_S5_.has_dyn_sized_stack, 0
	.set _ZL33flash_attn_stream_k_fixup_generalILi128ELi32ELi1EEvPfPK15HIP_vector_typeIfLj2EEiiiiS1_IjLj3EES5_S5_S5_.has_recursion, 0
	.set _ZL33flash_attn_stream_k_fixup_generalILi128ELi32ELi1EEvPfPK15HIP_vector_typeIfLj2EEiiiiS1_IjLj3EES5_S5_S5_.has_indirect_call, 0
	.section	.AMDGPU.csdata,"",@progbits
; Kernel info:
; codeLenInByte = 2936
; TotalNumSgprs: 33
; NumVgprs: 17
; ScratchSize: 0
; MemoryBound: 0
; FloatMode: 240
; IeeeMode: 1
; LDSByteSize: 0 bytes/workgroup (compile time only)
; SGPRBlocks: 0
; VGPRBlocks: 2
; NumSGPRsForWavesPerEU: 33
; NumVGPRsForWavesPerEU: 17
; Occupancy: 16
; WaveLimiterHint : 0
; COMPUTE_PGM_RSRC2:SCRATCH_EN: 0
; COMPUTE_PGM_RSRC2:USER_SGPR: 6
; COMPUTE_PGM_RSRC2:TRAP_HANDLER: 0
; COMPUTE_PGM_RSRC2:TGID_X_EN: 1
; COMPUTE_PGM_RSRC2:TGID_Y_EN: 1
; COMPUTE_PGM_RSRC2:TGID_Z_EN: 1
; COMPUTE_PGM_RSRC2:TIDIG_COMP_CNT: 0
	.section	.text._ZL15flash_attn_tileILi128ELi128ELi16ELi1ELb0EEvPKcS1_S1_S1_S1_PKiPfP15HIP_vector_typeIfLj2EEffffjfiS5_IjLj3EEiiiiiiiiiiiliiliiiiil,"axG",@progbits,_ZL15flash_attn_tileILi128ELi128ELi16ELi1ELb0EEvPKcS1_S1_S1_S1_PKiPfP15HIP_vector_typeIfLj2EEffffjfiS5_IjLj3EEiiiiiiiiiiiliiliiiiil,comdat
	.globl	_ZL15flash_attn_tileILi128ELi128ELi16ELi1ELb0EEvPKcS1_S1_S1_S1_PKiPfP15HIP_vector_typeIfLj2EEffffjfiS5_IjLj3EEiiiiiiiiiiiliiliiiiil ; -- Begin function _ZL15flash_attn_tileILi128ELi128ELi16ELi1ELb0EEvPKcS1_S1_S1_S1_PKiPfP15HIP_vector_typeIfLj2EEffffjfiS5_IjLj3EEiiiiiiiiiiiliiliiiiil
	.p2align	8
	.type	_ZL15flash_attn_tileILi128ELi128ELi16ELi1ELb0EEvPKcS1_S1_S1_S1_PKiPfP15HIP_vector_typeIfLj2EEffffjfiS5_IjLj3EEiiiiiiiiiiiliiliiiiil,@function
_ZL15flash_attn_tileILi128ELi128ELi16ELi1ELb0EEvPKcS1_S1_S1_S1_PKiPfP15HIP_vector_typeIfLj2EEffffjfiS5_IjLj3EEiiiiiiiiiiiliiliiiiil: ; @_ZL15flash_attn_tileILi128ELi128ELi16ELi1ELb0EEvPKcS1_S1_S1_S1_PKiPfP15HIP_vector_typeIfLj2EEffffjfiS5_IjLj3EEiiiiiiiiiiiliiliiiiil
; %bb.0:
	s_add_u32 s6, s6, s11
	s_addc_u32 s7, s7, 0
	s_setreg_b32 hwreg(HW_REG_FLAT_SCR_LO), s6
	s_setreg_b32 hwreg(HW_REG_FLAT_SCR_HI), s7
	s_clause 0x1
	s_load_dwordx4 s[28:31], s[4:5], 0x5c
	s_load_dwordx2 s[48:49], s[4:5], 0x80
	s_add_u32 s0, s0, s11
	s_addc_u32 s1, s1, 0
	s_mov_b32 s34, s9
	s_load_dwordx2 s[50:51], s[4:5], 0xb8
	s_mov_b64 s[46:47], 0
	s_waitcnt lgkmcnt(0)
	v_cvt_f32_u32_e32 v2, s31
	s_sub_i32 s7, 0, s31
	v_rcp_iflag_f32_e32 v2, v2
	v_mul_f32_e32 v2, 0x4f7ffffe, v2
	v_cvt_u32_f32_e32 v2, v2
	v_readfirstlane_b32 s6, v2
	s_mul_i32 s7, s7, s6
	s_mul_hi_u32 s7, s6, s7
	s_add_i32 s6, s6, s7
	s_mul_hi_u32 s6, s10, s6
	s_mul_i32 s7, s6, s31
	s_add_i32 s9, s6, 1
	s_sub_i32 s7, s10, s7
	s_sub_i32 s11, s7, s31
	s_cmp_ge_u32 s7, s31
	s_cselect_b32 s6, s9, s6
	s_cselect_b32 s7, s11, s7
	s_add_i32 s9, s6, 1
	s_cmp_ge_u32 s7, s31
	s_cselect_b32 s33, s9, s6
	s_abs_i32 s6, s49
	s_abs_i32 s12, s31
	v_cvt_f32_u32_e32 v2, s6
	s_sub_i32 s9, 0, s6
	s_mul_i32 s11, s33, s31
	s_sub_i32 s44, s10, s11
	v_rcp_iflag_f32_e32 v2, v2
	v_mul_f32_e32 v2, 0x4f7ffffe, v2
	v_cvt_u32_f32_e32 v2, v2
	v_readfirstlane_b32 s7, v2
	s_mul_i32 s9, s9, s7
	s_mul_hi_u32 s9, s7, s9
	s_add_i32 s7, s7, s9
	s_xor_b32 s9, s31, s49
	s_mul_hi_u32 s7, s12, s7
	s_ashr_i32 s9, s9, 31
	s_mul_i32 s10, s7, s6
	s_add_i32 s11, s7, 1
	s_sub_i32 s10, s12, s10
	s_sub_i32 s12, s10, s6
	s_cmp_ge_u32 s10, s6
	s_cselect_b32 s7, s11, s7
	s_cselect_b32 s10, s12, s10
	s_add_i32 s11, s7, 1
	s_cmp_ge_u32 s10, s6
	s_load_dwordx16 s[12:27], s[4:5], 0x0
	s_cselect_b32 s6, s11, s7
	s_abs_i32 s52, s44
	s_xor_b32 s6, s6, s9
	s_sub_i32 s10, s6, s9
	s_abs_i32 s49, s10
	v_cvt_f32_u32_e32 v2, s49
	s_sub_i32 s7, 0, s49
	v_rcp_iflag_f32_e32 v2, v2
	v_mul_f32_e32 v2, 0x4f7ffffe, v2
	v_cvt_u32_f32_e32 v2, v2
	v_readfirstlane_b32 s6, v2
	s_mul_i32 s7, s7, s6
	s_mul_hi_u32 s7, s6, s7
	s_add_i32 s6, s6, s7
	s_waitcnt lgkmcnt(0)
	s_cmp_eq_u64 s[18:19], 0
	s_cbranch_scc1 .LBB59_2
; %bb.1:
	s_abs_i32 s7, s50
	s_abs_i32 s35, s33
	v_cvt_f32_u32_e32 v2, s7
	s_sub_i32 s11, 0, s7
	s_load_dwordx2 s[36:37], s[4:5], 0xc8
	v_rcp_iflag_f32_e32 v2, v2
	v_mul_f32_e32 v2, 0x4f7ffffe, v2
	v_cvt_u32_f32_e32 v2, v2
	v_readfirstlane_b32 s9, v2
	s_mul_i32 s11, s11, s9
	s_mul_hi_u32 s11, s9, s11
	s_add_i32 s9, s9, s11
	s_ashr_i32 s11, s33, 31
	s_mul_hi_u32 s9, s35, s9
	s_mul_i32 s9, s9, s7
	s_sub_i32 s9, s35, s9
	s_sub_i32 s35, s9, s7
	s_cmp_ge_u32 s9, s7
	s_cselect_b32 s9, s35, s9
	s_sub_i32 s35, s9, s7
	s_cmp_ge_u32 s9, s7
	s_cselect_b32 s7, s35, s9
	s_xor_b32 s7, s7, s11
	s_sub_i32 s7, s7, s11
	s_ashr_i32 s9, s7, 31
	s_waitcnt lgkmcnt(0)
	s_mul_hi_u32 s11, s36, s7
	s_mul_i32 s9, s36, s9
	s_add_i32 s9, s11, s9
	s_mul_i32 s11, s37, s7
	s_mul_i32 s7, s36, s7
	s_add_i32 s9, s9, s11
	s_add_u32 s46, s18, s7
	s_addc_u32 s47, s19, s9
.LBB59_2:
	s_clause 0x1
	s_load_dwordx4 s[36:39], s[4:5], 0x40
	s_load_dword s7, s[4:5], 0x50
	v_mov_b32_e32 v79, 1.0
	s_mul_hi_u32 s18, s52, s6
	s_waitcnt lgkmcnt(0)
	v_cmp_le_f32_e64 s9, s37, 0
	s_and_b32 vcc_lo, exec_lo, s9
	s_cbranch_vccnz .LBB59_4
; %bb.3:
	v_sub_co_u32 v3, vcc_lo, s44, s7
	v_mov_b32_e32 v2, s38
	s_add_i32 s6, s44, 1
	v_lshlrev_b32_e32 v3, 1, v3
	v_cndmask_b32_e32 v2, s39, v2, vcc_lo
	v_or_b32_e32 v3, 1, v3
	v_cndmask_b32_e64 v3, v3, s6, vcc_lo
	v_cmp_neq_f32_e32 vcc_lo, 1.0, v2
	s_mov_b32 s6, 0x3e76c4e1
	v_cvt_f32_i32_e32 v3, v3
	v_cndmask_b32_e32 v4, 1.0, v3, vcc_lo
	v_cmp_neq_f32_e32 vcc_lo, 0, v4
	v_cndmask_b32_e32 v5, 1.0, v2, vcc_lo
	v_frexp_mant_f32_e64 v2, |v5|
	v_cmp_eq_f32_e64 s9, 0, v5
	v_cmp_gt_f32_e32 vcc_lo, 0x3f2aaaab, v2
	v_cndmask_b32_e64 v3, 1.0, 2.0, vcc_lo
	v_mul_f32_e32 v2, v2, v3
	v_add_f32_e32 v3, 1.0, v2
	v_add_f32_e32 v7, -1.0, v2
	v_rcp_f32_e32 v6, v3
	v_add_f32_e32 v9, -1.0, v3
	v_sub_f32_e32 v2, v2, v9
	v_mul_f32_e32 v8, v7, v6
	v_mul_f32_e32 v10, v3, v8
	v_fma_f32 v3, v8, v3, -v10
	v_fmac_f32_e32 v3, v8, v2
	v_add_f32_e32 v2, v10, v3
	v_sub_f32_e32 v9, v7, v2
	v_sub_f32_e32 v10, v2, v10
	;; [unrolled: 1-line block ×5, first 2 shown]
	v_add_f32_e32 v2, v3, v2
	v_add_f32_e32 v2, v9, v2
	v_mul_f32_e32 v2, v6, v2
	v_add_f32_e32 v6, v8, v2
	v_sub_f32_e32 v3, v6, v8
	v_mul_f32_e32 v7, v6, v6
	v_sub_f32_e32 v8, v2, v3
	v_fma_f32 v2, v6, v6, -v7
	v_add_f32_e32 v3, v8, v8
	v_fmac_f32_e32 v2, v6, v3
	v_add_f32_e32 v9, v7, v2
	v_fmaak_f32 v3, s6, v9, 0x3e91f4c4
	v_sub_f32_e32 v7, v9, v7
	v_mul_f32_e32 v14, v6, v9
	v_fmaak_f32 v3, v9, v3, 0x3ecccdef
	v_sub_f32_e32 v7, v2, v7
	v_fma_f32 v15, v9, v6, -v14
	v_mul_f32_e32 v10, v9, v3
	v_fmac_f32_e32 v15, v9, v8
	v_ldexp_f32 v8, v8, 1
	v_fma_f32 v11, v9, v3, -v10
	v_fmac_f32_e32 v15, v7, v6
	v_fmac_f32_e32 v11, v7, v3
	v_cvt_f64_f32_e64 v[2:3], |v5|
	v_add_f32_e32 v12, v10, v11
	v_sub_f32_e32 v10, v12, v10
	v_add_f32_e32 v13, 0x3f2aaaaa, v12
	v_sub_f32_e32 v10, v11, v10
	v_add_f32_e32 v11, 0xbf2aaaaa, v13
	v_add_f32_e32 v10, 0x31739010, v10
	v_sub_f32_e32 v11, v12, v11
	v_frexp_exp_i32_f64_e32 v2, v[2:3]
	v_add_f32_e32 v9, v10, v11
	v_add_f32_e32 v10, v14, v15
	v_add_f32_e32 v7, v13, v9
	v_sub_f32_e32 v12, v10, v14
	v_sub_f32_e32 v3, v13, v7
	v_mul_f32_e32 v11, v10, v7
	v_sub_f32_e32 v12, v15, v12
	v_add_f32_e32 v3, v9, v3
	v_fma_f32 v9, v10, v7, -v11
	v_subrev_co_ci_u32_e64 v2, null, 0, v2, vcc_lo
	v_fmac_f32_e32 v9, v10, v3
	v_ldexp_f32 v3, v6, 1
	v_cvt_f32_i32_e32 v2, v2
	v_fmac_f32_e32 v9, v12, v7
	v_add_f32_e32 v6, v11, v9
	v_add_f32_e32 v7, v3, v6
	v_sub_f32_e32 v10, v6, v11
	v_mul_f32_e32 v11, 0x3f317218, v2
	v_sub_f32_e32 v3, v7, v3
	v_sub_f32_e32 v9, v9, v10
	v_fma_f32 v10, 0x3f317218, v2, -v11
	v_sub_f32_e32 v3, v6, v3
	v_add_f32_e32 v6, v8, v9
	v_fmamk_f32 v2, v2, 0xb102e308, v10
	v_add_f32_e32 v3, v6, v3
	v_add_f32_e32 v6, v11, v2
	;; [unrolled: 1-line block ×3, first 2 shown]
	v_sub_f32_e32 v11, v6, v11
	v_add_f32_e32 v9, v6, v8
	v_sub_f32_e32 v7, v8, v7
	v_sub_f32_e32 v2, v2, v11
	;; [unrolled: 1-line block ×6, first 2 shown]
	v_add_f32_e32 v8, v2, v3
	v_sub_f32_e32 v6, v6, v12
	v_add_f32_e32 v6, v7, v6
	v_sub_f32_e32 v7, v8, v2
	;; [unrolled: 2-line block ×3, first 2 shown]
	v_sub_f32_e32 v3, v3, v7
	v_add_f32_e32 v10, v9, v6
	v_sub_f32_e32 v2, v2, v8
	v_sub_f32_e32 v7, v10, v9
	v_add_f32_e32 v2, v3, v2
	v_sub_f32_e32 v3, v6, v7
	v_add_f32_e32 v2, v2, v3
	v_add_f32_e32 v3, v10, v2
	v_sub_f32_e32 v6, v3, v10
	v_mul_f32_e32 v7, v4, v3
	v_sub_f32_e32 v2, v2, v6
	v_fma_f32 v3, v4, v3, -v7
	v_cmp_class_f32_e64 vcc_lo, v7, 0x204
	v_fmac_f32_e32 v3, v4, v2
	v_add_f32_e32 v2, v7, v3
	v_cndmask_b32_e32 v6, v2, v7, vcc_lo
	v_sub_f32_e32 v2, v2, v7
	v_cmp_eq_f32_e32 vcc_lo, 0x42b17218, v6
	v_sub_f32_e32 v2, v3, v2
	v_cndmask_b32_e64 v8, 0, 0x37000000, vcc_lo
	v_cmp_neq_f32_e64 vcc_lo, 0x7f800000, |v6|
	v_sub_f32_e32 v9, v6, v8
	v_cndmask_b32_e32 v2, 0, v2, vcc_lo
	v_trunc_f32_e32 v6, v4
	v_mul_f32_e32 v10, 0x3fb8aa3b, v9
	v_cmp_ngt_f32_e32 vcc_lo, 0xc2ce8ed0, v9
	v_add_f32_e32 v2, v8, v2
	v_fma_f32 v11, 0x3fb8aa3b, v9, -v10
	v_rndne_f32_e32 v12, v10
	v_fmamk_f32 v11, v9, 0x32a5705f, v11
	v_sub_f32_e32 v10, v10, v12
	v_cvt_i32_f32_e32 v7, v12
	v_add_f32_e32 v10, v10, v11
	v_exp_f32_e32 v10, v10
	v_ldexp_f32 v3, v10, v7
	v_mul_f32_e32 v7, 0.5, v4
	v_cndmask_b32_e32 v3, 0, v3, vcc_lo
	v_cmp_nlt_f32_e32 vcc_lo, 0x42b17218, v9
	v_trunc_f32_e32 v10, v7
	v_cndmask_b32_e32 v3, 0x7f800000, v3, vcc_lo
	v_cmp_eq_f32_e32 vcc_lo, v6, v4
	v_cmp_neq_f32_e64 s6, v10, v7
	v_fma_f32 v2, v3, v2, v3
	v_cmp_class_f32_e64 s7, v3, 0x204
	s_and_b32 s6, vcc_lo, s6
	v_cndmask_b32_e64 v6, 1.0, v5, s6
	v_cndmask_b32_e64 v2, v2, v3, s7
	v_cmp_gt_f32_e64 s7, 0, v4
	v_bfi_b32 v2, 0x7fffffff, v2, v6
	s_xor_b32 s7, s7, s9
	v_cndmask_b32_e64 v6, 0, v5, s6
	v_cndmask_b32_e64 v3, 0x7f800000, 0, s7
	v_cmp_class_f32_e64 s6, v5, 0x204
	v_cndmask_b32_e32 v4, 0x7fc00000, v2, vcc_lo
	v_cmp_gt_f32_e32 vcc_lo, 0, v5
	v_bfi_b32 v3, 0x7fffffff, v3, v6
	v_cndmask_b32_e32 v2, v2, v4, vcc_lo
	s_or_b32 vcc_lo, s9, s6
	v_cndmask_b32_e32 v2, v2, v3, vcc_lo
	v_cmp_o_f32_e32 vcc_lo, v5, v5
	v_cndmask_b32_e32 v79, 0x7fc00000, v2, vcc_lo
.LBB59_4:
	v_lshlrev_b32_e32 v69, 1, v1
	s_lshl_b32 s19, s8, 4
	s_load_dwordx4 s[40:43], s[4:5], 0x70
	s_ashr_i32 s45, s44, 31
	s_ashr_i32 s37, s10, 31
	v_or_b32_e32 v67, 1, v69
	v_add_nc_u32_e32 v70, s19, v69
	v_lshlrev_b32_e32 v74, 3, v0
	v_lshlrev_b32_e32 v73, 9, v1
	v_add_nc_u32_e32 v68, s19, v67
	v_mul_hi_u32 v2, v70, s28
	v_or_b32_e32 v1, 0x9800, v74
	v_mul_hi_u32 v3, v68, s28
	v_add_nc_u32_e32 v10, v1, v73
	v_add_nc_u32_e32 v2, v70, v2
	s_waitcnt lgkmcnt(0)
	s_mul_i32 s6, s33, s42
	v_add_nc_u32_e32 v3, v68, v3
	v_lshrrev_b32_e32 v2, s29, v2
	s_mul_i32 s7, s44, s41
	s_ashr_i32 s9, s6, 31
	s_add_u32 s6, s12, s6
	v_lshrrev_b32_e32 v3, s29, v3
	v_mul_lo_u32 v2, v2, s30
	s_addc_u32 s9, s13, s9
	s_ashr_i32 s10, s7, 31
	s_add_u32 s11, s6, s7
	v_mul_lo_u32 v4, v3, s30
	s_addc_u32 s9, s9, s10
	s_ashr_i32 s41, s40, 31
	v_sub_nc_u32_e32 v82, v70, v2
	s_lshr_b64 s[6:7], s[40:41], 2
	s_mov_b32 s7, 0
	v_sub_nc_u32_e32 v8, v68, v4
	v_mad_u64_u32 v[2:3], null, s6, v82, 0
	v_mad_u64_u32 v[4:5], null, s6, v8, 0
	s_lshr_b32 s6, s41, 2
	s_cmp_eq_u64 s[22:23], 0
	v_mad_u64_u32 v[6:7], null, s6, v82, v[3:4]
	v_lshlrev_b32_e32 v7, 4, v0
	v_mov_b32_e32 v3, v6
	v_mad_u64_u32 v[5:6], null, s6, v8, v[5:6]
	v_add_co_u32 v8, s6, s11, v7
	v_lshlrev_b64 v[2:3], 2, v[2:3]
	v_add_co_ci_u32_e64 v9, null, s9, 0, s6
	v_lshlrev_b64 v[6:7], 2, v[4:5]
	v_add_co_u32 v2, vcc_lo, v8, v2
	v_add_co_ci_u32_e64 v3, null, v9, v3, vcc_lo
	v_add_co_u32 v6, vcc_lo, v8, v6
	v_add_co_ci_u32_e64 v7, null, v9, v7, vcc_lo
	s_clause 0x1
	global_load_dwordx4 v[2:5], v[2:3], off
	global_load_dwordx4 v[6:9], v[6:7], off
	s_waitcnt vmcnt(1)
	v_fma_mixlo_f16 v3, s36, v3, 0
	v_fma_mixlo_f16 v2, s36, v2, 0
	;; [unrolled: 1-line block ×3, first 2 shown]
	s_waitcnt vmcnt(0)
	v_fma_mixlo_f16 v7, s36, v7, 0
	v_fma_mixlo_f16 v6, s36, v6, 0
	;; [unrolled: 1-line block ×3, first 2 shown]
	v_lshlrev_b32_e32 v3, 16, v3
	v_and_b32_e32 v2, 0xffff, v2
	v_fma_mixlo_f16 v8, s36, v8, 0
	v_fma_mixlo_f16 v9, s36, v9, 0
	v_lshlrev_b32_e32 v7, 16, v7
	v_and_b32_e32 v6, 0xffff, v6
	v_lshlrev_b32_e32 v5, 16, v5
	v_and_b32_e32 v4, 0xffff, v4
	v_or_b32_e32 v3, v3, v2
	v_lshlrev_b32_e32 v9, 16, v9
	v_and_b32_e32 v8, 0xffff, v8
	v_or_b32_e32 v6, v7, v6
	v_lshl_add_u32 v7, v67, 8, v1
	v_or3_b32 v2, v5, v4, 0
	v_or3_b32 v1, 0, 0, v3
	;; [unrolled: 1-line block ×3, first 2 shown]
	v_mov_b32_e32 v8, 0
	v_or3_b32 v3, 0, 0, v6
	ds_write_b64 v10, v[1:2]
	ds_write_b64 v7, v[3:4]
	s_waitcnt lgkmcnt(0)
	s_barrier
	buffer_gl0_inv
	s_cbranch_scc1 .LBB59_6
; %bb.5:
	s_load_dword s6, s[4:5], 0xd0
	s_waitcnt lgkmcnt(0)
	s_mul_i32 s6, s6, s33
	s_add_i32 s6, s6, s8
	s_lshl_b64 s[6:7], s[6:7], 2
	s_add_u32 s6, s22, s6
	s_addc_u32 s7, s23, s7
	s_load_dword s48, s[6:7], 0x0
.LBB59_6:
	s_clause 0x1
	s_load_dwordx2 s[6:7], s[4:5], 0x8c
	s_load_dwordx4 s[8:11], s[4:5], 0x98
	s_ashr_i32 s13, s33, 31
	s_load_dwordx2 s[38:39], s[4:5], 0xa8
	s_ashr_i32 s22, s51, 1
	s_mul_i32 s23, s18, s49
	v_lshlrev_b32_e32 v71, 2, v0
	v_lshrrev_b32_e32 v85, 4, v0
	v_mul_u32_u24_e32 v83, 0x110, v0
	v_or_b32_e32 v81, 1, v70
	v_add_nc_u32_e32 v80, 0x8800, v73
	v_and_b32_e32 v84, 60, v71
	v_mbcnt_lo_u32_b32 v72, -1, 0
	s_waitcnt lgkmcnt(0)
	s_ashr_i32 s12, s6, 2
	s_ashr_i32 s35, s10, 2
	s_mul_hi_u32 s6, s8, s33
	s_mul_i32 s10, s8, s13
	s_mul_i32 s9, s9, s33
	s_add_i32 s6, s6, s10
	s_mul_i32 s8, s8, s33
	s_add_i32 s6, s6, s9
	s_add_u32 s8, s14, s8
	s_addc_u32 s6, s15, s6
	s_sub_i32 s10, s52, s23
	s_xor_b32 s9, s45, s37
	s_add_i32 s14, s18, 1
	s_sub_i32 s15, s10, s49
	s_cmp_ge_u32 s10, s49
	s_mul_i32 s13, s38, s13
	s_cselect_b32 s14, s14, s18
	s_cselect_b32 s10, s15, s10
	s_add_i32 s15, s14, 1
	s_cmp_ge_u32 s10, s49
	s_mul_i32 s18, s38, s33
	s_cselect_b32 s10, s15, s14
	s_mul_hi_u32 s14, s38, s33
	s_xor_b32 s10, s10, s9
	s_mul_i32 s15, s39, s33
	s_sub_i32 s10, s10, s9
	s_mul_i32 s7, s10, s7
	s_mul_i32 s10, s10, s11
	s_ashr_i32 s9, s7, 31
	s_add_u32 s8, s8, s7
	s_addc_u32 s9, s6, s9
	s_add_i32 s6, s14, s13
	s_add_i32 s6, s6, s15
	s_add_u32 s7, s16, s18
	s_addc_u32 s6, s17, s6
	s_ashr_i32 s11, s10, 31
	s_add_u32 s37, s7, s10
	s_addc_u32 s36, s6, s11
	s_lshl_b32 s18, s34, 7
	s_add_i32 s10, s48, 0xffffff80
	s_cmp_ge_i32 s18, s10
	s_cbranch_scc1 .LBB59_27
; %bb.7:
	v_add_nc_u32_e32 v2, v85, v69
	v_lshlrev_b32_e32 v3, 2, v84
	s_lshl_b32 s6, s12, 4
	s_cmp_lg_u64 s[46:47], 0
	v_mul_hi_u32 v4, s28, v81
	v_mul_lo_u32 v1, s12, v2
	v_mul_lo_u32 v5, s35, v2
	s_cselect_b32 s11, -1, 0
	s_lshl_b32 s7, s35, 4
	v_mad_u32_u24 v88, 0x110, v2, v3
	v_lshl_or_b32 v89, v2, 8, v3
	v_mul_lo_u32 v87, v82, s22
	v_add_nc_u32_e32 v2, v81, v4
	v_add_nc_u32_e32 v3, s6, v1
	;; [unrolled: 1-line block ×3, first 2 shown]
	v_ashrrev_i32_e32 v6, 31, v5
	v_mov_b32_e32 v77, 0
	v_lshrrev_b32_e32 v2, s29, v2
	v_add_nc_u32_e32 v7, s6, v3
	v_add_nc_u32_e32 v15, s7, v11
	v_ashrrev_i32_e32 v4, 31, v3
	v_ashrrev_i32_e32 v12, 31, v11
	v_mul_lo_u32 v8, v2, s30
	v_add_nc_u32_e32 v9, s6, v7
	v_add_nc_u32_e32 v19, s7, v15
	v_ashrrev_i32_e32 v2, 31, v1
	v_ashrrev_i32_e32 v16, 31, v15
	v_lshlrev_b64 v[37:38], 2, v[3:4]
	v_add_nc_u32_e32 v13, s6, v9
	v_add_nc_u32_e32 v23, s7, v19
	v_sub_nc_u32_e32 v14, v81, v8
	v_ashrrev_i32_e32 v8, 31, v7
	v_ashrrev_i32_e32 v10, 31, v9
	v_add_nc_u32_e32 v17, s6, v13
	v_add_nc_u32_e32 v27, s7, v23
	v_mul_lo_u32 v98, v14, s22
	v_ashrrev_i32_e32 v14, 31, v13
	v_ashrrev_i32_e32 v20, 31, v19
	v_add_nc_u32_e32 v21, s6, v17
	v_add_nc_u32_e32 v29, s7, v27
	v_ashrrev_i32_e32 v18, 31, v17
	v_ashrrev_i32_e32 v24, 31, v23
	;; [unrolled: 1-line block ×3, first 2 shown]
	v_add_nc_u32_e32 v25, s6, v21
	v_add_nc_u32_e32 v31, s7, v29
	v_ashrrev_i32_e32 v22, 31, v21
	v_ashrrev_i32_e32 v30, 31, v29
	v_lshlrev_b64 v[35:36], 2, v[1:2]
	v_ashrrev_i32_e32 v26, 31, v25
	v_ashrrev_i32_e32 v32, 31, v31
	v_lshlrev_b64 v[39:40], 2, v[7:8]
	v_lshlrev_b64 v[41:42], 2, v[9:10]
	;; [unrolled: 1-line block ×14, first 2 shown]
	v_add_nc_u32_e32 v86, 0x9800, v73
	v_add_nc_u32_e32 v90, 0x1100, v88
	;; [unrolled: 1-line block ×15, first 2 shown]
	v_mov_b32_e32 v111, 0xfeffffff
	v_lshlrev_b32_e32 v105, 2, v84
	v_mbcnt_lo_u32_b32 v106, -1, 0
	v_mov_b32_e32 v107, 0x10001
	v_mov_b32_e32 v75, 0
	;; [unrolled: 1-line block ×7, first 2 shown]
	s_add_u32 s6, s4, 0xd0
	s_addc_u32 s7, s5, 0
.LBB59_8:                               ; =>This Inner Loop Header: Depth=1
	s_mul_hi_i32 s15, s18, s12
	s_mul_i32 s14, s18, s12
	v_mov_b32_e32 v33, 0
	s_lshl_b64 s[14:15], s[14:15], 2
	v_mov_b32_e32 v34, 0
	s_add_u32 s13, s8, s14
	s_addc_u32 s14, s9, s15
	v_add_co_u32 v1, vcc_lo, s13, v35
	v_add_co_ci_u32_e64 v2, null, s14, v36, vcc_lo
	v_add_co_u32 v3, vcc_lo, s13, v37
	v_add_co_ci_u32_e64 v4, null, s14, v38, vcc_lo
	;; [unrolled: 2-line block ×16, first 2 shown]
	s_clause 0x7
	global_load_dwordx4 v[1:4], v[1:2], off
	global_load_dwordx4 v[5:8], v[5:6], off
	;; [unrolled: 1-line block ×8, first 2 shown]
	v_mov_b32_e32 v112, 0
	v_mov_b32_e32 v113, 0
	s_andn2_b32 vcc_lo, exec_lo, s11
	s_waitcnt vmcnt(7)
	ds_write_b128 v88, v[1:4]
	s_waitcnt vmcnt(6)
	ds_write_b128 v90, v[5:8]
	;; [unrolled: 2-line block ×8, first 2 shown]
	s_waitcnt lgkmcnt(0)
	s_barrier
	buffer_gl0_inv
	ds_read_b128 v[7:10], v83
	ds_read_b128 v[11:14], v86
	ds_read_b128 v[15:18], v86 offset:256
	ds_read_b128 v[19:22], v83 offset:8704
	v_mov_b32_e32 v3, 0
	ds_read_b128 v[23:26], v83 offset:17408
	ds_read_b128 v[27:30], v83 offset:26112
	s_waitcnt lgkmcnt(4)
	;;#ASMSTART
	v_dot2_f32_f16 v3, v7, v11, v3
	;;#ASMEND
	;;#ASMSTART
	v_dot2_f32_f16 v3, v8, v12, v3
	;;#ASMEND
	;;#ASMSTART
	v_dot2_f32_f16 v3, v9, v13, v3
	;;#ASMEND
	;;#ASMSTART
	v_dot2_f32_f16 v3, v10, v14, v3
	;;#ASMEND
	s_waitcnt lgkmcnt(3)
	;;#ASMSTART
	v_dot2_f32_f16 v33, v7, v15, v33
	;;#ASMEND
	;;#ASMSTART
	v_dot2_f32_f16 v33, v8, v16, v33
	;;#ASMEND
	v_mov_b32_e32 v4, 0
	;;#ASMSTART
	v_dot2_f32_f16 v33, v9, v17, v33
	;;#ASMEND
	;;#ASMSTART
	v_dot2_f32_f16 v33, v10, v18, v33
	;;#ASMEND
	s_waitcnt lgkmcnt(2)
	;;#ASMSTART
	v_dot2_f32_f16 v4, v19, v11, v4
	;;#ASMEND
	;;#ASMSTART
	v_dot2_f32_f16 v4, v20, v12, v4
	;;#ASMEND
	;;#ASMSTART
	v_dot2_f32_f16 v4, v21, v13, v4
	;;#ASMEND
	;;#ASMSTART
	v_dot2_f32_f16 v4, v22, v14, v4
	;;#ASMEND
	;;#ASMSTART
	v_dot2_f32_f16 v34, v19, v15, v34
	;;#ASMEND
	;;#ASMSTART
	v_dot2_f32_f16 v34, v20, v16, v34
	;;#ASMEND
	v_mov_b32_e32 v5, 0
	;;#ASMSTART
	v_dot2_f32_f16 v34, v21, v17, v34
	;;#ASMEND
	;;#ASMSTART
	v_dot2_f32_f16 v34, v22, v18, v34
	;;#ASMEND
	s_waitcnt lgkmcnt(1)
	;;#ASMSTART
	v_dot2_f32_f16 v5, v23, v11, v5
	;;#ASMEND
	;;#ASMSTART
	v_dot2_f32_f16 v5, v24, v12, v5
	;;#ASMEND
	;;#ASMSTART
	v_dot2_f32_f16 v5, v25, v13, v5
	;;#ASMEND
	;;#ASMSTART
	v_dot2_f32_f16 v5, v26, v14, v5
	;;#ASMEND
	;; [unrolled: 26-line block ×3, first 2 shown]
	;;#ASMSTART
	v_dot2_f32_f16 v113, v27, v15, v113
	;;#ASMEND
	;;#ASMSTART
	v_dot2_f32_f16 v113, v28, v16, v113
	;;#ASMEND
	;; [unrolled: 3-line block ×4, first 2 shown]
	ds_read_b128 v[7:10], v83 offset:16
	ds_read_b128 v[11:14], v86 offset:16
	;; [unrolled: 1-line block ×6, first 2 shown]
	s_waitcnt lgkmcnt(4)
	;;#ASMSTART
	v_dot2_f32_f16 v3, v7, v11, v3
	;;#ASMEND
	;;#ASMSTART
	v_dot2_f32_f16 v3, v8, v12, v3
	;;#ASMEND
	;;#ASMSTART
	v_dot2_f32_f16 v3, v9, v13, v3
	;;#ASMEND
	;;#ASMSTART
	v_dot2_f32_f16 v3, v10, v14, v3
	;;#ASMEND
	s_waitcnt lgkmcnt(3)
	;;#ASMSTART
	v_dot2_f32_f16 v33, v7, v15, v33
	;;#ASMEND
	;;#ASMSTART
	v_dot2_f32_f16 v33, v8, v16, v33
	;;#ASMEND
	;;#ASMSTART
	v_dot2_f32_f16 v33, v9, v17, v33
	;;#ASMEND
	;;#ASMSTART
	v_dot2_f32_f16 v33, v10, v18, v33
	;;#ASMEND
	;; [unrolled: 13-line block ×3, first 2 shown]
	;;#ASMSTART
	v_dot2_f32_f16 v34, v19, v15, v34
	;;#ASMEND
	;;#ASMSTART
	v_dot2_f32_f16 v34, v20, v16, v34
	;;#ASMEND
	;; [unrolled: 3-line block ×4, first 2 shown]
	s_waitcnt lgkmcnt(1)
	;;#ASMSTART
	v_dot2_f32_f16 v5, v23, v11, v5
	;;#ASMEND
	;;#ASMSTART
	v_dot2_f32_f16 v5, v24, v12, v5
	;;#ASMEND
	;; [unrolled: 3-line block ×8, first 2 shown]
	s_waitcnt lgkmcnt(0)
	;;#ASMSTART
	v_dot2_f32_f16 v6, v27, v11, v6
	;;#ASMEND
	;;#ASMSTART
	v_dot2_f32_f16 v6, v28, v12, v6
	;;#ASMEND
	;; [unrolled: 3-line block ×8, first 2 shown]
	ds_read_b128 v[7:10], v83 offset:32
	ds_read_b128 v[11:14], v86 offset:32
	;; [unrolled: 1-line block ×6, first 2 shown]
	s_waitcnt lgkmcnt(4)
	;;#ASMSTART
	v_dot2_f32_f16 v3, v7, v11, v3
	;;#ASMEND
	;;#ASMSTART
	v_dot2_f32_f16 v3, v8, v12, v3
	;;#ASMEND
	;;#ASMSTART
	v_dot2_f32_f16 v3, v9, v13, v3
	;;#ASMEND
	;;#ASMSTART
	v_dot2_f32_f16 v3, v10, v14, v3
	;;#ASMEND
	s_waitcnt lgkmcnt(3)
	;;#ASMSTART
	v_dot2_f32_f16 v33, v7, v15, v33
	;;#ASMEND
	;;#ASMSTART
	v_dot2_f32_f16 v33, v8, v16, v33
	;;#ASMEND
	;;#ASMSTART
	v_dot2_f32_f16 v33, v9, v17, v33
	;;#ASMEND
	;;#ASMSTART
	v_dot2_f32_f16 v33, v10, v18, v33
	;;#ASMEND
	;; [unrolled: 13-line block ×3, first 2 shown]
	;;#ASMSTART
	v_dot2_f32_f16 v34, v19, v15, v34
	;;#ASMEND
	;;#ASMSTART
	v_dot2_f32_f16 v34, v20, v16, v34
	;;#ASMEND
	;; [unrolled: 3-line block ×4, first 2 shown]
	s_waitcnt lgkmcnt(1)
	;;#ASMSTART
	v_dot2_f32_f16 v5, v23, v11, v5
	;;#ASMEND
	;;#ASMSTART
	v_dot2_f32_f16 v5, v24, v12, v5
	;;#ASMEND
	;; [unrolled: 3-line block ×8, first 2 shown]
	s_waitcnt lgkmcnt(0)
	;;#ASMSTART
	v_dot2_f32_f16 v6, v27, v11, v6
	;;#ASMEND
	;;#ASMSTART
	v_dot2_f32_f16 v6, v28, v12, v6
	;;#ASMEND
	;; [unrolled: 3-line block ×8, first 2 shown]
	ds_read_b128 v[7:10], v83 offset:48
	ds_read_b128 v[11:14], v86 offset:48
	;; [unrolled: 1-line block ×6, first 2 shown]
	s_waitcnt lgkmcnt(4)
	;;#ASMSTART
	v_dot2_f32_f16 v3, v7, v11, v3
	;;#ASMEND
	;;#ASMSTART
	v_dot2_f32_f16 v3, v8, v12, v3
	;;#ASMEND
	;;#ASMSTART
	v_dot2_f32_f16 v3, v9, v13, v3
	;;#ASMEND
	;;#ASMSTART
	v_dot2_f32_f16 v3, v10, v14, v3
	;;#ASMEND
	s_waitcnt lgkmcnt(3)
	;;#ASMSTART
	v_dot2_f32_f16 v33, v7, v15, v33
	;;#ASMEND
	;;#ASMSTART
	v_dot2_f32_f16 v33, v8, v16, v33
	;;#ASMEND
	;;#ASMSTART
	v_dot2_f32_f16 v33, v9, v17, v33
	;;#ASMEND
	;;#ASMSTART
	v_dot2_f32_f16 v33, v10, v18, v33
	;;#ASMEND
	;; [unrolled: 13-line block ×3, first 2 shown]
	;;#ASMSTART
	v_dot2_f32_f16 v34, v19, v15, v34
	;;#ASMEND
	;;#ASMSTART
	v_dot2_f32_f16 v34, v20, v16, v34
	;;#ASMEND
	;; [unrolled: 3-line block ×4, first 2 shown]
	s_waitcnt lgkmcnt(1)
	;;#ASMSTART
	v_dot2_f32_f16 v5, v23, v11, v5
	;;#ASMEND
	;;#ASMSTART
	v_dot2_f32_f16 v5, v24, v12, v5
	;;#ASMEND
	;; [unrolled: 3-line block ×8, first 2 shown]
	s_waitcnt lgkmcnt(0)
	;;#ASMSTART
	v_dot2_f32_f16 v6, v27, v11, v6
	;;#ASMEND
	;;#ASMSTART
	v_dot2_f32_f16 v6, v28, v12, v6
	;;#ASMEND
	;;#ASMSTART
	v_dot2_f32_f16 v6, v29, v13, v6
	;;#ASMEND
	;;#ASMSTART
	v_dot2_f32_f16 v6, v30, v14, v6
	;;#ASMEND
	;;#ASMSTART
	v_dot2_f32_f16 v113, v27, v15, v113
	;;#ASMEND
	;;#ASMSTART
	v_dot2_f32_f16 v113, v28, v16, v113
	;;#ASMEND
	;;#ASMSTART
	v_dot2_f32_f16 v113, v29, v17, v113
	;;#ASMEND
	;;#ASMSTART
	v_dot2_f32_f16 v113, v30, v18, v113
	;;#ASMEND
	ds_read_b128 v[7:10], v83 offset:64
	ds_read_b128 v[11:14], v86 offset:64
	;; [unrolled: 1-line block ×6, first 2 shown]
	s_waitcnt lgkmcnt(4)
	;;#ASMSTART
	v_dot2_f32_f16 v3, v7, v11, v3
	;;#ASMEND
	;;#ASMSTART
	v_dot2_f32_f16 v3, v8, v12, v3
	;;#ASMEND
	;;#ASMSTART
	v_dot2_f32_f16 v3, v9, v13, v3
	;;#ASMEND
	;;#ASMSTART
	v_dot2_f32_f16 v3, v10, v14, v3
	;;#ASMEND
	s_waitcnt lgkmcnt(3)
	;;#ASMSTART
	v_dot2_f32_f16 v33, v7, v15, v33
	;;#ASMEND
	;;#ASMSTART
	v_dot2_f32_f16 v33, v8, v16, v33
	;;#ASMEND
	;;#ASMSTART
	v_dot2_f32_f16 v33, v9, v17, v33
	;;#ASMEND
	;;#ASMSTART
	v_dot2_f32_f16 v33, v10, v18, v33
	;;#ASMEND
	;; [unrolled: 13-line block ×3, first 2 shown]
	;;#ASMSTART
	v_dot2_f32_f16 v34, v19, v15, v34
	;;#ASMEND
	;;#ASMSTART
	v_dot2_f32_f16 v34, v20, v16, v34
	;;#ASMEND
	;;#ASMSTART
	v_dot2_f32_f16 v34, v21, v17, v34
	;;#ASMEND
	;;#ASMSTART
	v_dot2_f32_f16 v34, v22, v18, v34
	;;#ASMEND
	s_waitcnt lgkmcnt(1)
	;;#ASMSTART
	v_dot2_f32_f16 v5, v23, v11, v5
	;;#ASMEND
	;;#ASMSTART
	v_dot2_f32_f16 v5, v24, v12, v5
	;;#ASMEND
	;; [unrolled: 3-line block ×8, first 2 shown]
	s_waitcnt lgkmcnt(0)
	;;#ASMSTART
	v_dot2_f32_f16 v6, v27, v11, v6
	;;#ASMEND
	;;#ASMSTART
	v_dot2_f32_f16 v6, v28, v12, v6
	;;#ASMEND
	;;#ASMSTART
	v_dot2_f32_f16 v6, v29, v13, v6
	;;#ASMEND
	;;#ASMSTART
	v_dot2_f32_f16 v6, v30, v14, v6
	;;#ASMEND
	;;#ASMSTART
	v_dot2_f32_f16 v113, v27, v15, v113
	;;#ASMEND
	;;#ASMSTART
	v_dot2_f32_f16 v113, v28, v16, v113
	;;#ASMEND
	;;#ASMSTART
	v_dot2_f32_f16 v113, v29, v17, v113
	;;#ASMEND
	;;#ASMSTART
	v_dot2_f32_f16 v113, v30, v18, v113
	;;#ASMEND
	ds_read_b128 v[7:10], v83 offset:80
	ds_read_b128 v[11:14], v86 offset:80
	ds_read_b128 v[15:18], v86 offset:336
	ds_read_b128 v[19:22], v83 offset:8784
	ds_read_b128 v[23:26], v83 offset:17488
	ds_read_b128 v[27:30], v83 offset:26192
	s_waitcnt lgkmcnt(4)
	;;#ASMSTART
	v_dot2_f32_f16 v3, v7, v11, v3
	;;#ASMEND
	;;#ASMSTART
	v_dot2_f32_f16 v3, v8, v12, v3
	;;#ASMEND
	;;#ASMSTART
	v_dot2_f32_f16 v3, v9, v13, v3
	;;#ASMEND
	;;#ASMSTART
	v_dot2_f32_f16 v3, v10, v14, v3
	;;#ASMEND
	s_waitcnt lgkmcnt(3)
	;;#ASMSTART
	v_dot2_f32_f16 v33, v7, v15, v33
	;;#ASMEND
	;;#ASMSTART
	v_dot2_f32_f16 v33, v8, v16, v33
	;;#ASMEND
	;;#ASMSTART
	v_dot2_f32_f16 v33, v9, v17, v33
	;;#ASMEND
	;;#ASMSTART
	v_dot2_f32_f16 v33, v10, v18, v33
	;;#ASMEND
	s_waitcnt lgkmcnt(2)
	;;#ASMSTART
	v_dot2_f32_f16 v4, v19, v11, v4
	;;#ASMEND
	;;#ASMSTART
	v_dot2_f32_f16 v4, v20, v12, v4
	;;#ASMEND
	;;#ASMSTART
	v_dot2_f32_f16 v4, v21, v13, v4
	;;#ASMEND
	;;#ASMSTART
	v_dot2_f32_f16 v4, v22, v14, v4
	;;#ASMEND
	;;#ASMSTART
	v_dot2_f32_f16 v34, v19, v15, v34
	;;#ASMEND
	;;#ASMSTART
	v_dot2_f32_f16 v34, v20, v16, v34
	;;#ASMEND
	;; [unrolled: 3-line block ×4, first 2 shown]
	s_waitcnt lgkmcnt(1)
	;;#ASMSTART
	v_dot2_f32_f16 v5, v23, v11, v5
	;;#ASMEND
	;;#ASMSTART
	v_dot2_f32_f16 v5, v24, v12, v5
	;;#ASMEND
	;; [unrolled: 3-line block ×8, first 2 shown]
	s_waitcnt lgkmcnt(0)
	;;#ASMSTART
	v_dot2_f32_f16 v6, v27, v11, v6
	;;#ASMEND
	;;#ASMSTART
	v_dot2_f32_f16 v6, v28, v12, v6
	;;#ASMEND
	;; [unrolled: 3-line block ×8, first 2 shown]
	ds_read_b128 v[7:10], v83 offset:96
	ds_read_b128 v[11:14], v86 offset:96
	;; [unrolled: 1-line block ×6, first 2 shown]
	s_waitcnt lgkmcnt(4)
	;;#ASMSTART
	v_dot2_f32_f16 v3, v7, v11, v3
	;;#ASMEND
	;;#ASMSTART
	v_dot2_f32_f16 v3, v8, v12, v3
	;;#ASMEND
	;;#ASMSTART
	v_dot2_f32_f16 v3, v9, v13, v3
	;;#ASMEND
	;;#ASMSTART
	v_dot2_f32_f16 v3, v10, v14, v3
	;;#ASMEND
	s_waitcnt lgkmcnt(3)
	;;#ASMSTART
	v_dot2_f32_f16 v33, v7, v15, v33
	;;#ASMEND
	;;#ASMSTART
	v_dot2_f32_f16 v33, v8, v16, v33
	;;#ASMEND
	;;#ASMSTART
	v_dot2_f32_f16 v33, v9, v17, v33
	;;#ASMEND
	;;#ASMSTART
	v_dot2_f32_f16 v33, v10, v18, v33
	;;#ASMEND
	;; [unrolled: 13-line block ×3, first 2 shown]
	;;#ASMSTART
	v_dot2_f32_f16 v34, v19, v15, v34
	;;#ASMEND
	;;#ASMSTART
	v_dot2_f32_f16 v34, v20, v16, v34
	;;#ASMEND
	;; [unrolled: 3-line block ×4, first 2 shown]
	s_waitcnt lgkmcnt(1)
	;;#ASMSTART
	v_dot2_f32_f16 v5, v23, v11, v5
	;;#ASMEND
	;;#ASMSTART
	v_dot2_f32_f16 v5, v24, v12, v5
	;;#ASMEND
	;; [unrolled: 3-line block ×8, first 2 shown]
	s_waitcnt lgkmcnt(0)
	;;#ASMSTART
	v_dot2_f32_f16 v6, v27, v11, v6
	;;#ASMEND
	;;#ASMSTART
	v_dot2_f32_f16 v6, v28, v12, v6
	;;#ASMEND
	;;#ASMSTART
	v_dot2_f32_f16 v6, v29, v13, v6
	;;#ASMEND
	;;#ASMSTART
	v_dot2_f32_f16 v6, v30, v14, v6
	;;#ASMEND
	;;#ASMSTART
	v_dot2_f32_f16 v113, v27, v15, v113
	;;#ASMEND
	;;#ASMSTART
	v_dot2_f32_f16 v113, v28, v16, v113
	;;#ASMEND
	;;#ASMSTART
	v_dot2_f32_f16 v113, v29, v17, v113
	;;#ASMEND
	;;#ASMSTART
	v_dot2_f32_f16 v113, v30, v18, v113
	;;#ASMEND
	ds_read_b128 v[7:10], v83 offset:112
	ds_read_b128 v[11:14], v86 offset:112
	;; [unrolled: 1-line block ×6, first 2 shown]
	s_waitcnt lgkmcnt(4)
	;;#ASMSTART
	v_dot2_f32_f16 v3, v7, v11, v3
	;;#ASMEND
	;;#ASMSTART
	v_dot2_f32_f16 v3, v8, v12, v3
	;;#ASMEND
	;;#ASMSTART
	v_dot2_f32_f16 v3, v9, v13, v3
	;;#ASMEND
	;;#ASMSTART
	v_dot2_f32_f16 v3, v10, v14, v3
	;;#ASMEND
	s_waitcnt lgkmcnt(3)
	;;#ASMSTART
	v_dot2_f32_f16 v33, v7, v15, v33
	;;#ASMEND
	;;#ASMSTART
	v_dot2_f32_f16 v33, v8, v16, v33
	;;#ASMEND
	;;#ASMSTART
	v_dot2_f32_f16 v33, v9, v17, v33
	;;#ASMEND
	;;#ASMSTART
	v_dot2_f32_f16 v33, v10, v18, v33
	;;#ASMEND
	;; [unrolled: 13-line block ×3, first 2 shown]
	;;#ASMSTART
	v_dot2_f32_f16 v34, v19, v15, v34
	;;#ASMEND
	;;#ASMSTART
	v_dot2_f32_f16 v34, v20, v16, v34
	;;#ASMEND
	;; [unrolled: 3-line block ×4, first 2 shown]
	s_waitcnt lgkmcnt(1)
	;;#ASMSTART
	v_dot2_f32_f16 v5, v23, v11, v5
	;;#ASMEND
	;;#ASMSTART
	v_dot2_f32_f16 v5, v24, v12, v5
	;;#ASMEND
	;;#ASMSTART
	v_dot2_f32_f16 v5, v25, v13, v5
	;;#ASMEND
	;;#ASMSTART
	v_dot2_f32_f16 v5, v26, v14, v5
	;;#ASMEND
	;;#ASMSTART
	v_dot2_f32_f16 v112, v23, v15, v112
	;;#ASMEND
	;;#ASMSTART
	v_dot2_f32_f16 v112, v24, v16, v112
	;;#ASMEND
	;;#ASMSTART
	v_dot2_f32_f16 v112, v25, v17, v112
	;;#ASMEND
	;;#ASMSTART
	v_dot2_f32_f16 v112, v26, v18, v112
	;;#ASMEND
	s_waitcnt lgkmcnt(0)
	;;#ASMSTART
	v_dot2_f32_f16 v6, v27, v11, v6
	;;#ASMEND
	;;#ASMSTART
	v_dot2_f32_f16 v6, v28, v12, v6
	;;#ASMEND
	;; [unrolled: 3-line block ×8, first 2 shown]
	ds_read_b128 v[7:10], v83 offset:128
	ds_read_b128 v[11:14], v86 offset:128
	;; [unrolled: 1-line block ×6, first 2 shown]
	s_waitcnt lgkmcnt(4)
	;;#ASMSTART
	v_dot2_f32_f16 v3, v7, v11, v3
	;;#ASMEND
	;;#ASMSTART
	v_dot2_f32_f16 v3, v8, v12, v3
	;;#ASMEND
	;;#ASMSTART
	v_dot2_f32_f16 v3, v9, v13, v3
	;;#ASMEND
	;;#ASMSTART
	v_dot2_f32_f16 v3, v10, v14, v3
	;;#ASMEND
	s_waitcnt lgkmcnt(3)
	;;#ASMSTART
	v_dot2_f32_f16 v33, v7, v15, v33
	;;#ASMEND
	;;#ASMSTART
	v_dot2_f32_f16 v33, v8, v16, v33
	;;#ASMEND
	;;#ASMSTART
	v_dot2_f32_f16 v33, v9, v17, v33
	;;#ASMEND
	;;#ASMSTART
	v_dot2_f32_f16 v33, v10, v18, v33
	;;#ASMEND
	;; [unrolled: 13-line block ×3, first 2 shown]
	;;#ASMSTART
	v_dot2_f32_f16 v34, v19, v15, v34
	;;#ASMEND
	;;#ASMSTART
	v_dot2_f32_f16 v34, v20, v16, v34
	;;#ASMEND
	;; [unrolled: 3-line block ×4, first 2 shown]
	s_waitcnt lgkmcnt(1)
	;;#ASMSTART
	v_dot2_f32_f16 v5, v23, v11, v5
	;;#ASMEND
	;;#ASMSTART
	v_dot2_f32_f16 v5, v24, v12, v5
	;;#ASMEND
	;; [unrolled: 3-line block ×8, first 2 shown]
	s_waitcnt lgkmcnt(0)
	;;#ASMSTART
	v_dot2_f32_f16 v6, v27, v11, v6
	;;#ASMEND
	;;#ASMSTART
	v_dot2_f32_f16 v6, v28, v12, v6
	;;#ASMEND
	;; [unrolled: 3-line block ×8, first 2 shown]
	ds_read_b128 v[7:10], v83 offset:144
	ds_read_b128 v[11:14], v86 offset:144
	;; [unrolled: 1-line block ×6, first 2 shown]
	s_waitcnt lgkmcnt(4)
	;;#ASMSTART
	v_dot2_f32_f16 v3, v7, v11, v3
	;;#ASMEND
	;;#ASMSTART
	v_dot2_f32_f16 v3, v8, v12, v3
	;;#ASMEND
	;;#ASMSTART
	v_dot2_f32_f16 v3, v9, v13, v3
	;;#ASMEND
	;;#ASMSTART
	v_dot2_f32_f16 v3, v10, v14, v3
	;;#ASMEND
	s_waitcnt lgkmcnt(3)
	;;#ASMSTART
	v_dot2_f32_f16 v33, v7, v15, v33
	;;#ASMEND
	;;#ASMSTART
	v_dot2_f32_f16 v33, v8, v16, v33
	;;#ASMEND
	;;#ASMSTART
	v_dot2_f32_f16 v33, v9, v17, v33
	;;#ASMEND
	;;#ASMSTART
	v_dot2_f32_f16 v33, v10, v18, v33
	;;#ASMEND
	;; [unrolled: 13-line block ×3, first 2 shown]
	;;#ASMSTART
	v_dot2_f32_f16 v34, v19, v15, v34
	;;#ASMEND
	;;#ASMSTART
	v_dot2_f32_f16 v34, v20, v16, v34
	;;#ASMEND
	;; [unrolled: 3-line block ×4, first 2 shown]
	s_waitcnt lgkmcnt(1)
	;;#ASMSTART
	v_dot2_f32_f16 v5, v23, v11, v5
	;;#ASMEND
	;;#ASMSTART
	v_dot2_f32_f16 v5, v24, v12, v5
	;;#ASMEND
	;; [unrolled: 3-line block ×8, first 2 shown]
	s_waitcnt lgkmcnt(0)
	;;#ASMSTART
	v_dot2_f32_f16 v6, v27, v11, v6
	;;#ASMEND
	;;#ASMSTART
	v_dot2_f32_f16 v6, v28, v12, v6
	;;#ASMEND
	;; [unrolled: 3-line block ×8, first 2 shown]
	ds_read_b128 v[7:10], v83 offset:160
	ds_read_b128 v[11:14], v86 offset:160
	;; [unrolled: 1-line block ×6, first 2 shown]
	s_waitcnt lgkmcnt(4)
	;;#ASMSTART
	v_dot2_f32_f16 v3, v7, v11, v3
	;;#ASMEND
	;;#ASMSTART
	v_dot2_f32_f16 v3, v8, v12, v3
	;;#ASMEND
	;;#ASMSTART
	v_dot2_f32_f16 v3, v9, v13, v3
	;;#ASMEND
	;;#ASMSTART
	v_dot2_f32_f16 v3, v10, v14, v3
	;;#ASMEND
	s_waitcnt lgkmcnt(3)
	;;#ASMSTART
	v_dot2_f32_f16 v33, v7, v15, v33
	;;#ASMEND
	;;#ASMSTART
	v_dot2_f32_f16 v33, v8, v16, v33
	;;#ASMEND
	;;#ASMSTART
	v_dot2_f32_f16 v33, v9, v17, v33
	;;#ASMEND
	;;#ASMSTART
	v_dot2_f32_f16 v33, v10, v18, v33
	;;#ASMEND
	;; [unrolled: 13-line block ×3, first 2 shown]
	;;#ASMSTART
	v_dot2_f32_f16 v34, v19, v15, v34
	;;#ASMEND
	;;#ASMSTART
	v_dot2_f32_f16 v34, v20, v16, v34
	;;#ASMEND
	;; [unrolled: 3-line block ×4, first 2 shown]
	s_waitcnt lgkmcnt(1)
	;;#ASMSTART
	v_dot2_f32_f16 v5, v23, v11, v5
	;;#ASMEND
	;;#ASMSTART
	v_dot2_f32_f16 v5, v24, v12, v5
	;;#ASMEND
	;; [unrolled: 3-line block ×8, first 2 shown]
	s_waitcnt lgkmcnt(0)
	;;#ASMSTART
	v_dot2_f32_f16 v6, v27, v11, v6
	;;#ASMEND
	;;#ASMSTART
	v_dot2_f32_f16 v6, v28, v12, v6
	;;#ASMEND
	;; [unrolled: 3-line block ×8, first 2 shown]
	ds_read_b128 v[7:10], v83 offset:176
	ds_read_b128 v[11:14], v86 offset:176
	;; [unrolled: 1-line block ×6, first 2 shown]
	s_waitcnt lgkmcnt(4)
	;;#ASMSTART
	v_dot2_f32_f16 v3, v7, v11, v3
	;;#ASMEND
	;;#ASMSTART
	v_dot2_f32_f16 v3, v8, v12, v3
	;;#ASMEND
	;;#ASMSTART
	v_dot2_f32_f16 v3, v9, v13, v3
	;;#ASMEND
	;;#ASMSTART
	v_dot2_f32_f16 v3, v10, v14, v3
	;;#ASMEND
	s_waitcnt lgkmcnt(3)
	;;#ASMSTART
	v_dot2_f32_f16 v33, v7, v15, v33
	;;#ASMEND
	;;#ASMSTART
	v_dot2_f32_f16 v33, v8, v16, v33
	;;#ASMEND
	;;#ASMSTART
	v_dot2_f32_f16 v33, v9, v17, v33
	;;#ASMEND
	;;#ASMSTART
	v_dot2_f32_f16 v33, v10, v18, v33
	;;#ASMEND
	;; [unrolled: 13-line block ×3, first 2 shown]
	;;#ASMSTART
	v_dot2_f32_f16 v34, v19, v15, v34
	;;#ASMEND
	;;#ASMSTART
	v_dot2_f32_f16 v34, v20, v16, v34
	;;#ASMEND
	;; [unrolled: 3-line block ×4, first 2 shown]
	s_waitcnt lgkmcnt(1)
	;;#ASMSTART
	v_dot2_f32_f16 v5, v23, v11, v5
	;;#ASMEND
	;;#ASMSTART
	v_dot2_f32_f16 v5, v24, v12, v5
	;;#ASMEND
	;; [unrolled: 3-line block ×8, first 2 shown]
	s_waitcnt lgkmcnt(0)
	;;#ASMSTART
	v_dot2_f32_f16 v6, v27, v11, v6
	;;#ASMEND
	;;#ASMSTART
	v_dot2_f32_f16 v6, v28, v12, v6
	;;#ASMEND
	;; [unrolled: 3-line block ×8, first 2 shown]
	ds_read_b128 v[7:10], v83 offset:192
	ds_read_b128 v[11:14], v86 offset:192
	;; [unrolled: 1-line block ×6, first 2 shown]
	s_waitcnt lgkmcnt(4)
	;;#ASMSTART
	v_dot2_f32_f16 v3, v7, v11, v3
	;;#ASMEND
	;;#ASMSTART
	v_dot2_f32_f16 v3, v8, v12, v3
	;;#ASMEND
	;;#ASMSTART
	v_dot2_f32_f16 v3, v9, v13, v3
	;;#ASMEND
	;;#ASMSTART
	v_dot2_f32_f16 v3, v10, v14, v3
	;;#ASMEND
	s_waitcnt lgkmcnt(3)
	;;#ASMSTART
	v_dot2_f32_f16 v33, v7, v15, v33
	;;#ASMEND
	;;#ASMSTART
	v_dot2_f32_f16 v33, v8, v16, v33
	;;#ASMEND
	;;#ASMSTART
	v_dot2_f32_f16 v33, v9, v17, v33
	;;#ASMEND
	;;#ASMSTART
	v_dot2_f32_f16 v33, v10, v18, v33
	;;#ASMEND
	;; [unrolled: 13-line block ×3, first 2 shown]
	;;#ASMSTART
	v_dot2_f32_f16 v34, v19, v15, v34
	;;#ASMEND
	;;#ASMSTART
	v_dot2_f32_f16 v34, v20, v16, v34
	;;#ASMEND
	;; [unrolled: 3-line block ×4, first 2 shown]
	s_waitcnt lgkmcnt(1)
	;;#ASMSTART
	v_dot2_f32_f16 v5, v23, v11, v5
	;;#ASMEND
	;;#ASMSTART
	v_dot2_f32_f16 v5, v24, v12, v5
	;;#ASMEND
	;; [unrolled: 3-line block ×8, first 2 shown]
	s_waitcnt lgkmcnt(0)
	;;#ASMSTART
	v_dot2_f32_f16 v6, v27, v11, v6
	;;#ASMEND
	;;#ASMSTART
	v_dot2_f32_f16 v6, v28, v12, v6
	;;#ASMEND
	;; [unrolled: 3-line block ×8, first 2 shown]
	ds_read_b128 v[7:10], v83 offset:208
	ds_read_b128 v[11:14], v86 offset:208
	;; [unrolled: 1-line block ×6, first 2 shown]
	s_waitcnt lgkmcnt(4)
	;;#ASMSTART
	v_dot2_f32_f16 v3, v7, v11, v3
	;;#ASMEND
	;;#ASMSTART
	v_dot2_f32_f16 v3, v8, v12, v3
	;;#ASMEND
	;;#ASMSTART
	v_dot2_f32_f16 v3, v9, v13, v3
	;;#ASMEND
	;;#ASMSTART
	v_dot2_f32_f16 v3, v10, v14, v3
	;;#ASMEND
	s_waitcnt lgkmcnt(3)
	;;#ASMSTART
	v_dot2_f32_f16 v33, v7, v15, v33
	;;#ASMEND
	;;#ASMSTART
	v_dot2_f32_f16 v33, v8, v16, v33
	;;#ASMEND
	;;#ASMSTART
	v_dot2_f32_f16 v33, v9, v17, v33
	;;#ASMEND
	;;#ASMSTART
	v_dot2_f32_f16 v33, v10, v18, v33
	;;#ASMEND
	;; [unrolled: 13-line block ×3, first 2 shown]
	;;#ASMSTART
	v_dot2_f32_f16 v34, v19, v15, v34
	;;#ASMEND
	;;#ASMSTART
	v_dot2_f32_f16 v34, v20, v16, v34
	;;#ASMEND
	;; [unrolled: 3-line block ×4, first 2 shown]
	s_waitcnt lgkmcnt(1)
	;;#ASMSTART
	v_dot2_f32_f16 v5, v23, v11, v5
	;;#ASMEND
	;;#ASMSTART
	v_dot2_f32_f16 v5, v24, v12, v5
	;;#ASMEND
	;; [unrolled: 3-line block ×8, first 2 shown]
	s_waitcnt lgkmcnt(0)
	;;#ASMSTART
	v_dot2_f32_f16 v6, v27, v11, v6
	;;#ASMEND
	;;#ASMSTART
	v_dot2_f32_f16 v6, v28, v12, v6
	;;#ASMEND
	;; [unrolled: 3-line block ×8, first 2 shown]
	ds_read_b128 v[7:10], v83 offset:224
	ds_read_b128 v[11:14], v86 offset:224
	;; [unrolled: 1-line block ×6, first 2 shown]
	s_waitcnt lgkmcnt(4)
	;;#ASMSTART
	v_dot2_f32_f16 v3, v7, v11, v3
	;;#ASMEND
	;;#ASMSTART
	v_dot2_f32_f16 v3, v8, v12, v3
	;;#ASMEND
	;;#ASMSTART
	v_dot2_f32_f16 v3, v9, v13, v3
	;;#ASMEND
	;;#ASMSTART
	v_dot2_f32_f16 v3, v10, v14, v3
	;;#ASMEND
	s_waitcnt lgkmcnt(3)
	;;#ASMSTART
	v_dot2_f32_f16 v33, v7, v15, v33
	;;#ASMEND
	;;#ASMSTART
	v_dot2_f32_f16 v33, v8, v16, v33
	;;#ASMEND
	;;#ASMSTART
	v_dot2_f32_f16 v33, v9, v17, v33
	;;#ASMEND
	;;#ASMSTART
	v_dot2_f32_f16 v33, v10, v18, v33
	;;#ASMEND
	;; [unrolled: 13-line block ×3, first 2 shown]
	;;#ASMSTART
	v_dot2_f32_f16 v34, v19, v15, v34
	;;#ASMEND
	;;#ASMSTART
	v_dot2_f32_f16 v34, v20, v16, v34
	;;#ASMEND
	;; [unrolled: 3-line block ×4, first 2 shown]
	s_waitcnt lgkmcnt(1)
	;;#ASMSTART
	v_dot2_f32_f16 v5, v23, v11, v5
	;;#ASMEND
	;;#ASMSTART
	v_dot2_f32_f16 v5, v24, v12, v5
	;;#ASMEND
	;; [unrolled: 3-line block ×8, first 2 shown]
	s_waitcnt lgkmcnt(0)
	;;#ASMSTART
	v_dot2_f32_f16 v6, v27, v11, v6
	;;#ASMEND
	;;#ASMSTART
	v_dot2_f32_f16 v6, v28, v12, v6
	;;#ASMEND
	;; [unrolled: 3-line block ×8, first 2 shown]
	ds_read_b128 v[9:12], v83 offset:240
	ds_read_b128 v[13:16], v86 offset:240
	;; [unrolled: 1-line block ×6, first 2 shown]
	s_waitcnt lgkmcnt(4)
	;;#ASMSTART
	v_dot2_f32_f16 v3, v9, v13, v3
	;;#ASMEND
	;;#ASMSTART
	v_dot2_f32_f16 v3, v10, v14, v3
	;;#ASMEND
	;; [unrolled: 3-line block ×4, first 2 shown]
	s_waitcnt lgkmcnt(3)
	;;#ASMSTART
	v_dot2_f32_f16 v33, v9, v17, v33
	;;#ASMEND
	;;#ASMSTART
	v_dot2_f32_f16 v33, v10, v18, v33
	;;#ASMEND
	;; [unrolled: 3-line block ×4, first 2 shown]
	s_waitcnt lgkmcnt(2)
	;;#ASMSTART
	v_dot2_f32_f16 v4, v21, v13, v4
	;;#ASMEND
	;;#ASMSTART
	v_dot2_f32_f16 v4, v22, v14, v4
	;;#ASMEND
	;; [unrolled: 3-line block ×3, first 2 shown]
	v_add_nc_u32_e32 v7, s18, v0
	;;#ASMSTART
	v_dot2_f32_f16 v4, v24, v16, v4
	;;#ASMEND
	;;#ASMSTART
	v_dot2_f32_f16 v34, v21, v17, v34
	;;#ASMEND
	;; [unrolled: 3-line block ×5, first 2 shown]
	s_waitcnt lgkmcnt(1)
	;;#ASMSTART
	v_dot2_f32_f16 v5, v25, v13, v5
	;;#ASMEND
	;;#ASMSTART
	v_dot2_f32_f16 v5, v26, v14, v5
	;;#ASMEND
	v_add_nc_u32_e32 v1, v7, v87
	;;#ASMSTART
	v_dot2_f32_f16 v5, v27, v15, v5
	;;#ASMEND
	;;#ASMSTART
	v_dot2_f32_f16 v5, v28, v16, v5
	;;#ASMEND
	;; [unrolled: 3-line block ×6, first 2 shown]
	s_waitcnt lgkmcnt(0)
	;;#ASMSTART
	v_dot2_f32_f16 v6, v29, v13, v6
	;;#ASMEND
	v_mov_b32_e32 v8, 0
	v_ashrrev_i32_e32 v2, 31, v1
	;;#ASMSTART
	v_dot2_f32_f16 v6, v30, v14, v6
	;;#ASMEND
	;;#ASMSTART
	v_dot2_f32_f16 v6, v31, v15, v6
	;;#ASMEND
	;; [unrolled: 3-line block ×7, first 2 shown]
	s_cbranch_vccnz .LBB59_10
; %bb.9:                                ;   in Loop: Header=BB59_8 Depth=1
	v_lshlrev_b64 v[8:9], 1, v[1:2]
	v_add_co_u32 v8, vcc_lo, s46, v8
	v_add_co_ci_u32_e64 v9, null, s47, v9, vcc_lo
	global_load_ushort v8, v[8:9], off
	s_waitcnt vmcnt(0)
	v_cvt_f32_f16_e32 v8, v8
	v_mul_f32_e32 v8, v79, v8
.LBB59_10:                              ;   in Loop: Header=BB59_8 Depth=1
	v_mov_b32_e32 v9, 0
	v_mov_b32_e32 v10, 0
	s_andn2_b32 vcc_lo, exec_lo, s11
	s_cbranch_vccnz .LBB59_12
; %bb.11:                               ;   in Loop: Header=BB59_8 Depth=1
	v_lshlrev_b64 v[10:11], 1, v[1:2]
	v_add_co_u32 v10, vcc_lo, s46, v10
	v_add_co_ci_u32_e64 v11, null, s47, v11, vcc_lo
	global_load_ushort v10, v[10:11], off offset:64
	s_waitcnt vmcnt(0)
	v_cvt_f32_f16_e32 v10, v10
	v_mul_f32_e32 v10, v79, v10
.LBB59_12:                              ;   in Loop: Header=BB59_8 Depth=1
	s_andn2_b32 vcc_lo, exec_lo, s11
	s_cbranch_vccnz .LBB59_14
; %bb.13:                               ;   in Loop: Header=BB59_8 Depth=1
	v_lshlrev_b64 v[11:12], 1, v[1:2]
	v_add_co_u32 v11, vcc_lo, s46, v11
	v_add_co_ci_u32_e64 v12, null, s47, v12, vcc_lo
	global_load_ushort v9, v[11:12], off offset:128
	s_waitcnt vmcnt(0)
	v_cvt_f32_f16_e32 v9, v9
	v_mul_f32_e32 v9, v79, v9
.LBB59_14:                              ;   in Loop: Header=BB59_8 Depth=1
	v_mov_b32_e32 v120, 0
	v_mov_b32_e32 v11, 0
	s_andn2_b32 vcc_lo, exec_lo, s11
	s_cbranch_vccnz .LBB59_16
; %bb.15:                               ;   in Loop: Header=BB59_8 Depth=1
	v_lshlrev_b64 v[1:2], 1, v[1:2]
	v_add_co_u32 v1, vcc_lo, s46, v1
	v_add_co_ci_u32_e64 v2, null, s47, v2, vcc_lo
	global_load_ushort v1, v[1:2], off offset:192
	s_waitcnt vmcnt(0)
	v_cvt_f32_f16_e32 v1, v1
	v_mul_f32_e32 v11, v79, v1
.LBB59_16:                              ;   in Loop: Header=BB59_8 Depth=1
	v_add_f32_e32 v116, v3, v8
	v_add_f32_e32 v117, v4, v10
	v_xor_b32_e32 v1, 16, v106
	v_add_f32_e32 v118, v5, v9
	v_add_f32_e32 v119, v6, v11
	;; [unrolled: 1-line block ×4, first 2 shown]
	v_cmp_gt_i32_e32 vcc_lo, 32, v1
	v_add_f32_e32 v4, 0x40051340, v118
	v_max3_f32 v2, v111, v2, v3
	v_cndmask_b32_e32 v1, v106, v1, vcc_lo
	v_add_f32_e32 v3, 0x40051340, v119
	v_lshlrev_b32_e32 v121, 2, v1
	v_max3_f32 v1, v2, v4, v3
	v_xor_b32_e32 v3, 8, v106
	ds_bpermute_b32 v2, v121, v1
	v_cmp_gt_i32_e32 vcc_lo, 32, v3
	v_cndmask_b32_e32 v3, v106, v3, vcc_lo
	v_lshlrev_b32_e32 v122, 2, v3
	v_xor_b32_e32 v3, 4, v106
	v_cmp_gt_i32_e32 vcc_lo, 32, v3
	s_waitcnt lgkmcnt(0)
	v_max_f32_e32 v2, v2, v2
	v_cndmask_b32_e32 v3, v106, v3, vcc_lo
	v_max_f32_e32 v1, v1, v2
	v_lshlrev_b32_e32 v123, 2, v3
	v_xor_b32_e32 v3, 2, v106
	ds_bpermute_b32 v2, v122, v1
	v_cmp_gt_i32_e32 vcc_lo, 32, v3
	v_cndmask_b32_e32 v3, v106, v3, vcc_lo
	v_lshlrev_b32_e32 v115, 2, v3
	v_xor_b32_e32 v3, 1, v106
	v_cmp_gt_i32_e32 vcc_lo, 32, v3
	s_waitcnt lgkmcnt(0)
	v_max_f32_e32 v2, v2, v2
	v_cndmask_b32_e32 v3, v106, v3, vcc_lo
	v_max_f32_e32 v1, v1, v2
	s_andn2_b32 vcc_lo, exec_lo, s11
	v_lshlrev_b32_e32 v114, 2, v3
	ds_bpermute_b32 v2, v123, v1
	s_waitcnt lgkmcnt(0)
	v_max_f32_e32 v2, v2, v2
	v_max_f32_e32 v1, v1, v2
	ds_bpermute_b32 v2, v115, v1
	s_waitcnt lgkmcnt(0)
	v_max_f32_e32 v2, v2, v2
	v_max_f32_e32 v124, v1, v2
	v_add_nc_u32_e32 v1, v7, v98
	ds_bpermute_b32 v125, v114, v124
	v_ashrrev_i32_e32 v2, 31, v1
	s_cbranch_vccnz .LBB59_18
; %bb.17:                               ;   in Loop: Header=BB59_8 Depth=1
	v_lshlrev_b64 v[3:4], 1, v[1:2]
	v_add_co_u32 v3, vcc_lo, s46, v3
	v_add_co_ci_u32_e64 v4, null, s47, v4, vcc_lo
	global_load_ushort v3, v[3:4], off
	s_waitcnt vmcnt(0)
	v_cvt_f32_f16_e32 v3, v3
	v_mul_f32_e32 v120, v79, v3
.LBB59_18:                              ;   in Loop: Header=BB59_8 Depth=1
	v_mov_b32_e32 v126, 0
	v_mov_b32_e32 v127, 0
	s_andn2_b32 vcc_lo, exec_lo, s11
	s_cbranch_vccnz .LBB59_20
; %bb.19:                               ;   in Loop: Header=BB59_8 Depth=1
	v_lshlrev_b64 v[3:4], 1, v[1:2]
	v_add_co_u32 v3, vcc_lo, s46, v3
	v_add_co_ci_u32_e64 v4, null, s47, v4, vcc_lo
	global_load_ushort v3, v[3:4], off offset:64
	s_waitcnt vmcnt(0)
	v_cvt_f32_f16_e32 v3, v3
	v_mul_f32_e32 v127, v79, v3
.LBB59_20:                              ;   in Loop: Header=BB59_8 Depth=1
	s_andn2_b32 vcc_lo, exec_lo, s11
	s_cbranch_vccnz .LBB59_22
; %bb.21:                               ;   in Loop: Header=BB59_8 Depth=1
	v_lshlrev_b64 v[3:4], 1, v[1:2]
	v_add_co_u32 v3, vcc_lo, s46, v3
	v_add_co_ci_u32_e64 v4, null, s47, v4, vcc_lo
	global_load_ushort v3, v[3:4], off offset:128
	s_waitcnt vmcnt(0)
	v_cvt_f32_f16_e32 v3, v3
	v_mul_f32_e32 v126, v79, v3
.LBB59_22:                              ;   in Loop: Header=BB59_8 Depth=1
	s_andn2_b32 vcc_lo, exec_lo, s11
	s_cbranch_vccnz .LBB59_24
; %bb.23:                               ;   in Loop: Header=BB59_8 Depth=1
	v_lshlrev_b64 v[1:2], 1, v[1:2]
	v_add_co_u32 v1, vcc_lo, s46, v1
	v_add_co_ci_u32_e64 v2, null, s47, v2, vcc_lo
	global_load_ushort v1, v[1:2], off offset:192
	s_waitcnt vmcnt(0)
	v_cvt_f32_f16_e32 v1, v1
	v_mul_f32_e32 v128, v79, v1
	s_branch .LBB59_25
.LBB59_24:                              ;   in Loop: Header=BB59_8 Depth=1
	v_mov_b32_e32 v128, 0
.LBB59_25:                              ;   in Loop: Header=BB59_8 Depth=1
	s_mul_hi_i32 s15, s18, s35
	s_mul_i32 s14, s18, s35
	s_waitcnt lgkmcnt(0)
	s_lshl_b64 s[14:15], s[14:15], 2
	s_barrier
	s_add_u32 s13, s37, s14
	s_addc_u32 s14, s36, s15
	v_add_co_u32 v1, vcc_lo, s13, v51
	v_add_co_ci_u32_e64 v2, null, s14, v52, vcc_lo
	v_add_co_u32 v3, vcc_lo, s13, v53
	v_add_co_ci_u32_e64 v4, null, s14, v54, vcc_lo
	;; [unrolled: 2-line block ×16, first 2 shown]
	buffer_gl0_inv
	s_clause 0x7
	global_load_dwordx4 v[1:4], v[1:2], off
	global_load_dwordx4 v[5:8], v[5:6], off
	;; [unrolled: 1-line block ×8, first 2 shown]
	v_add_f32_e32 v129, v33, v120
	v_add_f32_e32 v127, v34, v127
	;; [unrolled: 1-line block ×4, first 2 shown]
	v_add_nc_u32_e32 v120, v80, v71
	v_add_f32_e32 v33, 0x40051340, v129
	v_add_f32_e32 v34, 0x40051340, v127
	;; [unrolled: 1-line block ×4, first 2 shown]
	v_add_nc_u32_e32 v185, 0x1800, v74
	v_max3_f32 v33, v110, v33, v34
	v_max3_f32 v33, v33, v112, v113
	v_max_f32_e32 v112, v125, v125
	ds_bpermute_b32 v34, v121, v33
	s_waitcnt lgkmcnt(0)
	v_max_f32_e32 v34, v34, v34
	v_max_f32_e32 v33, v33, v34
	ds_bpermute_b32 v34, v122, v33
	v_add_nc_u32_e32 v122, 0x2000, v74
	s_waitcnt lgkmcnt(0)
	v_max_f32_e32 v34, v34, v34
	v_max_f32_e32 v34, v33, v34
	;; [unrolled: 1-line block ×3, first 2 shown]
	v_add_nc_u32_e32 v124, 0x1000, v74
	ds_bpermute_b32 v113, v123, v34
	v_max_f32_e32 v33, v33, v112
	v_add_nc_u32_e32 v123, 0x800, v74
	v_sub_f32_e32 v112, v116, v33
	v_sub_f32_e32 v116, v117, v33
	;; [unrolled: 1-line block ×5, first 2 shown]
	v_mul_f32_e32 v119, 0x3fb8aa3b, v112
	v_mul_f32_e32 v121, 0x3fb8aa3b, v116
	;; [unrolled: 1-line block ×5, first 2 shown]
	v_fma_f32 v132, 0x3fb8aa3b, v112, -v119
	v_rndne_f32_e32 v133, v119
	v_fma_f32 v134, 0x3fb8aa3b, v116, -v121
	v_rndne_f32_e32 v135, v121
	s_waitcnt lgkmcnt(0)
	v_max_f32_e32 v113, v113, v113
	v_fmac_f32_e32 v132, 0x32a5705f, v112
	v_sub_f32_e32 v119, v119, v133
	v_fma_f32 v136, 0x3fb8aa3b, v117, -v125
	v_rndne_f32_e32 v137, v125
	v_max_f32_e32 v34, v34, v113
	v_fma_f32 v113, 0x3fb8aa3b, v111, -v131
	v_rndne_f32_e32 v140, v131
	v_fmac_f32_e32 v134, 0x32a5705f, v116
	v_sub_f32_e32 v121, v121, v135
	ds_bpermute_b32 v115, v115, v34
	v_add_f32_e32 v119, v119, v132
	v_fma_f32 v138, 0x3fb8aa3b, v118, -v130
	v_rndne_f32_e32 v139, v130
	v_fmac_f32_e32 v136, 0x32a5705f, v117
	v_sub_f32_e32 v125, v125, v137
	v_fmac_f32_e32 v113, 0x32a5705f, v111
	v_sub_f32_e32 v131, v131, v140
	v_add_f32_e32 v121, v121, v134
	v_exp_f32_e32 v119, v119
	v_fmac_f32_e32 v138, 0x32a5705f, v118
	v_sub_f32_e32 v130, v130, v139
	v_cvt_i32_f32_e32 v133, v133
	v_add_f32_e32 v113, v131, v113
	v_add_f32_e32 v125, v125, v136
	v_exp_f32_e32 v121, v121
	v_cvt_i32_f32_e32 v135, v135
	v_add_f32_e32 v130, v130, v138
	v_exp_f32_e32 v113, v113
	v_exp_f32_e32 v125, v125
	s_waitcnt lgkmcnt(0)
	v_max_f32_e32 v115, v115, v115
	v_cmp_ngt_f32_e32 vcc_lo, 0xc2ce8ed0, v112
	v_exp_f32_e32 v130, v130
	v_cvt_i32_f32_e32 v131, v140
	v_cvt_i32_f32_e32 v132, v137
	v_max_f32_e32 v34, v34, v115
	v_ldexp_f32 v115, v119, v133
	v_ldexp_f32 v119, v121, v135
	v_cvt_i32_f32_e32 v134, v139
	v_ldexp_f32 v113, v113, v131
	v_ldexp_f32 v121, v125, v132
	v_cndmask_b32_e32 v115, 0, v115, vcc_lo
	v_cmp_ngt_f32_e32 vcc_lo, 0xc2ce8ed0, v116
	ds_bpermute_b32 v125, v114, v34
	v_ldexp_f32 v114, v130, v134
	v_cndmask_b32_e32 v119, 0, v119, vcc_lo
	v_cmp_ngt_f32_e32 vcc_lo, 0xc2ce8ed0, v111
	v_cndmask_b32_e32 v130, 0, v113, vcc_lo
	v_cmp_ngt_f32_e32 vcc_lo, 0xc2ce8ed0, v117
	;; [unrolled: 2-line block ×3, first 2 shown]
	v_cndmask_b32_e32 v131, 0, v114, vcc_lo
	v_cmp_nlt_f32_e32 vcc_lo, 0x42b17218, v112
	v_cndmask_b32_e32 v113, 0x7f800000, v115, vcc_lo
	v_cmp_nlt_f32_e32 vcc_lo, 0x42b17218, v116
	s_waitcnt lgkmcnt(0)
	v_max_f32_e32 v116, v125, v125
	v_cndmask_b32_e32 v115, 0x7f800000, v119, vcc_lo
	v_cmp_nlt_f32_e32 vcc_lo, 0x42b17218, v111
	v_max_f32_e32 v34, v34, v116
	v_cvt_f16_f32_e32 v125, v115
	v_cndmask_b32_e32 v111, 0x7f800000, v130, vcc_lo
	v_sub_f32_e32 v110, v110, v34
	v_cmp_nlt_f32_e32 vcc_lo, 0x42b17218, v117
	v_sub_f32_e32 v116, v129, v34
	v_sub_f32_e32 v126, v126, v34
	v_cvt_f16_f32_e32 v117, v111
	v_mul_f32_e32 v132, 0x3fb8aa3b, v110
	v_cndmask_b32_e32 v114, 0x7f800000, v121, vcc_lo
	v_cmp_nlt_f32_e32 vcc_lo, 0x42b17218, v118
	v_mul_f32_e32 v118, 0x3fb8aa3b, v116
	v_mul_u32_u24_sdwa v225, v117, v107 dst_sel:DWORD dst_unused:UNUSED_PAD src0_sel:WORD_0 src1_sel:DWORD
	v_sub_f32_e32 v117, v127, v34
	v_fma_f32 v141, 0x3fb8aa3b, v110, -v132
	v_rndne_f32_e32 v142, v132
	v_fma_f32 v133, 0x3fb8aa3b, v116, -v118
	v_rndne_f32_e32 v134, v118
	v_mul_f32_e32 v119, 0x3fb8aa3b, v117
	v_fmac_f32_e32 v141, 0x32a5705f, v110
	v_sub_f32_e32 v132, v132, v142
	v_sub_f32_e32 v127, v128, v34
	v_mul_f32_e32 v128, 0x3fb8aa3b, v126
	v_fma_f32 v135, 0x3fb8aa3b, v117, -v119
	v_rndne_f32_e32 v136, v119
	v_fmac_f32_e32 v133, 0x32a5705f, v116
	v_sub_f32_e32 v118, v118, v134
	v_add_f32_e32 v132, v132, v141
	v_mul_f32_e32 v129, 0x3fb8aa3b, v127
	v_fma_f32 v137, 0x3fb8aa3b, v126, -v128
	v_rndne_f32_e32 v138, v128
	v_fmac_f32_e32 v135, 0x32a5705f, v117
	v_sub_f32_e32 v119, v119, v136
	v_add_f32_e32 v118, v118, v133
	v_exp_f32_e32 v132, v132
	v_fma_f32 v139, 0x3fb8aa3b, v127, -v129
	v_rndne_f32_e32 v140, v129
	v_fmac_f32_e32 v137, 0x32a5705f, v126
	v_sub_f32_e32 v128, v128, v138
	v_add_f32_e32 v119, v119, v135
	v_exp_f32_e32 v118, v118
	v_cvt_i32_f32_e32 v133, v142
	v_cndmask_b32_e32 v112, 0x7f800000, v131, vcc_lo
	v_fmac_f32_e32 v139, 0x32a5705f, v127
	v_sub_f32_e32 v129, v129, v140
	v_add_f32_e32 v128, v128, v137
	v_exp_f32_e32 v119, v119
	v_cvt_i32_f32_e32 v134, v134
	v_ldexp_f32 v132, v132, v133
	v_cmp_ngt_f32_e32 vcc_lo, 0xc2ce8ed0, v110
	v_add_f32_e32 v129, v129, v139
	v_exp_f32_e32 v128, v128
	v_cvt_i32_f32_e32 v135, v136
	v_ldexp_f32 v118, v118, v134
	v_cndmask_b32_e32 v132, 0, v132, vcc_lo
	v_cmp_ngt_f32_e32 vcc_lo, 0xc2ce8ed0, v116
	v_exp_f32_e32 v129, v129
	v_cvt_i32_f32_e32 v136, v138
	v_ldexp_f32 v119, v119, v135
	v_cvt_i32_f32_e32 v137, v140
	v_cndmask_b32_e32 v118, 0, v118, vcc_lo
	v_cmp_ngt_f32_e32 vcc_lo, 0xc2ce8ed0, v117
	v_ldexp_f32 v128, v128, v136
	v_cvt_f16_f32_e32 v121, v113
	v_cvt_f16_f32_e32 v130, v114
	;; [unrolled: 1-line block ×3, first 2 shown]
	v_cndmask_b32_e32 v119, 0, v119, vcc_lo
	v_cmp_ngt_f32_e32 vcc_lo, 0xc2ce8ed0, v126
	v_ldexp_f32 v129, v129, v137
	v_pk_mul_f16 v78, v78, v225
	v_cndmask_b32_e32 v128, 0, v128, vcc_lo
	v_cmp_ngt_f32_e32 vcc_lo, 0xc2ce8ed0, v127
	v_cndmask_b32_e32 v129, 0, v129, vcc_lo
	v_cmp_nlt_f32_e32 vcc_lo, 0x42b17218, v110
	v_cndmask_b32_e32 v110, 0x7f800000, v132, vcc_lo
	v_cmp_nlt_f32_e32 vcc_lo, 0x42b17218, v116
	;; [unrolled: 2-line block ×4, first 2 shown]
	v_cvt_f16_f32_e32 v126, v110
	v_cndmask_b32_e32 v117, 0x7f800000, v128, vcc_lo
	v_cmp_nlt_f32_e32 vcc_lo, 0x42b17218, v127
	v_cvt_f16_f32_e32 v127, v118
	v_cvt_f16_f32_e32 v128, v119
	v_mul_u32_u24_sdwa v226, v126, v107 dst_sel:DWORD dst_unused:UNUSED_PAD src0_sel:WORD_0 src1_sel:DWORD
	v_cndmask_b32_e32 v116, 0x7f800000, v129, vcc_lo
	v_cvt_f16_f32_e32 v129, v117
	v_pack_b32_f16 v126, v121, v127
	v_pack_b32_f16 v125, v125, v128
	v_add_nc_u32_e32 v121, 0x2800, v74
	v_cvt_f16_f32_e32 v132, v116
	v_pack_b32_f16 v127, v130, v129
	v_pk_mul_f16 v77, v77, v226
	v_pack_b32_f16 v128, v131, v132
	ds_write2_b32 v120, v126, v125 offset1:32
	ds_write2_b32 v120, v127, v128 offset0:64 offset1:96
	s_waitcnt vmcnt(7)
	ds_write_b128 v89, v[1:4]
	s_waitcnt vmcnt(6)
	ds_write_b128 v97, v[5:8]
	s_waitcnt vmcnt(5)
	ds_write_b128 v99, v[9:12]
	s_waitcnt vmcnt(4)
	ds_write_b128 v100, v[13:16]
	s_waitcnt vmcnt(3)
	ds_write_b128 v101, v[17:20]
	s_waitcnt vmcnt(2)
	ds_write_b128 v102, v[21:24]
	s_waitcnt vmcnt(1)
	ds_write_b128 v103, v[25:28]
	s_waitcnt vmcnt(0)
	ds_write_b128 v104, v[29:32]
	s_waitcnt lgkmcnt(0)
	s_barrier
	buffer_gl0_inv
	ds_read2_b64 v[1:4], v74 offset1:32
	ds_read2_b64 v[5:8], v74 offset0:64 offset1:96
	ds_read2_b64 v[9:12], v74 offset0:128 offset1:160
	ds_read_b128 v[13:16], v80
	ds_read_b128 v[17:20], v80 offset:16
	ds_read2_b64 v[21:24], v74 offset0:192 offset1:224
	ds_read2_b64 v[25:28], v123 offset1:32
	ds_read2_b64 v[29:32], v123 offset0:64 offset1:96
	ds_read2_b64 v[125:128], v123 offset0:128 offset1:160
	ds_read_b128 v[129:132], v80 offset:32
	ds_read_b128 v[133:136], v80 offset:48
	ds_read2_b64 v[137:140], v123 offset0:192 offset1:224
	ds_read2_b64 v[141:144], v124 offset1:32
	ds_read2_b64 v[145:148], v124 offset0:64 offset1:96
	ds_read2_b64 v[149:152], v124 offset0:128 offset1:160
	ds_read_b128 v[153:156], v80 offset:64
	;; [unrolled: 6-line block ×4, first 2 shown]
	ds_read_b128 v[205:208], v80 offset:144
	ds_read2_b64 v[209:212], v122 offset0:192 offset1:224
	ds_read2_b64 v[213:216], v121 offset1:32
	ds_read2_b64 v[217:220], v121 offset0:64 offset1:96
	ds_read2_b64 v[221:224], v121 offset0:128 offset1:160
	s_waitcnt lgkmcnt(29)
	v_mul_u32_u24_sdwa v120, v13, v107 dst_sel:DWORD dst_unused:UNUSED_PAD src0_sel:WORD_0 src1_sel:DWORD
	v_mul_u32_u24_sdwa v13, v13, v107 dst_sel:DWORD dst_unused:UNUSED_PAD src0_sel:WORD_1 src1_sel:DWORD
	v_mul_u32_u24_sdwa v122, v14, v107 dst_sel:DWORD dst_unused:UNUSED_PAD src0_sel:WORD_0 src1_sel:DWORD
	v_mul_u32_u24_sdwa v14, v14, v107 dst_sel:DWORD dst_unused:UNUSED_PAD src0_sel:WORD_1 src1_sel:DWORD
	v_mul_u32_u24_sdwa v123, v15, v107 dst_sel:DWORD dst_unused:UNUSED_PAD src0_sel:WORD_0 src1_sel:DWORD
	v_pk_mul_f16 v245, v1, v120
	v_pk_mul_f16 v1, v1, v13
	v_mul_u32_u24_sdwa v15, v15, v107 dst_sel:DWORD dst_unused:UNUSED_PAD src0_sel:WORD_1 src1_sel:DWORD
	v_mul_u32_u24_sdwa v124, v16, v107 dst_sel:DWORD dst_unused:UNUSED_PAD src0_sel:WORD_0 src1_sel:DWORD
	v_mul_u32_u24_sdwa v16, v16, v107 dst_sel:DWORD dst_unused:UNUSED_PAD src0_sel:WORD_1 src1_sel:DWORD
	v_pk_fma_f16 v76, v76, v225, v245
	v_pk_fma_f16 v1, v75, v226, v1
	;; [unrolled: 1-line block ×4, first 2 shown]
	s_waitcnt lgkmcnt(28)
	v_mul_u32_u24_sdwa v227, v17, v107 dst_sel:DWORD dst_unused:UNUSED_PAD src0_sel:WORD_0 src1_sel:DWORD
	v_pk_fma_f16 v13, v3, v122, v76
	v_pk_fma_f16 v1, v3, v14, v1
	;; [unrolled: 1-line block ×4, first 2 shown]
	v_mul_u32_u24_sdwa v17, v17, v107 dst_sel:DWORD dst_unused:UNUSED_PAD src0_sel:WORD_1 src1_sel:DWORD
	v_pk_fma_f16 v4, v5, v123, v13
	v_pk_fma_f16 v1, v5, v15, v1
	;; [unrolled: 1-line block ×4, first 2 shown]
	v_mul_u32_u24_sdwa v228, v18, v107 dst_sel:DWORD dst_unused:UNUSED_PAD src0_sel:WORD_0 src1_sel:DWORD
	v_pk_fma_f16 v4, v7, v124, v4
	v_pk_fma_f16 v1, v7, v16, v1
	;; [unrolled: 1-line block ×3, first 2 shown]
	v_mul_u32_u24_sdwa v18, v18, v107 dst_sel:DWORD dst_unused:UNUSED_PAD src0_sel:WORD_1 src1_sel:DWORD
	v_pk_fma_f16 v2, v8, v16, v2
	v_pk_fma_f16 v4, v9, v227, v4
	v_pk_fma_f16 v1, v9, v17, v1
	v_pk_fma_f16 v3, v10, v227, v3
	v_mul_u32_u24_sdwa v229, v19, v107 dst_sel:DWORD dst_unused:UNUSED_PAD src0_sel:WORD_0 src1_sel:DWORD
	v_mul_u32_u24_sdwa v19, v19, v107 dst_sel:DWORD dst_unused:UNUSED_PAD src0_sel:WORD_1 src1_sel:DWORD
	v_pk_fma_f16 v2, v10, v17, v2
	v_pk_fma_f16 v4, v11, v228, v4
	v_pk_fma_f16 v1, v11, v18, v1
	v_pk_fma_f16 v3, v12, v228, v3
	v_mul_u32_u24_sdwa v230, v20, v107 dst_sel:DWORD dst_unused:UNUSED_PAD src0_sel:WORD_0 src1_sel:DWORD
	v_mul_u32_u24_sdwa v20, v20, v107 dst_sel:DWORD dst_unused:UNUSED_PAD src0_sel:WORD_1 src1_sel:DWORD
	v_pk_fma_f16 v2, v12, v18, v2
	s_waitcnt lgkmcnt(27)
	v_pk_fma_f16 v4, v21, v229, v4
	v_pk_fma_f16 v1, v21, v19, v1
	v_pk_fma_f16 v3, v22, v229, v3
	s_waitcnt lgkmcnt(23)
	v_mul_u32_u24_sdwa v231, v129, v107 dst_sel:DWORD dst_unused:UNUSED_PAD src0_sel:WORD_0 src1_sel:DWORD
	v_mul_u32_u24_sdwa v129, v129, v107 dst_sel:DWORD dst_unused:UNUSED_PAD src0_sel:WORD_1 src1_sel:DWORD
	v_pk_fma_f16 v2, v22, v19, v2
	v_pk_fma_f16 v4, v23, v230, v4
	v_pk_fma_f16 v1, v23, v20, v1
	v_pk_fma_f16 v3, v24, v230, v3
	v_mul_u32_u24_sdwa v232, v130, v107 dst_sel:DWORD dst_unused:UNUSED_PAD src0_sel:WORD_0 src1_sel:DWORD
	v_mul_u32_u24_sdwa v130, v130, v107 dst_sel:DWORD dst_unused:UNUSED_PAD src0_sel:WORD_1 src1_sel:DWORD
	v_pk_fma_f16 v2, v24, v20, v2
	v_pk_fma_f16 v4, v25, v231, v4
	v_pk_fma_f16 v1, v25, v129, v1
	v_pk_fma_f16 v3, v26, v231, v3
	v_mul_u32_u24_sdwa v233, v131, v107 dst_sel:DWORD dst_unused:UNUSED_PAD src0_sel:WORD_0 src1_sel:DWORD
	v_mul_u32_u24_sdwa v131, v131, v107 dst_sel:DWORD dst_unused:UNUSED_PAD src0_sel:WORD_1 src1_sel:DWORD
	v_pk_fma_f16 v16, v26, v129, v2
	v_pk_fma_f16 v17, v27, v232, v4
	v_pk_fma_f16 v18, v27, v130, v1
	v_pk_fma_f16 v19, v28, v232, v3
	v_mul_u32_u24_sdwa v234, v132, v107 dst_sel:DWORD dst_unused:UNUSED_PAD src0_sel:WORD_0 src1_sel:DWORD
	v_mul_u32_u24_sdwa v132, v132, v107 dst_sel:DWORD dst_unused:UNUSED_PAD src0_sel:WORD_1 src1_sel:DWORD
	v_pk_fma_f16 v16, v28, v130, v16
	v_pk_fma_f16 v17, v29, v233, v17
	v_pk_fma_f16 v18, v29, v131, v18
	v_pk_fma_f16 v19, v30, v233, v19
	s_waitcnt lgkmcnt(22)
	v_mul_u32_u24_sdwa v235, v133, v107 dst_sel:DWORD dst_unused:UNUSED_PAD src0_sel:WORD_0 src1_sel:DWORD
	v_mul_u32_u24_sdwa v133, v133, v107 dst_sel:DWORD dst_unused:UNUSED_PAD src0_sel:WORD_1 src1_sel:DWORD
	v_pk_fma_f16 v16, v30, v131, v16
	v_pk_fma_f16 v17, v31, v234, v17
	v_pk_fma_f16 v18, v31, v132, v18
	v_pk_fma_f16 v19, v32, v234, v19
	v_mul_u32_u24_sdwa v236, v134, v107 dst_sel:DWORD dst_unused:UNUSED_PAD src0_sel:WORD_0 src1_sel:DWORD
	v_mul_u32_u24_sdwa v134, v134, v107 dst_sel:DWORD dst_unused:UNUSED_PAD src0_sel:WORD_1 src1_sel:DWORD
	v_pk_fma_f16 v16, v32, v132, v16
	v_pk_fma_f16 v17, v125, v235, v17
	v_pk_fma_f16 v18, v125, v133, v18
	v_pk_fma_f16 v19, v126, v235, v19
	v_mul_u32_u24_sdwa v237, v135, v107 dst_sel:DWORD dst_unused:UNUSED_PAD src0_sel:WORD_0 src1_sel:DWORD
	v_mul_u32_u24_sdwa v135, v135, v107 dst_sel:DWORD dst_unused:UNUSED_PAD src0_sel:WORD_1 src1_sel:DWORD
	v_pk_fma_f16 v16, v126, v133, v16
	v_pk_fma_f16 v17, v127, v236, v17
	v_pk_fma_f16 v18, v127, v134, v18
	v_pk_fma_f16 v19, v128, v236, v19
	v_mul_u32_u24_sdwa v238, v136, v107 dst_sel:DWORD dst_unused:UNUSED_PAD src0_sel:WORD_0 src1_sel:DWORD
	v_mul_u32_u24_sdwa v136, v136, v107 dst_sel:DWORD dst_unused:UNUSED_PAD src0_sel:WORD_1 src1_sel:DWORD
	v_pk_fma_f16 v16, v128, v134, v16
	s_waitcnt lgkmcnt(21)
	v_pk_fma_f16 v17, v137, v237, v17
	v_pk_fma_f16 v18, v137, v135, v18
	v_pk_fma_f16 v19, v138, v237, v19
	s_waitcnt lgkmcnt(17)
	v_mul_u32_u24_sdwa v239, v153, v107 dst_sel:DWORD dst_unused:UNUSED_PAD src0_sel:WORD_0 src1_sel:DWORD
	v_mul_u32_u24_sdwa v153, v153, v107 dst_sel:DWORD dst_unused:UNUSED_PAD src0_sel:WORD_1 src1_sel:DWORD
	v_pk_fma_f16 v16, v138, v135, v16
	v_pk_fma_f16 v17, v139, v238, v17
	v_pk_fma_f16 v18, v139, v136, v18
	v_pk_fma_f16 v19, v140, v238, v19
	v_mul_u32_u24_sdwa v240, v154, v107 dst_sel:DWORD dst_unused:UNUSED_PAD src0_sel:WORD_0 src1_sel:DWORD
	v_mul_u32_u24_sdwa v154, v154, v107 dst_sel:DWORD dst_unused:UNUSED_PAD src0_sel:WORD_1 src1_sel:DWORD
	v_pk_fma_f16 v16, v140, v136, v16
	v_pk_fma_f16 v17, v141, v239, v17
	v_pk_fma_f16 v18, v141, v153, v18
	v_pk_fma_f16 v19, v142, v239, v19
	v_mul_u32_u24_sdwa v241, v155, v107 dst_sel:DWORD dst_unused:UNUSED_PAD src0_sel:WORD_0 src1_sel:DWORD
	v_mul_u32_u24_sdwa v155, v155, v107 dst_sel:DWORD dst_unused:UNUSED_PAD src0_sel:WORD_1 src1_sel:DWORD
	v_pk_fma_f16 v16, v142, v153, v16
	v_pk_fma_f16 v17, v143, v240, v17
	v_pk_fma_f16 v18, v143, v154, v18
	v_pk_fma_f16 v19, v144, v240, v19
	v_mul_u32_u24_sdwa v242, v156, v107 dst_sel:DWORD dst_unused:UNUSED_PAD src0_sel:WORD_0 src1_sel:DWORD
	v_mul_u32_u24_sdwa v156, v156, v107 dst_sel:DWORD dst_unused:UNUSED_PAD src0_sel:WORD_1 src1_sel:DWORD
	v_pk_fma_f16 v16, v144, v154, v16
	v_pk_fma_f16 v17, v145, v241, v17
	v_pk_fma_f16 v18, v145, v155, v18
	v_pk_fma_f16 v19, v146, v241, v19
	s_waitcnt lgkmcnt(16)
	v_mul_u32_u24_sdwa v243, v157, v107 dst_sel:DWORD dst_unused:UNUSED_PAD src0_sel:WORD_0 src1_sel:DWORD
	v_mul_u32_u24_sdwa v157, v157, v107 dst_sel:DWORD dst_unused:UNUSED_PAD src0_sel:WORD_1 src1_sel:DWORD
	v_pk_fma_f16 v16, v146, v155, v16
	v_pk_fma_f16 v17, v147, v242, v17
	v_pk_fma_f16 v18, v147, v156, v18
	v_pk_fma_f16 v19, v148, v242, v19
	v_mul_u32_u24_sdwa v244, v158, v107 dst_sel:DWORD dst_unused:UNUSED_PAD src0_sel:WORD_0 src1_sel:DWORD
	;; [unrolled: 51-line block ×3, first 2 shown]
	v_mul_u32_u24_sdwa v23, v182, v107 dst_sel:DWORD dst_unused:UNUSED_PAD src0_sel:WORD_1 src1_sel:DWORD
	v_pk_fma_f16 v9, v172, v15, v9
	v_pk_fma_f16 v11, v173, v20, v11
	v_pk_fma_f16 v12, v173, v21, v13
	v_pk_fma_f16 v10, v174, v20, v10
	v_mul_u32_u24_sdwa v24, v183, v107 dst_sel:DWORD dst_unused:UNUSED_PAD src0_sel:WORD_0 src1_sel:DWORD
	v_mul_u32_u24_sdwa v25, v183, v107 dst_sel:DWORD dst_unused:UNUSED_PAD src0_sel:WORD_1 src1_sel:DWORD
	v_pk_fma_f16 v9, v174, v21, v9
	v_pk_fma_f16 v11, v175, v22, v11
	v_pk_fma_f16 v12, v175, v23, v12
	v_pk_fma_f16 v10, v176, v22, v10
	v_mul_u32_u24_sdwa v26, v184, v107 dst_sel:DWORD dst_unused:UNUSED_PAD src0_sel:WORD_0 src1_sel:DWORD
	v_mul_u32_u24_sdwa v27, v184, v107 dst_sel:DWORD dst_unused:UNUSED_PAD src0_sel:WORD_1 src1_sel:DWORD
	v_pk_fma_f16 v9, v176, v23, v9
	s_waitcnt lgkmcnt(9)
	v_pk_fma_f16 v11, v185, v24, v11
	v_pk_fma_f16 v12, v185, v25, v12
	v_pk_fma_f16 v10, v186, v24, v10
	s_waitcnt lgkmcnt(5)
	v_mul_u32_u24_sdwa v28, v201, v107 dst_sel:DWORD dst_unused:UNUSED_PAD src0_sel:WORD_0 src1_sel:DWORD
	v_mul_u32_u24_sdwa v29, v201, v107 dst_sel:DWORD dst_unused:UNUSED_PAD src0_sel:WORD_1 src1_sel:DWORD
	v_pk_fma_f16 v9, v186, v25, v9
	v_pk_fma_f16 v11, v187, v26, v11
	v_pk_fma_f16 v12, v187, v27, v12
	v_pk_fma_f16 v10, v188, v26, v10
	v_mul_u32_u24_sdwa v30, v202, v107 dst_sel:DWORD dst_unused:UNUSED_PAD src0_sel:WORD_0 src1_sel:DWORD
	v_mul_u32_u24_sdwa v31, v202, v107 dst_sel:DWORD dst_unused:UNUSED_PAD src0_sel:WORD_1 src1_sel:DWORD
	v_pk_fma_f16 v9, v188, v27, v9
	v_pk_fma_f16 v11, v189, v28, v11
	v_pk_fma_f16 v12, v189, v29, v12
	v_pk_fma_f16 v10, v190, v28, v10
	;; [unrolled: 6-line block ×4, first 2 shown]
	s_waitcnt lgkmcnt(4)
	v_mul_u32_u24_sdwa v17, v205, v107 dst_sel:DWORD dst_unused:UNUSED_PAD src0_sel:WORD_0 src1_sel:DWORD
	v_mul_u32_u24_sdwa v14, v205, v107 dst_sel:DWORD dst_unused:UNUSED_PAD src0_sel:WORD_1 src1_sel:DWORD
	v_pk_fma_f16 v9, v194, v76, v9
	v_pk_fma_f16 v11, v195, v77, v11
	;; [unrolled: 1-line block ×4, first 2 shown]
	ds_read_b128 v[1:4], v80 offset:160
	ds_read_b128 v[5:8], v80 offset:176
	v_mul_u32_u24_sdwa v13, v206, v107 dst_sel:DWORD dst_unused:UNUSED_PAD src0_sel:WORD_0 src1_sel:DWORD
	v_mul_u32_u24_sdwa v15, v206, v107 dst_sel:DWORD dst_unused:UNUSED_PAD src0_sel:WORD_1 src1_sel:DWORD
	v_pk_fma_f16 v9, v196, v18, v9
	v_pk_fma_f16 v11, v197, v17, v11
	;; [unrolled: 1-line block ×4, first 2 shown]
	v_mul_u32_u24_sdwa v16, v207, v107 dst_sel:DWORD dst_unused:UNUSED_PAD src0_sel:WORD_0 src1_sel:DWORD
	v_mul_u32_u24_sdwa v19, v207, v107 dst_sel:DWORD dst_unused:UNUSED_PAD src0_sel:WORD_1 src1_sel:DWORD
	v_pk_fma_f16 v9, v198, v14, v9
	v_pk_fma_f16 v11, v199, v13, v11
	;; [unrolled: 1-line block ×4, first 2 shown]
	v_mul_u32_u24_sdwa v20, v208, v107 dst_sel:DWORD dst_unused:UNUSED_PAD src0_sel:WORD_0 src1_sel:DWORD
	v_mul_u32_u24_sdwa v21, v208, v107 dst_sel:DWORD dst_unused:UNUSED_PAD src0_sel:WORD_1 src1_sel:DWORD
	v_pk_fma_f16 v9, v200, v15, v9
	s_waitcnt lgkmcnt(5)
	v_pk_fma_f16 v11, v209, v16, v11
	v_pk_fma_f16 v12, v209, v19, v12
	;; [unrolled: 1-line block ×3, first 2 shown]
	s_waitcnt lgkmcnt(1)
	v_mul_u32_u24_sdwa v22, v1, v107 dst_sel:DWORD dst_unused:UNUSED_PAD src0_sel:WORD_0 src1_sel:DWORD
	v_mul_u32_u24_sdwa v1, v1, v107 dst_sel:DWORD dst_unused:UNUSED_PAD src0_sel:WORD_1 src1_sel:DWORD
	v_pk_fma_f16 v9, v210, v19, v9
	v_pk_fma_f16 v11, v211, v20, v11
	;; [unrolled: 1-line block ×4, first 2 shown]
	v_mul_u32_u24_sdwa v18, v2, v107 dst_sel:DWORD dst_unused:UNUSED_PAD src0_sel:WORD_0 src1_sel:DWORD
	v_mul_u32_u24_sdwa v2, v2, v107 dst_sel:DWORD dst_unused:UNUSED_PAD src0_sel:WORD_1 src1_sel:DWORD
	v_pk_fma_f16 v9, v212, v21, v9
	v_pk_fma_f16 v11, v213, v22, v11
	v_pk_fma_f16 v12, v213, v1, v12
	v_pk_fma_f16 v10, v214, v22, v10
	v_mul_u32_u24_sdwa v13, v3, v107 dst_sel:DWORD dst_unused:UNUSED_PAD src0_sel:WORD_0 src1_sel:DWORD
	v_mul_u32_u24_sdwa v3, v3, v107 dst_sel:DWORD dst_unused:UNUSED_PAD src0_sel:WORD_1 src1_sel:DWORD
	v_mul_u32_u24_sdwa v14, v4, v107 dst_sel:DWORD dst_unused:UNUSED_PAD src0_sel:WORD_0 src1_sel:DWORD
	v_pk_fma_f16 v1, v214, v1, v9
	v_pk_fma_f16 v9, v215, v18, v11
	v_pk_fma_f16 v11, v215, v2, v12
	v_mul_u32_u24_sdwa v12, v4, v107 dst_sel:DWORD dst_unused:UNUSED_PAD src0_sel:WORD_1 src1_sel:DWORD
	v_pk_fma_f16 v4, v216, v18, v10
	v_pk_fma_f16 v1, v216, v2, v1
	;; [unrolled: 1-line block ×4, first 2 shown]
	s_waitcnt lgkmcnt(0)
	v_mul_u32_u24_sdwa v15, v5, v107 dst_sel:DWORD dst_unused:UNUSED_PAD src0_sel:WORD_0 src1_sel:DWORD
	v_pk_fma_f16 v10, v218, v13, v4
	v_pk_fma_f16 v11, v218, v3, v1
	;; [unrolled: 1-line block ×4, first 2 shown]
	v_mul_u32_u24_sdwa v5, v5, v107 dst_sel:DWORD dst_unused:UNUSED_PAD src0_sel:WORD_1 src1_sel:DWORD
	ds_read2_b64 v[1:4], v121 offset0:192 offset1:224
	v_pk_fma_f16 v10, v220, v14, v10
	v_pk_fma_f16 v14, v220, v12, v11
	;; [unrolled: 1-line block ×4, first 2 shown]
	v_mul_u32_u24_sdwa v18, v6, v107 dst_sel:DWORD dst_unused:UNUSED_PAD src0_sel:WORD_0 src1_sel:DWORD
	v_pk_fma_f16 v17, v222, v15, v10
	v_mul_u32_u24_sdwa v6, v6, v107 dst_sel:DWORD dst_unused:UNUSED_PAD src0_sel:WORD_1 src1_sel:DWORD
	ds_read_b128 v[9:12], v80 offset:192
	v_add_nc_u32_e32 v21, 0x3000, v74
	v_pk_fma_f16 v5, v222, v5, v14
	v_pk_fma_f16 v19, v223, v18, v13
	;; [unrolled: 1-line block ×3, first 2 shown]
	v_mul_u32_u24_sdwa v22, v7, v107 dst_sel:DWORD dst_unused:UNUSED_PAD src0_sel:WORD_0 src1_sel:DWORD
	ds_read2_b64 v[13:16], v21 offset1:32
	v_mul_u32_u24_sdwa v7, v7, v107 dst_sel:DWORD dst_unused:UNUSED_PAD src0_sel:WORD_1 src1_sel:DWORD
	v_pk_fma_f16 v17, v224, v18, v17
	v_pk_fma_f16 v5, v224, v6, v5
	v_mul_u32_u24_sdwa v23, v8, v107 dst_sel:DWORD dst_unused:UNUSED_PAD src0_sel:WORD_0 src1_sel:DWORD
	v_mul_u32_u24_sdwa v24, v8, v107 dst_sel:DWORD dst_unused:UNUSED_PAD src0_sel:WORD_1 src1_sel:DWORD
	s_waitcnt lgkmcnt(2)
	v_pk_fma_f16 v6, v1, v22, v19
	v_pk_fma_f16 v1, v1, v7, v20
	;; [unrolled: 1-line block ×4, first 2 shown]
	ds_read2_b64 v[17:20], v21 offset0:64 offset1:96
	v_pk_fma_f16 v25, v3, v23, v6
	v_pk_fma_f16 v1, v3, v24, v1
	ds_read_b128 v[5:8], v80 offset:208
	s_waitcnt lgkmcnt(3)
	v_mul_u32_u24_sdwa v3, v9, v107 dst_sel:DWORD dst_unused:UNUSED_PAD src0_sel:WORD_0 src1_sel:DWORD
	v_mul_u32_u24_sdwa v9, v9, v107 dst_sel:DWORD dst_unused:UNUSED_PAD src0_sel:WORD_1 src1_sel:DWORD
	v_pk_fma_f16 v22, v4, v23, v22
	v_pk_fma_f16 v2, v4, v24, v2
	v_mul_u32_u24_sdwa v23, v11, v107 dst_sel:DWORD dst_unused:UNUSED_PAD src0_sel:WORD_0 src1_sel:DWORD
	v_mul_u32_u24_sdwa v11, v11, v107 dst_sel:DWORD dst_unused:UNUSED_PAD src0_sel:WORD_1 src1_sel:DWORD
	s_waitcnt lgkmcnt(2)
	v_pk_fma_f16 v4, v13, v3, v25
	v_pk_fma_f16 v1, v13, v9, v1
	v_mul_u32_u24_sdwa v13, v10, v107 dst_sel:DWORD dst_unused:UNUSED_PAD src0_sel:WORD_0 src1_sel:DWORD
	v_mul_u32_u24_sdwa v10, v10, v107 dst_sel:DWORD dst_unused:UNUSED_PAD src0_sel:WORD_1 src1_sel:DWORD
	v_pk_fma_f16 v22, v14, v3, v22
	v_pk_fma_f16 v9, v14, v9, v2
	;; [unrolled: 1-line block ×4, first 2 shown]
	ds_read2_b64 v[1:4], v21 offset0:128 offset1:160
	v_pk_fma_f16 v13, v16, v13, v22
	v_pk_fma_f16 v9, v16, v10, v9
	s_waitcnt lgkmcnt(2)
	v_pk_fma_f16 v10, v17, v23, v14
	v_pk_fma_f16 v14, v17, v11, v15
	v_mul_u32_u24_sdwa v15, v12, v107 dst_sel:DWORD dst_unused:UNUSED_PAD src0_sel:WORD_0 src1_sel:DWORD
	v_mul_u32_u24_sdwa v16, v12, v107 dst_sel:DWORD dst_unused:UNUSED_PAD src0_sel:WORD_1 src1_sel:DWORD
	v_pk_fma_f16 v13, v18, v23, v13
	v_pk_fma_f16 v17, v18, v11, v9
	s_waitcnt lgkmcnt(1)
	v_mul_u32_u24_sdwa v22, v6, v107 dst_sel:DWORD dst_unused:UNUSED_PAD src0_sel:WORD_0 src1_sel:DWORD
	v_pk_fma_f16 v18, v19, v15, v10
	v_pk_fma_f16 v14, v19, v16, v14
	v_mul_u32_u24_sdwa v19, v5, v107 dst_sel:DWORD dst_unused:UNUSED_PAD src0_sel:WORD_0 src1_sel:DWORD
	v_mul_u32_u24_sdwa v5, v5, v107 dst_sel:DWORD dst_unused:UNUSED_PAD src0_sel:WORD_1 src1_sel:DWORD
	ds_read2_b64 v[9:12], v21 offset0:192 offset1:224
	v_pk_fma_f16 v13, v20, v15, v13
	v_pk_fma_f16 v17, v20, v16, v17
	v_add_nc_u32_e32 v23, 0x3800, v74
	v_mul_u32_u24_sdwa v6, v6, v107 dst_sel:DWORD dst_unused:UNUSED_PAD src0_sel:WORD_1 src1_sel:DWORD
	s_waitcnt lgkmcnt(1)
	v_pk_fma_f16 v18, v1, v19, v18
	v_pk_fma_f16 v1, v1, v5, v14
	;; [unrolled: 1-line block ×3, first 2 shown]
	ds_read_b128 v[13:16], v80 offset:224
	v_pk_fma_f16 v2, v2, v5, v17
	v_pk_fma_f16 v5, v3, v22, v18
	ds_read2_b64 v[17:20], v23 offset1:32
	v_pk_fma_f16 v1, v3, v6, v1
	v_mul_u32_u24_sdwa v3, v7, v107 dst_sel:DWORD dst_unused:UNUSED_PAD src0_sel:WORD_0 src1_sel:DWORD
	v_mul_u32_u24_sdwa v7, v7, v107 dst_sel:DWORD dst_unused:UNUSED_PAD src0_sel:WORD_1 src1_sel:DWORD
	v_pk_fma_f16 v21, v4, v22, v21
	v_pk_fma_f16 v2, v4, v6, v2
	v_mul_u32_u24_sdwa v22, v8, v107 dst_sel:DWORD dst_unused:UNUSED_PAD src0_sel:WORD_1 src1_sel:DWORD
	s_waitcnt lgkmcnt(2)
	v_pk_fma_f16 v4, v9, v3, v5
	v_pk_fma_f16 v1, v9, v7, v1
	v_mul_u32_u24_sdwa v9, v8, v107 dst_sel:DWORD dst_unused:UNUSED_PAD src0_sel:WORD_0 src1_sel:DWORD
	v_pk_fma_f16 v21, v10, v3, v21
	v_pk_fma_f16 v10, v10, v7, v2
	ds_read2_b64 v[5:8], v23 offset0:64 offset1:96
	v_pk_fma_f16 v24, v11, v9, v4
	v_pk_fma_f16 v11, v11, v22, v1
	ds_read_b128 v[1:4], v80 offset:240
	s_waitcnt lgkmcnt(3)
	v_mul_u32_u24_sdwa v25, v13, v107 dst_sel:DWORD dst_unused:UNUSED_PAD src0_sel:WORD_0 src1_sel:DWORD
	v_mul_u32_u24_sdwa v13, v13, v107 dst_sel:DWORD dst_unused:UNUSED_PAD src0_sel:WORD_1 src1_sel:DWORD
	v_pk_fma_f16 v9, v12, v9, v21
	v_pk_fma_f16 v10, v12, v22, v10
	v_mul_u32_u24_sdwa v22, v15, v107 dst_sel:DWORD dst_unused:UNUSED_PAD src0_sel:WORD_0 src1_sel:DWORD
	s_waitcnt lgkmcnt(2)
	v_pk_fma_f16 v12, v17, v25, v24
	v_pk_fma_f16 v11, v17, v13, v11
	v_mul_u32_u24_sdwa v17, v14, v107 dst_sel:DWORD dst_unused:UNUSED_PAD src0_sel:WORD_0 src1_sel:DWORD
	v_mul_u32_u24_sdwa v14, v14, v107 dst_sel:DWORD dst_unused:UNUSED_PAD src0_sel:WORD_1 src1_sel:DWORD
	v_pk_fma_f16 v21, v18, v25, v9
	v_pk_fma_f16 v13, v18, v13, v10
	v_mul_u32_u24_sdwa v15, v15, v107 dst_sel:DWORD dst_unused:UNUSED_PAD src0_sel:WORD_1 src1_sel:DWORD
	v_pk_fma_f16 v18, v19, v17, v12
	v_pk_fma_f16 v19, v19, v14, v11
	ds_read2_b64 v[9:12], v23 offset0:128 offset1:160
	v_pk_fma_f16 v17, v20, v17, v21
	v_pk_fma_f16 v13, v20, v14, v13
	s_waitcnt lgkmcnt(2)
	v_pk_fma_f16 v14, v5, v22, v18
	v_pk_fma_f16 v5, v5, v15, v19
	v_mul_u32_u24_sdwa v18, v16, v107 dst_sel:DWORD dst_unused:UNUSED_PAD src0_sel:WORD_0 src1_sel:DWORD
	v_mul_u32_u24_sdwa v19, v16, v107 dst_sel:DWORD dst_unused:UNUSED_PAD src0_sel:WORD_1 src1_sel:DWORD
	v_pk_fma_f16 v17, v6, v22, v17
	v_pk_fma_f16 v6, v6, v15, v13
	s_waitcnt lgkmcnt(1)
	v_mul_u32_u24_sdwa v22, v2, v107 dst_sel:DWORD dst_unused:UNUSED_PAD src0_sel:WORD_0 src1_sel:DWORD
	v_pk_fma_f16 v20, v7, v18, v14
	v_pk_fma_f16 v5, v7, v19, v5
	v_mul_u32_u24_sdwa v7, v1, v107 dst_sel:DWORD dst_unused:UNUSED_PAD src0_sel:WORD_0 src1_sel:DWORD
	v_mul_u32_u24_sdwa v1, v1, v107 dst_sel:DWORD dst_unused:UNUSED_PAD src0_sel:WORD_1 src1_sel:DWORD
	ds_read2_b64 v[13:16], v23 offset0:192 offset1:224
	v_pk_fma_f16 v17, v8, v18, v17
	v_pk_fma_f16 v18, v8, v19, v6
	v_add_nc_u32_e32 v23, 0x4000, v74
	v_mul_u32_u24_sdwa v2, v2, v107 dst_sel:DWORD dst_unused:UNUSED_PAD src0_sel:WORD_1 src1_sel:DWORD
	s_waitcnt lgkmcnt(1)
	v_pk_fma_f16 v19, v9, v7, v20
	v_pk_fma_f16 v9, v9, v1, v5
	;; [unrolled: 1-line block ×3, first 2 shown]
	ds_read_b128 v[5:8], v80 offset:256
	v_pk_fma_f16 v1, v10, v1, v18
	v_pk_fma_f16 v10, v11, v22, v19
	ds_read2_b64 v[17:20], v23 offset1:32
	v_pk_fma_f16 v9, v11, v2, v9
	v_mul_u32_u24_sdwa v11, v3, v107 dst_sel:DWORD dst_unused:UNUSED_PAD src0_sel:WORD_0 src1_sel:DWORD
	v_mul_u32_u24_sdwa v3, v3, v107 dst_sel:DWORD dst_unused:UNUSED_PAD src0_sel:WORD_1 src1_sel:DWORD
	v_pk_fma_f16 v21, v12, v22, v21
	v_pk_fma_f16 v1, v12, v2, v1
	v_mul_u32_u24_sdwa v22, v4, v107 dst_sel:DWORD dst_unused:UNUSED_PAD src0_sel:WORD_1 src1_sel:DWORD
	s_waitcnt lgkmcnt(2)
	v_pk_fma_f16 v2, v13, v11, v10
	v_pk_fma_f16 v9, v13, v3, v9
	v_mul_u32_u24_sdwa v13, v4, v107 dst_sel:DWORD dst_unused:UNUSED_PAD src0_sel:WORD_0 src1_sel:DWORD
	v_pk_fma_f16 v21, v14, v11, v21
	v_pk_fma_f16 v14, v14, v3, v1
	;; [unrolled: 1-line block ×4, first 2 shown]
	ds_read_b128 v[1:4], v80 offset:272
	s_waitcnt lgkmcnt(2)
	v_mul_u32_u24_sdwa v25, v5, v107 dst_sel:DWORD dst_unused:UNUSED_PAD src0_sel:WORD_0 src1_sel:DWORD
	ds_read2_b64 v[9:12], v23 offset0:64 offset1:96
	v_mul_u32_u24_sdwa v5, v5, v107 dst_sel:DWORD dst_unused:UNUSED_PAD src0_sel:WORD_1 src1_sel:DWORD
	v_pk_fma_f16 v13, v16, v13, v21
	v_pk_fma_f16 v14, v16, v22, v14
	s_waitcnt lgkmcnt(2)
	v_pk_fma_f16 v16, v17, v25, v24
	v_mul_u32_u24_sdwa v22, v7, v107 dst_sel:DWORD dst_unused:UNUSED_PAD src0_sel:WORD_0 src1_sel:DWORD
	v_pk_fma_f16 v15, v17, v5, v15
	v_mul_u32_u24_sdwa v17, v6, v107 dst_sel:DWORD dst_unused:UNUSED_PAD src0_sel:WORD_0 src1_sel:DWORD
	v_mul_u32_u24_sdwa v6, v6, v107 dst_sel:DWORD dst_unused:UNUSED_PAD src0_sel:WORD_1 src1_sel:DWORD
	v_pk_fma_f16 v21, v18, v25, v13
	v_pk_fma_f16 v5, v18, v5, v14
	v_mul_u32_u24_sdwa v7, v7, v107 dst_sel:DWORD dst_unused:UNUSED_PAD src0_sel:WORD_1 src1_sel:DWORD
	v_pk_fma_f16 v18, v19, v17, v16
	v_pk_fma_f16 v19, v19, v6, v15
	ds_read2_b64 v[13:16], v23 offset0:128 offset1:160
	v_pk_fma_f16 v17, v20, v17, v21
	v_pk_fma_f16 v5, v20, v6, v5
	s_waitcnt lgkmcnt(2)
	v_mul_u32_u24_sdwa v24, v4, v107 dst_sel:DWORD dst_unused:UNUSED_PAD src0_sel:WORD_1 src1_sel:DWORD
	s_waitcnt lgkmcnt(1)
	v_pk_fma_f16 v6, v9, v22, v18
	v_pk_fma_f16 v9, v9, v7, v19
	v_mul_u32_u24_sdwa v18, v8, v107 dst_sel:DWORD dst_unused:UNUSED_PAD src0_sel:WORD_0 src1_sel:DWORD
	v_mul_u32_u24_sdwa v19, v8, v107 dst_sel:DWORD dst_unused:UNUSED_PAD src0_sel:WORD_1 src1_sel:DWORD
	v_pk_fma_f16 v17, v10, v22, v17
	v_pk_fma_f16 v10, v10, v7, v5
	v_mul_u32_u24_sdwa v22, v2, v107 dst_sel:DWORD dst_unused:UNUSED_PAD src0_sel:WORD_0 src1_sel:DWORD
	v_pk_fma_f16 v20, v11, v18, v6
	v_pk_fma_f16 v9, v11, v19, v9
	v_mul_u32_u24_sdwa v11, v1, v107 dst_sel:DWORD dst_unused:UNUSED_PAD src0_sel:WORD_0 src1_sel:DWORD
	v_mul_u32_u24_sdwa v1, v1, v107 dst_sel:DWORD dst_unused:UNUSED_PAD src0_sel:WORD_1 src1_sel:DWORD
	ds_read2_b64 v[5:8], v23 offset0:192 offset1:224
	v_pk_fma_f16 v17, v12, v18, v17
	v_pk_fma_f16 v18, v12, v19, v10
	s_waitcnt lgkmcnt(1)
	v_pk_fma_f16 v19, v13, v11, v20
	v_pk_fma_f16 v13, v13, v1, v9
	v_add_nc_u32_e32 v23, 0x4800, v74
	v_pk_fma_f16 v21, v14, v11, v17
	ds_read_b128 v[9:12], v80 offset:288
	v_mul_u32_u24_sdwa v2, v2, v107 dst_sel:DWORD dst_unused:UNUSED_PAD src0_sel:WORD_1 src1_sel:DWORD
	v_pk_fma_f16 v1, v14, v1, v18
	v_pk_fma_f16 v14, v15, v22, v19
	ds_read2_b64 v[17:20], v23 offset1:32
	v_pk_fma_f16 v21, v16, v22, v21
	v_pk_fma_f16 v13, v15, v2, v13
	v_mul_u32_u24_sdwa v15, v3, v107 dst_sel:DWORD dst_unused:UNUSED_PAD src0_sel:WORD_0 src1_sel:DWORD
	v_mul_u32_u24_sdwa v3, v3, v107 dst_sel:DWORD dst_unused:UNUSED_PAD src0_sel:WORD_1 src1_sel:DWORD
	v_pk_fma_f16 v1, v16, v2, v1
	v_mul_u32_u24_sdwa v22, v4, v107 dst_sel:DWORD dst_unused:UNUSED_PAD src0_sel:WORD_0 src1_sel:DWORD
	s_waitcnt lgkmcnt(2)
	v_pk_fma_f16 v2, v5, v15, v14
	v_pk_fma_f16 v5, v5, v3, v13
	;; [unrolled: 1-line block ×4, first 2 shown]
	ds_read2_b64 v[13:16], v23 offset0:64 offset1:96
	v_pk_fma_f16 v25, v7, v22, v2
	v_pk_fma_f16 v5, v7, v24, v5
	ds_read_b128 v[1:4], v80 offset:304
	s_waitcnt lgkmcnt(3)
	v_mul_u32_u24_sdwa v7, v9, v107 dst_sel:DWORD dst_unused:UNUSED_PAD src0_sel:WORD_0 src1_sel:DWORD
	v_mul_u32_u24_sdwa v9, v9, v107 dst_sel:DWORD dst_unused:UNUSED_PAD src0_sel:WORD_1 src1_sel:DWORD
	v_pk_fma_f16 v21, v8, v22, v21
	v_pk_fma_f16 v6, v8, v24, v6
	v_mul_u32_u24_sdwa v22, v11, v107 dst_sel:DWORD dst_unused:UNUSED_PAD src0_sel:WORD_0 src1_sel:DWORD
	s_waitcnt lgkmcnt(2)
	v_pk_fma_f16 v8, v17, v7, v25
	v_pk_fma_f16 v5, v17, v9, v5
	v_mul_u32_u24_sdwa v17, v10, v107 dst_sel:DWORD dst_unused:UNUSED_PAD src0_sel:WORD_0 src1_sel:DWORD
	v_mul_u32_u24_sdwa v10, v10, v107 dst_sel:DWORD dst_unused:UNUSED_PAD src0_sel:WORD_1 src1_sel:DWORD
	v_pk_fma_f16 v21, v18, v7, v21
	v_pk_fma_f16 v9, v18, v9, v6
	v_mul_u32_u24_sdwa v11, v11, v107 dst_sel:DWORD dst_unused:UNUSED_PAD src0_sel:WORD_1 src1_sel:DWORD
	v_pk_fma_f16 v18, v19, v17, v8
	v_pk_fma_f16 v19, v19, v10, v5
	ds_read2_b64 v[5:8], v23 offset0:128 offset1:160
	v_pk_fma_f16 v17, v20, v17, v21
	v_pk_fma_f16 v9, v20, v10, v9
	s_waitcnt lgkmcnt(2)
	v_pk_fma_f16 v10, v13, v22, v18
	v_pk_fma_f16 v13, v13, v11, v19
	v_mul_u32_u24_sdwa v18, v12, v107 dst_sel:DWORD dst_unused:UNUSED_PAD src0_sel:WORD_0 src1_sel:DWORD
	v_mul_u32_u24_sdwa v19, v12, v107 dst_sel:DWORD dst_unused:UNUSED_PAD src0_sel:WORD_1 src1_sel:DWORD
	v_pk_fma_f16 v17, v14, v22, v17
	v_pk_fma_f16 v14, v14, v11, v9
	s_waitcnt lgkmcnt(1)
	v_mul_u32_u24_sdwa v22, v2, v107 dst_sel:DWORD dst_unused:UNUSED_PAD src0_sel:WORD_0 src1_sel:DWORD
	v_pk_fma_f16 v20, v15, v18, v10
	v_pk_fma_f16 v13, v15, v19, v13
	v_mul_u32_u24_sdwa v15, v1, v107 dst_sel:DWORD dst_unused:UNUSED_PAD src0_sel:WORD_0 src1_sel:DWORD
	v_mul_u32_u24_sdwa v1, v1, v107 dst_sel:DWORD dst_unused:UNUSED_PAD src0_sel:WORD_1 src1_sel:DWORD
	ds_read2_b64 v[9:12], v23 offset0:192 offset1:224
	v_pk_fma_f16 v17, v16, v18, v17
	v_pk_fma_f16 v18, v16, v19, v14
	v_add_nc_u32_e32 v23, 0x5000, v74
	v_mul_u32_u24_sdwa v2, v2, v107 dst_sel:DWORD dst_unused:UNUSED_PAD src0_sel:WORD_1 src1_sel:DWORD
	s_waitcnt lgkmcnt(1)
	v_pk_fma_f16 v19, v5, v15, v20
	v_pk_fma_f16 v5, v5, v1, v13
	v_pk_fma_f16 v21, v6, v15, v17
	ds_read_b128 v[13:16], v80 offset:320
	v_pk_fma_f16 v1, v6, v1, v18
	v_pk_fma_f16 v6, v7, v22, v19
	ds_read2_b64 v[17:20], v23 offset1:32
	v_pk_fma_f16 v5, v7, v2, v5
	v_mul_u32_u24_sdwa v7, v3, v107 dst_sel:DWORD dst_unused:UNUSED_PAD src0_sel:WORD_0 src1_sel:DWORD
	v_mul_u32_u24_sdwa v3, v3, v107 dst_sel:DWORD dst_unused:UNUSED_PAD src0_sel:WORD_1 src1_sel:DWORD
	v_pk_fma_f16 v21, v8, v22, v21
	v_pk_fma_f16 v1, v8, v2, v1
	v_mul_u32_u24_sdwa v22, v4, v107 dst_sel:DWORD dst_unused:UNUSED_PAD src0_sel:WORD_1 src1_sel:DWORD
	s_waitcnt lgkmcnt(2)
	v_pk_fma_f16 v2, v9, v7, v6
	v_pk_fma_f16 v5, v9, v3, v5
	v_mul_u32_u24_sdwa v9, v4, v107 dst_sel:DWORD dst_unused:UNUSED_PAD src0_sel:WORD_0 src1_sel:DWORD
	v_pk_fma_f16 v21, v10, v7, v21
	v_pk_fma_f16 v10, v10, v3, v1
	;; [unrolled: 1-line block ×4, first 2 shown]
	ds_read_b128 v[1:4], v80 offset:336
	s_waitcnt lgkmcnt(2)
	v_mul_u32_u24_sdwa v25, v13, v107 dst_sel:DWORD dst_unused:UNUSED_PAD src0_sel:WORD_0 src1_sel:DWORD
	ds_read2_b64 v[5:8], v23 offset0:64 offset1:96
	v_mul_u32_u24_sdwa v13, v13, v107 dst_sel:DWORD dst_unused:UNUSED_PAD src0_sel:WORD_1 src1_sel:DWORD
	v_pk_fma_f16 v9, v12, v9, v21
	v_pk_fma_f16 v10, v12, v22, v10
	s_waitcnt lgkmcnt(2)
	v_pk_fma_f16 v12, v17, v25, v24
	v_mul_u32_u24_sdwa v22, v15, v107 dst_sel:DWORD dst_unused:UNUSED_PAD src0_sel:WORD_0 src1_sel:DWORD
	v_pk_fma_f16 v11, v17, v13, v11
	v_mul_u32_u24_sdwa v17, v14, v107 dst_sel:DWORD dst_unused:UNUSED_PAD src0_sel:WORD_0 src1_sel:DWORD
	v_mul_u32_u24_sdwa v14, v14, v107 dst_sel:DWORD dst_unused:UNUSED_PAD src0_sel:WORD_1 src1_sel:DWORD
	v_pk_fma_f16 v21, v18, v25, v9
	v_pk_fma_f16 v13, v18, v13, v10
	v_mul_u32_u24_sdwa v15, v15, v107 dst_sel:DWORD dst_unused:UNUSED_PAD src0_sel:WORD_1 src1_sel:DWORD
	v_pk_fma_f16 v18, v19, v17, v12
	v_pk_fma_f16 v19, v19, v14, v11
	ds_read2_b64 v[9:12], v23 offset0:128 offset1:160
	v_pk_fma_f16 v17, v20, v17, v21
	v_pk_fma_f16 v13, v20, v14, v13
	s_waitcnt lgkmcnt(1)
	v_pk_fma_f16 v14, v5, v22, v18
	v_pk_fma_f16 v5, v5, v15, v19
	v_mul_u32_u24_sdwa v18, v16, v107 dst_sel:DWORD dst_unused:UNUSED_PAD src0_sel:WORD_0 src1_sel:DWORD
	v_mul_u32_u24_sdwa v19, v16, v107 dst_sel:DWORD dst_unused:UNUSED_PAD src0_sel:WORD_1 src1_sel:DWORD
	v_pk_fma_f16 v17, v6, v22, v17
	v_pk_fma_f16 v6, v6, v15, v13
	v_mul_u32_u24_sdwa v22, v2, v107 dst_sel:DWORD dst_unused:UNUSED_PAD src0_sel:WORD_0 src1_sel:DWORD
	v_pk_fma_f16 v20, v7, v18, v14
	v_pk_fma_f16 v5, v7, v19, v5
	v_mul_u32_u24_sdwa v7, v1, v107 dst_sel:DWORD dst_unused:UNUSED_PAD src0_sel:WORD_0 src1_sel:DWORD
	v_mul_u32_u24_sdwa v1, v1, v107 dst_sel:DWORD dst_unused:UNUSED_PAD src0_sel:WORD_1 src1_sel:DWORD
	ds_read2_b64 v[13:16], v23 offset0:192 offset1:224
	v_pk_fma_f16 v17, v8, v18, v17
	v_pk_fma_f16 v18, v8, v19, v6
	s_waitcnt lgkmcnt(1)
	v_pk_fma_f16 v19, v9, v7, v20
	v_pk_fma_f16 v9, v9, v1, v5
	v_add_nc_u32_e32 v23, 0x5800, v74
	v_pk_fma_f16 v21, v10, v7, v17
	ds_read_b128 v[5:8], v80 offset:352
	v_mul_u32_u24_sdwa v2, v2, v107 dst_sel:DWORD dst_unused:UNUSED_PAD src0_sel:WORD_1 src1_sel:DWORD
	v_pk_fma_f16 v1, v10, v1, v18
	v_pk_fma_f16 v10, v11, v22, v19
	ds_read2_b64 v[17:20], v23 offset1:32
	v_pk_fma_f16 v21, v12, v22, v21
	v_pk_fma_f16 v9, v11, v2, v9
	v_mul_u32_u24_sdwa v11, v3, v107 dst_sel:DWORD dst_unused:UNUSED_PAD src0_sel:WORD_0 src1_sel:DWORD
	v_mul_u32_u24_sdwa v3, v3, v107 dst_sel:DWORD dst_unused:UNUSED_PAD src0_sel:WORD_1 src1_sel:DWORD
	v_pk_fma_f16 v1, v12, v2, v1
	v_mul_u32_u24_sdwa v22, v4, v107 dst_sel:DWORD dst_unused:UNUSED_PAD src0_sel:WORD_1 src1_sel:DWORD
	s_waitcnt lgkmcnt(2)
	v_pk_fma_f16 v2, v13, v11, v10
	v_pk_fma_f16 v9, v13, v3, v9
	v_mul_u32_u24_sdwa v13, v4, v107 dst_sel:DWORD dst_unused:UNUSED_PAD src0_sel:WORD_0 src1_sel:DWORD
	v_pk_fma_f16 v21, v14, v11, v21
	v_pk_fma_f16 v14, v14, v3, v1
	;; [unrolled: 1-line block ×4, first 2 shown]
	ds_read_b128 v[1:4], v80 offset:368
	s_waitcnt lgkmcnt(2)
	v_mul_u32_u24_sdwa v25, v5, v107 dst_sel:DWORD dst_unused:UNUSED_PAD src0_sel:WORD_0 src1_sel:DWORD
	ds_read2_b64 v[9:12], v23 offset0:64 offset1:96
	v_mul_u32_u24_sdwa v5, v5, v107 dst_sel:DWORD dst_unused:UNUSED_PAD src0_sel:WORD_1 src1_sel:DWORD
	v_pk_fma_f16 v13, v16, v13, v21
	v_pk_fma_f16 v14, v16, v22, v14
	s_waitcnt lgkmcnt(2)
	v_pk_fma_f16 v16, v17, v25, v24
	v_mul_u32_u24_sdwa v22, v7, v107 dst_sel:DWORD dst_unused:UNUSED_PAD src0_sel:WORD_0 src1_sel:DWORD
	v_pk_fma_f16 v15, v17, v5, v15
	v_mul_u32_u24_sdwa v17, v6, v107 dst_sel:DWORD dst_unused:UNUSED_PAD src0_sel:WORD_0 src1_sel:DWORD
	v_mul_u32_u24_sdwa v6, v6, v107 dst_sel:DWORD dst_unused:UNUSED_PAD src0_sel:WORD_1 src1_sel:DWORD
	v_pk_fma_f16 v21, v18, v25, v13
	v_pk_fma_f16 v5, v18, v5, v14
	v_mul_u32_u24_sdwa v7, v7, v107 dst_sel:DWORD dst_unused:UNUSED_PAD src0_sel:WORD_1 src1_sel:DWORD
	v_pk_fma_f16 v18, v19, v17, v16
	v_pk_fma_f16 v19, v19, v6, v15
	ds_read2_b64 v[13:16], v23 offset0:128 offset1:160
	v_pk_fma_f16 v17, v20, v17, v21
	v_pk_fma_f16 v5, v20, v6, v5
	s_waitcnt lgkmcnt(2)
	v_mul_u32_u24_sdwa v24, v4, v107 dst_sel:DWORD dst_unused:UNUSED_PAD src0_sel:WORD_1 src1_sel:DWORD
	s_waitcnt lgkmcnt(1)
	v_pk_fma_f16 v6, v9, v22, v18
	v_pk_fma_f16 v9, v9, v7, v19
	v_mul_u32_u24_sdwa v18, v8, v107 dst_sel:DWORD dst_unused:UNUSED_PAD src0_sel:WORD_0 src1_sel:DWORD
	v_mul_u32_u24_sdwa v19, v8, v107 dst_sel:DWORD dst_unused:UNUSED_PAD src0_sel:WORD_1 src1_sel:DWORD
	v_pk_fma_f16 v17, v10, v22, v17
	v_pk_fma_f16 v10, v10, v7, v5
	v_mul_u32_u24_sdwa v22, v2, v107 dst_sel:DWORD dst_unused:UNUSED_PAD src0_sel:WORD_0 src1_sel:DWORD
	v_pk_fma_f16 v20, v11, v18, v6
	v_pk_fma_f16 v9, v11, v19, v9
	v_mul_u32_u24_sdwa v11, v1, v107 dst_sel:DWORD dst_unused:UNUSED_PAD src0_sel:WORD_0 src1_sel:DWORD
	v_mul_u32_u24_sdwa v1, v1, v107 dst_sel:DWORD dst_unused:UNUSED_PAD src0_sel:WORD_1 src1_sel:DWORD
	ds_read2_b64 v[5:8], v23 offset0:192 offset1:224
	v_pk_fma_f16 v17, v12, v18, v17
	v_pk_fma_f16 v18, v12, v19, v10
	s_waitcnt lgkmcnt(1)
	v_pk_fma_f16 v19, v13, v11, v20
	v_pk_fma_f16 v13, v13, v1, v9
	v_add_nc_u32_e32 v23, 0x6000, v74
	v_pk_fma_f16 v21, v14, v11, v17
	ds_read_b128 v[9:12], v80 offset:384
	v_mul_u32_u24_sdwa v2, v2, v107 dst_sel:DWORD dst_unused:UNUSED_PAD src0_sel:WORD_1 src1_sel:DWORD
	v_pk_fma_f16 v1, v14, v1, v18
	v_pk_fma_f16 v14, v15, v22, v19
	ds_read2_b64 v[17:20], v23 offset1:32
	v_pk_fma_f16 v21, v16, v22, v21
	v_pk_fma_f16 v13, v15, v2, v13
	v_mul_u32_u24_sdwa v15, v3, v107 dst_sel:DWORD dst_unused:UNUSED_PAD src0_sel:WORD_0 src1_sel:DWORD
	v_mul_u32_u24_sdwa v3, v3, v107 dst_sel:DWORD dst_unused:UNUSED_PAD src0_sel:WORD_1 src1_sel:DWORD
	v_pk_fma_f16 v1, v16, v2, v1
	v_mul_u32_u24_sdwa v22, v4, v107 dst_sel:DWORD dst_unused:UNUSED_PAD src0_sel:WORD_0 src1_sel:DWORD
	s_waitcnt lgkmcnt(2)
	v_pk_fma_f16 v2, v5, v15, v14
	v_pk_fma_f16 v5, v5, v3, v13
	v_pk_fma_f16 v21, v6, v15, v21
	v_pk_fma_f16 v6, v6, v3, v1
	ds_read2_b64 v[13:16], v23 offset0:64 offset1:96
	v_pk_fma_f16 v25, v7, v22, v2
	v_pk_fma_f16 v5, v7, v24, v5
	ds_read_b128 v[1:4], v80 offset:400
	s_waitcnt lgkmcnt(3)
	v_mul_u32_u24_sdwa v7, v9, v107 dst_sel:DWORD dst_unused:UNUSED_PAD src0_sel:WORD_0 src1_sel:DWORD
	v_mul_u32_u24_sdwa v9, v9, v107 dst_sel:DWORD dst_unused:UNUSED_PAD src0_sel:WORD_1 src1_sel:DWORD
	v_pk_fma_f16 v21, v8, v22, v21
	v_pk_fma_f16 v6, v8, v24, v6
	v_mul_u32_u24_sdwa v22, v11, v107 dst_sel:DWORD dst_unused:UNUSED_PAD src0_sel:WORD_0 src1_sel:DWORD
	s_waitcnt lgkmcnt(2)
	v_pk_fma_f16 v8, v17, v7, v25
	v_pk_fma_f16 v5, v17, v9, v5
	v_mul_u32_u24_sdwa v17, v10, v107 dst_sel:DWORD dst_unused:UNUSED_PAD src0_sel:WORD_0 src1_sel:DWORD
	v_mul_u32_u24_sdwa v10, v10, v107 dst_sel:DWORD dst_unused:UNUSED_PAD src0_sel:WORD_1 src1_sel:DWORD
	v_pk_fma_f16 v21, v18, v7, v21
	v_pk_fma_f16 v9, v18, v9, v6
	v_mul_u32_u24_sdwa v11, v11, v107 dst_sel:DWORD dst_unused:UNUSED_PAD src0_sel:WORD_1 src1_sel:DWORD
	v_pk_fma_f16 v18, v19, v17, v8
	v_pk_fma_f16 v19, v19, v10, v5
	ds_read2_b64 v[5:8], v23 offset0:128 offset1:160
	v_pk_fma_f16 v17, v20, v17, v21
	v_pk_fma_f16 v9, v20, v10, v9
	s_waitcnt lgkmcnt(2)
	v_pk_fma_f16 v10, v13, v22, v18
	v_pk_fma_f16 v13, v13, v11, v19
	v_mul_u32_u24_sdwa v18, v12, v107 dst_sel:DWORD dst_unused:UNUSED_PAD src0_sel:WORD_0 src1_sel:DWORD
	v_mul_u32_u24_sdwa v19, v12, v107 dst_sel:DWORD dst_unused:UNUSED_PAD src0_sel:WORD_1 src1_sel:DWORD
	v_pk_fma_f16 v17, v14, v22, v17
	v_pk_fma_f16 v14, v14, v11, v9
	s_waitcnt lgkmcnt(1)
	v_mul_u32_u24_sdwa v22, v2, v107 dst_sel:DWORD dst_unused:UNUSED_PAD src0_sel:WORD_0 src1_sel:DWORD
	v_pk_fma_f16 v20, v15, v18, v10
	v_pk_fma_f16 v13, v15, v19, v13
	v_mul_u32_u24_sdwa v15, v1, v107 dst_sel:DWORD dst_unused:UNUSED_PAD src0_sel:WORD_0 src1_sel:DWORD
	v_mul_u32_u24_sdwa v1, v1, v107 dst_sel:DWORD dst_unused:UNUSED_PAD src0_sel:WORD_1 src1_sel:DWORD
	ds_read2_b64 v[9:12], v23 offset0:192 offset1:224
	v_pk_fma_f16 v17, v16, v18, v17
	v_pk_fma_f16 v18, v16, v19, v14
	v_add_nc_u32_e32 v23, 0x6800, v74
	v_mul_u32_u24_sdwa v2, v2, v107 dst_sel:DWORD dst_unused:UNUSED_PAD src0_sel:WORD_1 src1_sel:DWORD
	s_waitcnt lgkmcnt(1)
	v_pk_fma_f16 v19, v5, v15, v20
	v_pk_fma_f16 v5, v5, v1, v13
	v_pk_fma_f16 v21, v6, v15, v17
	ds_read_b128 v[13:16], v80 offset:416
	v_pk_fma_f16 v1, v6, v1, v18
	v_pk_fma_f16 v6, v7, v22, v19
	ds_read2_b64 v[17:20], v23 offset1:32
	v_pk_fma_f16 v5, v7, v2, v5
	v_mul_u32_u24_sdwa v7, v3, v107 dst_sel:DWORD dst_unused:UNUSED_PAD src0_sel:WORD_0 src1_sel:DWORD
	v_mul_u32_u24_sdwa v3, v3, v107 dst_sel:DWORD dst_unused:UNUSED_PAD src0_sel:WORD_1 src1_sel:DWORD
	v_pk_fma_f16 v21, v8, v22, v21
	v_pk_fma_f16 v1, v8, v2, v1
	v_mul_u32_u24_sdwa v22, v4, v107 dst_sel:DWORD dst_unused:UNUSED_PAD src0_sel:WORD_1 src1_sel:DWORD
	s_waitcnt lgkmcnt(2)
	v_pk_fma_f16 v2, v9, v7, v6
	v_pk_fma_f16 v5, v9, v3, v5
	v_mul_u32_u24_sdwa v9, v4, v107 dst_sel:DWORD dst_unused:UNUSED_PAD src0_sel:WORD_0 src1_sel:DWORD
	v_pk_fma_f16 v21, v10, v7, v21
	v_pk_fma_f16 v10, v10, v3, v1
	v_pk_fma_f16 v24, v11, v9, v2
	v_pk_fma_f16 v11, v11, v22, v5
	ds_read_b128 v[1:4], v80 offset:432
	s_waitcnt lgkmcnt(2)
	v_mul_u32_u24_sdwa v25, v13, v107 dst_sel:DWORD dst_unused:UNUSED_PAD src0_sel:WORD_0 src1_sel:DWORD
	ds_read2_b64 v[5:8], v23 offset0:64 offset1:96
	v_mul_u32_u24_sdwa v13, v13, v107 dst_sel:DWORD dst_unused:UNUSED_PAD src0_sel:WORD_1 src1_sel:DWORD
	v_pk_fma_f16 v9, v12, v9, v21
	v_pk_fma_f16 v10, v12, v22, v10
	s_waitcnt lgkmcnt(2)
	v_pk_fma_f16 v12, v17, v25, v24
	v_mul_u32_u24_sdwa v22, v15, v107 dst_sel:DWORD dst_unused:UNUSED_PAD src0_sel:WORD_0 src1_sel:DWORD
	v_pk_fma_f16 v11, v17, v13, v11
	v_mul_u32_u24_sdwa v17, v14, v107 dst_sel:DWORD dst_unused:UNUSED_PAD src0_sel:WORD_0 src1_sel:DWORD
	v_mul_u32_u24_sdwa v14, v14, v107 dst_sel:DWORD dst_unused:UNUSED_PAD src0_sel:WORD_1 src1_sel:DWORD
	v_pk_fma_f16 v21, v18, v25, v9
	v_pk_fma_f16 v13, v18, v13, v10
	v_mul_u32_u24_sdwa v15, v15, v107 dst_sel:DWORD dst_unused:UNUSED_PAD src0_sel:WORD_1 src1_sel:DWORD
	v_pk_fma_f16 v18, v19, v17, v12
	v_pk_fma_f16 v19, v19, v14, v11
	ds_read2_b64 v[9:12], v23 offset0:128 offset1:160
	v_pk_fma_f16 v17, v20, v17, v21
	v_pk_fma_f16 v13, v20, v14, v13
	s_waitcnt lgkmcnt(1)
	v_pk_fma_f16 v14, v5, v22, v18
	v_pk_fma_f16 v5, v5, v15, v19
	v_mul_u32_u24_sdwa v18, v16, v107 dst_sel:DWORD dst_unused:UNUSED_PAD src0_sel:WORD_0 src1_sel:DWORD
	v_mul_u32_u24_sdwa v19, v16, v107 dst_sel:DWORD dst_unused:UNUSED_PAD src0_sel:WORD_1 src1_sel:DWORD
	v_pk_fma_f16 v17, v6, v22, v17
	v_pk_fma_f16 v6, v6, v15, v13
	v_mul_u32_u24_sdwa v22, v2, v107 dst_sel:DWORD dst_unused:UNUSED_PAD src0_sel:WORD_0 src1_sel:DWORD
	v_pk_fma_f16 v20, v7, v18, v14
	v_pk_fma_f16 v5, v7, v19, v5
	v_mul_u32_u24_sdwa v7, v1, v107 dst_sel:DWORD dst_unused:UNUSED_PAD src0_sel:WORD_0 src1_sel:DWORD
	v_mul_u32_u24_sdwa v1, v1, v107 dst_sel:DWORD dst_unused:UNUSED_PAD src0_sel:WORD_1 src1_sel:DWORD
	ds_read2_b64 v[13:16], v23 offset0:192 offset1:224
	v_pk_fma_f16 v17, v8, v18, v17
	v_pk_fma_f16 v18, v8, v19, v6
	s_waitcnt lgkmcnt(1)
	v_pk_fma_f16 v19, v9, v7, v20
	v_pk_fma_f16 v9, v9, v1, v5
	v_add_nc_u32_e32 v23, 0x7000, v74
	v_pk_fma_f16 v21, v10, v7, v17
	ds_read_b128 v[5:8], v80 offset:448
	v_mul_u32_u24_sdwa v2, v2, v107 dst_sel:DWORD dst_unused:UNUSED_PAD src0_sel:WORD_1 src1_sel:DWORD
	v_pk_fma_f16 v1, v10, v1, v18
	v_pk_fma_f16 v10, v11, v22, v19
	ds_read2_b64 v[17:20], v23 offset1:32
	v_pk_fma_f16 v21, v12, v22, v21
	v_pk_fma_f16 v9, v11, v2, v9
	v_mul_u32_u24_sdwa v11, v3, v107 dst_sel:DWORD dst_unused:UNUSED_PAD src0_sel:WORD_0 src1_sel:DWORD
	v_mul_u32_u24_sdwa v3, v3, v107 dst_sel:DWORD dst_unused:UNUSED_PAD src0_sel:WORD_1 src1_sel:DWORD
	v_pk_fma_f16 v1, v12, v2, v1
	v_mul_u32_u24_sdwa v22, v4, v107 dst_sel:DWORD dst_unused:UNUSED_PAD src0_sel:WORD_1 src1_sel:DWORD
	s_waitcnt lgkmcnt(2)
	v_pk_fma_f16 v2, v13, v11, v10
	v_pk_fma_f16 v9, v13, v3, v9
	v_mul_u32_u24_sdwa v13, v4, v107 dst_sel:DWORD dst_unused:UNUSED_PAD src0_sel:WORD_0 src1_sel:DWORD
	v_pk_fma_f16 v21, v14, v11, v21
	v_pk_fma_f16 v14, v14, v3, v1
	;; [unrolled: 1-line block ×4, first 2 shown]
	ds_read_b128 v[1:4], v80 offset:464
	s_waitcnt lgkmcnt(2)
	v_mul_u32_u24_sdwa v25, v5, v107 dst_sel:DWORD dst_unused:UNUSED_PAD src0_sel:WORD_0 src1_sel:DWORD
	ds_read2_b64 v[9:12], v23 offset0:64 offset1:96
	v_mul_u32_u24_sdwa v5, v5, v107 dst_sel:DWORD dst_unused:UNUSED_PAD src0_sel:WORD_1 src1_sel:DWORD
	v_pk_fma_f16 v13, v16, v13, v21
	v_pk_fma_f16 v14, v16, v22, v14
	s_waitcnt lgkmcnt(2)
	v_pk_fma_f16 v16, v17, v25, v24
	v_mul_u32_u24_sdwa v22, v7, v107 dst_sel:DWORD dst_unused:UNUSED_PAD src0_sel:WORD_0 src1_sel:DWORD
	v_pk_fma_f16 v15, v17, v5, v15
	v_mul_u32_u24_sdwa v17, v6, v107 dst_sel:DWORD dst_unused:UNUSED_PAD src0_sel:WORD_0 src1_sel:DWORD
	v_mul_u32_u24_sdwa v6, v6, v107 dst_sel:DWORD dst_unused:UNUSED_PAD src0_sel:WORD_1 src1_sel:DWORD
	v_pk_fma_f16 v21, v18, v25, v13
	v_pk_fma_f16 v5, v18, v5, v14
	v_mul_u32_u24_sdwa v7, v7, v107 dst_sel:DWORD dst_unused:UNUSED_PAD src0_sel:WORD_1 src1_sel:DWORD
	v_pk_fma_f16 v18, v19, v17, v16
	v_pk_fma_f16 v19, v19, v6, v15
	ds_read2_b64 v[13:16], v23 offset0:128 offset1:160
	v_pk_fma_f16 v17, v20, v17, v21
	v_pk_fma_f16 v5, v20, v6, v5
	v_add_nc_u32_e32 v25, 0x7800, v74
	s_waitcnt lgkmcnt(2)
	v_mul_u32_u24_sdwa v24, v4, v107 dst_sel:DWORD dst_unused:UNUSED_PAD src0_sel:WORD_1 src1_sel:DWORD
	s_waitcnt lgkmcnt(1)
	v_pk_fma_f16 v6, v9, v22, v18
	v_pk_fma_f16 v9, v9, v7, v19
	v_mul_u32_u24_sdwa v18, v8, v107 dst_sel:DWORD dst_unused:UNUSED_PAD src0_sel:WORD_0 src1_sel:DWORD
	v_mul_u32_u24_sdwa v19, v8, v107 dst_sel:DWORD dst_unused:UNUSED_PAD src0_sel:WORD_1 src1_sel:DWORD
	v_pk_fma_f16 v17, v10, v22, v17
	v_pk_fma_f16 v10, v10, v7, v5
	v_mul_u32_u24_sdwa v22, v2, v107 dst_sel:DWORD dst_unused:UNUSED_PAD src0_sel:WORD_0 src1_sel:DWORD
	v_pk_fma_f16 v20, v11, v18, v6
	v_pk_fma_f16 v9, v11, v19, v9
	v_mul_u32_u24_sdwa v11, v1, v107 dst_sel:DWORD dst_unused:UNUSED_PAD src0_sel:WORD_0 src1_sel:DWORD
	v_mul_u32_u24_sdwa v1, v1, v107 dst_sel:DWORD dst_unused:UNUSED_PAD src0_sel:WORD_1 src1_sel:DWORD
	ds_read2_b64 v[5:8], v23 offset0:192 offset1:224
	v_pk_fma_f16 v17, v12, v18, v17
	v_pk_fma_f16 v10, v12, v19, v10
	s_waitcnt lgkmcnt(1)
	v_pk_fma_f16 v18, v13, v11, v20
	v_pk_fma_f16 v13, v13, v1, v9
	v_mul_u32_u24_sdwa v2, v2, v107 dst_sel:DWORD dst_unused:UNUSED_PAD src0_sel:WORD_1 src1_sel:DWORD
	v_pk_fma_f16 v21, v14, v11, v17
	v_pk_fma_f16 v1, v14, v1, v10
	ds_read_b128 v[9:12], v80 offset:480
	v_pk_fma_f16 v14, v15, v22, v18
	ds_read2_b64 v[17:20], v25 offset1:32
	v_pk_fma_f16 v13, v15, v2, v13
	v_mul_u32_u24_sdwa v15, v3, v107 dst_sel:DWORD dst_unused:UNUSED_PAD src0_sel:WORD_0 src1_sel:DWORD
	v_mul_u32_u24_sdwa v3, v3, v107 dst_sel:DWORD dst_unused:UNUSED_PAD src0_sel:WORD_1 src1_sel:DWORD
	v_pk_fma_f16 v21, v16, v22, v21
	v_pk_fma_f16 v1, v16, v2, v1
	v_add_f32_e32 v23, v113, v115
	v_mul_u32_u24_sdwa v22, v4, v107 dst_sel:DWORD dst_unused:UNUSED_PAD src0_sel:WORD_0 src1_sel:DWORD
	s_waitcnt lgkmcnt(2)
	v_pk_fma_f16 v2, v5, v15, v14
	v_pk_fma_f16 v5, v5, v3, v13
	;; [unrolled: 1-line block ×4, first 2 shown]
	ds_read2_b64 v[13:16], v25 offset0:64 offset1:96
	v_add_f32_e32 v23, v114, v23
	v_pk_fma_f16 v26, v7, v22, v2
	v_pk_fma_f16 v5, v7, v24, v5
	ds_read_b128 v[1:4], v80 offset:496
	s_waitcnt lgkmcnt(3)
	v_mul_u32_u24_sdwa v27, v9, v107 dst_sel:DWORD dst_unused:UNUSED_PAD src0_sel:WORD_0 src1_sel:DWORD
	v_mul_u32_u24_sdwa v9, v9, v107 dst_sel:DWORD dst_unused:UNUSED_PAD src0_sel:WORD_1 src1_sel:DWORD
	v_pk_fma_f16 v21, v8, v22, v21
	v_pk_fma_f16 v6, v8, v24, v6
	v_add_f32_e32 v7, v112, v23
	s_waitcnt lgkmcnt(2)
	v_pk_fma_f16 v8, v17, v27, v26
	v_pk_fma_f16 v5, v17, v9, v5
	v_mul_u32_u24_sdwa v17, v10, v107 dst_sel:DWORD dst_unused:UNUSED_PAD src0_sel:WORD_0 src1_sel:DWORD
	v_mul_u32_u24_sdwa v10, v10, v107 dst_sel:DWORD dst_unused:UNUSED_PAD src0_sel:WORD_1 src1_sel:DWORD
	v_pk_fma_f16 v26, v18, v27, v21
	v_pk_fma_f16 v6, v18, v9, v6
	ds_read2_b64 v[21:24], v25 offset0:128 offset1:160
	v_pk_fma_f16 v8, v19, v17, v8
	v_pk_fma_f16 v5, v19, v10, v5
	v_mul_u32_u24_sdwa v9, v11, v107 dst_sel:DWORD dst_unused:UNUSED_PAD src0_sel:WORD_0 src1_sel:DWORD
	v_mul_u32_u24_sdwa v11, v11, v107 dst_sel:DWORD dst_unused:UNUSED_PAD src0_sel:WORD_1 src1_sel:DWORD
	v_pk_fma_f16 v17, v20, v17, v26
	v_pk_fma_f16 v6, v20, v10, v6
	v_mul_u32_u24_sdwa v19, v12, v107 dst_sel:DWORD dst_unused:UNUSED_PAD src0_sel:WORD_1 src1_sel:DWORD
	s_waitcnt lgkmcnt(2)
	v_pk_fma_f16 v8, v13, v9, v8
	v_pk_fma_f16 v5, v13, v11, v5
	v_mul_u32_u24_sdwa v13, v12, v107 dst_sel:DWORD dst_unused:UNUSED_PAD src0_sel:WORD_0 src1_sel:DWORD
	v_pk_fma_f16 v17, v14, v9, v17
	v_pk_fma_f16 v6, v14, v11, v6
	ds_read2_b64 v[9:12], v25 offset0:192 offset1:224
	s_waitcnt lgkmcnt(0)
	s_barrier
	buffer_gl0_inv
	s_load_dword s13, s[6:7], 0x4
	v_pk_fma_f16 v8, v15, v13, v8
	v_pk_fma_f16 v5, v15, v19, v5
	v_mul_u32_u24_sdwa v14, v1, v107 dst_sel:DWORD dst_unused:UNUSED_PAD src0_sel:WORD_0 src1_sel:DWORD
	v_mul_u32_u24_sdwa v1, v1, v107 dst_sel:DWORD dst_unused:UNUSED_PAD src0_sel:WORD_1 src1_sel:DWORD
	v_pk_fma_f16 v13, v16, v13, v17
	v_pk_fma_f16 v6, v16, v19, v6
	v_add_f32_e32 v18, v118, v119
	v_pk_fma_f16 v8, v21, v14, v8
	v_pk_fma_f16 v5, v21, v1, v5
	v_mul_u32_u24_sdwa v15, v2, v107 dst_sel:DWORD dst_unused:UNUSED_PAD src0_sel:WORD_0 src1_sel:DWORD
	v_mul_u32_u24_sdwa v2, v2, v107 dst_sel:DWORD dst_unused:UNUSED_PAD src0_sel:WORD_1 src1_sel:DWORD
	v_pk_fma_f16 v13, v22, v14, v13
	v_pk_fma_f16 v1, v22, v1, v6
	v_add_f32_e32 v18, v117, v18
	;; [unrolled: 7-line block ×3, first 2 shown]
	v_pk_fma_f16 v2, v9, v14, v6
	v_pk_fma_f16 v5, v9, v3, v5
	v_mul_u32_u24_sdwa v6, v4, v107 dst_sel:DWORD dst_unused:UNUSED_PAD src0_sel:WORD_0 src1_sel:DWORD
	v_mul_u32_u24_sdwa v4, v4, v107 dst_sel:DWORD dst_unused:UNUSED_PAD src0_sel:WORD_1 src1_sel:DWORD
	v_pk_fma_f16 v9, v10, v14, v13
	v_pk_fma_f16 v1, v10, v3, v1
	s_waitcnt lgkmcnt(0)
	s_lshl_b32 s13, s13, 7
	v_fmac_f32_e32 v7, v109, v111
	v_fmac_f32_e32 v8, v108, v110
	v_pk_fma_f16 v76, v11, v6, v2
	v_pk_fma_f16 v75, v11, v4, v5
	;; [unrolled: 1-line block ×4, first 2 shown]
	s_add_i32 s18, s13, s18
	s_cmp_lt_i32 s18, s10
	s_cbranch_scc0 .LBB59_28
; %bb.26:                               ;   in Loop: Header=BB59_8 Depth=1
	v_mov_b32_e32 v111, v33
	v_mov_b32_e32 v110, v34
	;; [unrolled: 1-line block ×4, first 2 shown]
	s_branch .LBB59_8
.LBB59_27:
	v_mov_b32_e32 v33, 0xfeffffff
	v_mov_b32_e32 v76, 0
	;; [unrolled: 1-line block ×7, first 2 shown]
.LBB59_28:
	s_cmp_gt_i32 s48, s18
	s_cbranch_scc1 .LBB59_31
; %bb.29:
	v_mbcnt_lo_u32_b32 v1, -1, 0
	v_mov_b32_e32 v14, 32
	v_xor_b32_e32 v10, 16, v1
	v_xor_b32_e32 v9, 8, v1
	;; [unrolled: 1-line block ×5, first 2 shown]
	s_cbranch_execz .LBB59_32
; %bb.30:
	v_mov_b32_e32 v72, v1
	s_branch .LBB59_72
.LBB59_31:
                                        ; implicit-def: $vgpr1
                                        ; implicit-def: $vgpr14
                                        ; implicit-def: $vgpr10
                                        ; implicit-def: $vgpr9
                                        ; implicit-def: $vgpr11
                                        ; implicit-def: $vgpr12
                                        ; implicit-def: $vgpr13
.LBB59_32:
	v_add_nc_u32_e32 v20, v85, v69
	s_mul_hi_i32 s7, s18, s12
	s_mul_i32 s6, s18, s12
	s_sub_i32 s38, s48, s18
	s_lshl_b64 s[6:7], s[6:7], 2
	v_mul_lo_u32 v9, s12, v20
	s_add_u32 s6, s8, s6
	s_mov_b64 s[14:15], src_private_base
	v_lshlrev_b32_e32 v15, 2, v84
	s_addc_u32 s14, s9, s7
	v_cmp_gt_i32_e64 s13, s38, v20
	v_mov_b32_e32 v5, 0
	buffer_store_dword v5, off, s[0:3], 0
	buffer_store_dword v5, off, s[0:3], 0 offset:4
	buffer_store_dword v5, off, s[0:3], 0 offset:8
	;; [unrolled: 1-line block ×3, first 2 shown]
	v_ashrrev_i32_e32 v10, 31, v9
	s_lshl_b32 s16, s12, 4
	v_add_nc_u32_e32 v23, 16, v20
	v_mad_u32_u24 v12, 0x110, v20, v15
	v_add_nc_u32_e32 v22, 32, v20
	v_lshlrev_b64 v[1:2], 2, v[9:10]
	v_add_nc_u32_e32 v9, s16, v9
	v_cmp_gt_i32_e64 s12, s38, v23
	v_add_nc_u32_e32 v21, 48, v20
	v_cmp_gt_i32_e64 s11, s38, v22
	v_add_nc_u32_e32 v19, 64, v20
	v_add_co_u32 v1, vcc_lo, s6, v1
	v_add_co_ci_u32_e64 v2, null, s14, v2, vcc_lo
	v_ashrrev_i32_e32 v10, 31, v9
	v_add_co_u32 v1, vcc_lo, v1, v15
	v_add_co_ci_u32_e64 v2, null, 0, v2, vcc_lo
	v_lshlrev_b64 v[10:11], 2, v[9:10]
	v_cndmask_b32_e64 v1, 0, v1, s13
	v_add_nc_u32_e32 v9, s16, v9
	v_cndmask_b32_e64 v2, s15, v2, s13
	v_cmp_gt_i32_e64 s10, s38, v21
	v_cmp_gt_i32_e64 s9, s38, v19
	v_add_co_u32 v6, vcc_lo, s6, v10
	flat_load_dwordx4 v[1:4], v[1:2]
	v_add_co_ci_u32_e64 v10, null, s14, v11, vcc_lo
	v_add_co_u32 v6, vcc_lo, v6, v15
	buffer_store_dword v5, off, s[0:3], 0
	v_add_co_ci_u32_e64 v10, null, 0, v10, vcc_lo
	buffer_store_dword v5, off, s[0:3], 0 offset:4
	buffer_store_dword v5, off, s[0:3], 0 offset:8
	buffer_store_dword v5, off, s[0:3], 0 offset:12
	v_add_nc_u32_e32 v18, 0x50, v20
	v_add_nc_u32_e32 v17, 0x60, v20
	v_cndmask_b32_e64 v11, s15, v10, s12
	v_cndmask_b32_e64 v10, 0, v6, s12
	v_add_nc_u32_e32 v16, 0x70, v20
	v_cmp_gt_i32_e64 s8, s38, v18
	v_cmp_gt_i32_e64 s7, s38, v17
	v_mov_b32_e32 v24, 0
	v_mov_b32_e32 v28, 0
	;; [unrolled: 1-line block ×7, first 2 shown]
	s_cmp_lg_u64 s[46:47], 0
	s_waitcnt vmcnt(0) lgkmcnt(0)
	ds_write_b128 v12, v[1:4]
	flat_load_dwordx4 v[1:4], v[10:11]
	v_ashrrev_i32_e32 v10, 31, v9
	buffer_store_dword v5, off, s[0:3], 0
	buffer_store_dword v5, off, s[0:3], 0 offset:4
	buffer_store_dword v5, off, s[0:3], 0 offset:8
	buffer_store_dword v5, off, s[0:3], 0 offset:12
	v_lshlrev_b64 v[10:11], 2, v[9:10]
	v_add_nc_u32_e32 v9, s16, v9
	v_add_co_u32 v6, vcc_lo, s6, v10
	v_add_co_ci_u32_e64 v10, null, s14, v11, vcc_lo
	v_add_co_u32 v6, vcc_lo, v6, v15
	v_add_co_ci_u32_e64 v10, null, 0, v10, vcc_lo
	v_cndmask_b32_e64 v11, s15, v10, s11
	v_cndmask_b32_e64 v10, 0, v6, s11
	s_waitcnt vmcnt(0) lgkmcnt(0)
	ds_write_b128 v12, v[1:4] offset:4352
	flat_load_dwordx4 v[1:4], v[10:11]
	v_ashrrev_i32_e32 v10, 31, v9
	buffer_store_dword v5, off, s[0:3], 0
	buffer_store_dword v5, off, s[0:3], 0 offset:4
	buffer_store_dword v5, off, s[0:3], 0 offset:8
	buffer_store_dword v5, off, s[0:3], 0 offset:12
	v_lshlrev_b64 v[10:11], 2, v[9:10]
	v_add_nc_u32_e32 v9, s16, v9
	v_add_co_u32 v6, vcc_lo, s6, v10
	v_add_co_ci_u32_e64 v10, null, s14, v11, vcc_lo
	v_add_co_u32 v6, vcc_lo, v6, v15
	v_add_co_ci_u32_e64 v10, null, 0, v10, vcc_lo
	v_cndmask_b32_e64 v11, s15, v10, s10
	v_cndmask_b32_e64 v10, 0, v6, s10
	s_waitcnt vmcnt(0) lgkmcnt(0)
	ds_write_b128 v12, v[1:4] offset:8704
	flat_load_dwordx4 v[1:4], v[10:11]
	v_ashrrev_i32_e32 v10, 31, v9
	buffer_store_dword v5, off, s[0:3], 0
	buffer_store_dword v5, off, s[0:3], 0 offset:4
	buffer_store_dword v5, off, s[0:3], 0 offset:8
	buffer_store_dword v5, off, s[0:3], 0 offset:12
	v_lshlrev_b64 v[10:11], 2, v[9:10]
	v_add_nc_u32_e32 v9, s16, v9
	v_add_co_u32 v6, vcc_lo, s6, v10
	v_add_co_ci_u32_e64 v10, null, s14, v11, vcc_lo
	v_add_co_u32 v6, vcc_lo, v6, v15
	v_add_co_ci_u32_e64 v10, null, 0, v10, vcc_lo
	v_cndmask_b32_e64 v11, s15, v10, s9
	v_cndmask_b32_e64 v10, 0, v6, s9
	s_waitcnt vmcnt(0) lgkmcnt(0)
	ds_write_b128 v12, v[1:4] offset:13056
	flat_load_dwordx4 v[1:4], v[10:11]
	v_ashrrev_i32_e32 v10, 31, v9
	buffer_store_dword v5, off, s[0:3], 0
	buffer_store_dword v5, off, s[0:3], 0 offset:4
	buffer_store_dword v5, off, s[0:3], 0 offset:8
	buffer_store_dword v5, off, s[0:3], 0 offset:12
	v_lshlrev_b64 v[10:11], 2, v[9:10]
	v_add_nc_u32_e32 v9, s16, v9
	v_add_co_u32 v6, vcc_lo, s6, v10
	v_add_co_ci_u32_e64 v10, null, s14, v11, vcc_lo
	v_add_co_u32 v6, vcc_lo, v6, v15
	v_add_co_ci_u32_e64 v10, null, 0, v10, vcc_lo
	v_cndmask_b32_e64 v11, s15, v10, s8
	v_cndmask_b32_e64 v10, 0, v6, s8
	s_waitcnt vmcnt(0) lgkmcnt(0)
	ds_write_b128 v12, v[1:4] offset:17408
	flat_load_dwordx4 v[1:4], v[10:11]
	v_ashrrev_i32_e32 v10, 31, v9
	buffer_store_dword v5, off, s[0:3], 0
	buffer_store_dword v5, off, s[0:3], 0 offset:4
	buffer_store_dword v5, off, s[0:3], 0 offset:8
	;; [unrolled: 1-line block ×3, first 2 shown]
	v_lshlrev_b64 v[10:11], 2, v[9:10]
	v_add_nc_u32_e32 v9, s16, v9
	s_cselect_b32 s16, -1, 0
	v_add_co_u32 v6, vcc_lo, s6, v10
	v_add_co_ci_u32_e64 v10, null, s14, v11, vcc_lo
	v_add_co_u32 v6, vcc_lo, v6, v15
	v_add_co_ci_u32_e64 v10, null, 0, v10, vcc_lo
	v_cndmask_b32_e64 v11, s15, v10, s7
	v_cndmask_b32_e64 v10, 0, v6, s7
	s_waitcnt vmcnt(0) lgkmcnt(0)
	ds_write_b128 v12, v[1:4] offset:21760
	flat_load_dwordx4 v[1:4], v[10:11]
	v_ashrrev_i32_e32 v10, 31, v9
	buffer_store_dword v5, off, s[0:3], 0
	buffer_store_dword v5, off, s[0:3], 0 offset:4
	buffer_store_dword v5, off, s[0:3], 0 offset:8
	;; [unrolled: 1-line block ×3, first 2 shown]
	v_lshlrev_b64 v[9:10], 2, v[9:10]
	v_add_co_u32 v6, vcc_lo, s6, v9
	v_add_co_ci_u32_e64 v9, null, s14, v10, vcc_lo
	v_cmp_gt_i32_e64 s6, s38, v16
	v_add_co_u32 v6, vcc_lo, v6, v15
	v_add_co_ci_u32_e64 v9, null, 0, v9, vcc_lo
	v_cmp_gt_i32_e64 s14, s38, v0
	v_cndmask_b32_e64 v10, s15, v9, s6
	v_cndmask_b32_e64 v9, 0, v6, s6
	v_mov_b32_e32 v6, 0
	s_waitcnt vmcnt(0) lgkmcnt(0)
	ds_write_b128 v12, v[1:4] offset:26112
	flat_load_dwordx4 v[1:4], v[9:10]
	s_waitcnt vmcnt(0) lgkmcnt(0)
	ds_write_b128 v12, v[1:4] offset:30464
	s_waitcnt lgkmcnt(0)
	s_waitcnt_vscnt null, 0x0
	s_barrier
	buffer_gl0_inv
	ds_read_b128 v[1:4], v83
	ds_read_b128 v[9:12], v73 offset:38912
	ds_read_b128 v[35:38], v73 offset:39168
	;; [unrolled: 1-line block ×5, first 2 shown]
	s_waitcnt lgkmcnt(4)
	;;#ASMSTART
	v_dot2_f32_f16 v6, v1, v9, v6
	;;#ASMEND
	;;#ASMSTART
	v_dot2_f32_f16 v6, v2, v10, v6
	;;#ASMEND
	;;#ASMSTART
	v_dot2_f32_f16 v6, v3, v11, v6
	;;#ASMEND
	;;#ASMSTART
	v_dot2_f32_f16 v6, v4, v12, v6
	;;#ASMEND
	s_waitcnt lgkmcnt(3)
	;;#ASMSTART
	v_dot2_f32_f16 v24, v1, v35, v24
	;;#ASMEND
	;;#ASMSTART
	v_dot2_f32_f16 v24, v2, v36, v24
	;;#ASMEND
	;;#ASMSTART
	v_dot2_f32_f16 v24, v3, v37, v24
	;;#ASMEND
	;;#ASMSTART
	v_dot2_f32_f16 v24, v4, v38, v24
	;;#ASMEND
	;; [unrolled: 13-line block ×3, first 2 shown]
	;;#ASMSTART
	v_dot2_f32_f16 v25, v39, v35, v25
	;;#ASMEND
	;;#ASMSTART
	v_dot2_f32_f16 v25, v40, v36, v25
	;;#ASMEND
	;; [unrolled: 3-line block ×4, first 2 shown]
	s_waitcnt lgkmcnt(1)
	;;#ASMSTART
	v_dot2_f32_f16 v29, v43, v9, v29
	;;#ASMEND
	;;#ASMSTART
	v_dot2_f32_f16 v29, v44, v10, v29
	;;#ASMEND
	;; [unrolled: 3-line block ×8, first 2 shown]
	s_waitcnt lgkmcnt(0)
	;;#ASMSTART
	v_dot2_f32_f16 v30, v47, v9, v30
	;;#ASMEND
	;;#ASMSTART
	v_dot2_f32_f16 v30, v48, v10, v30
	;;#ASMEND
	;; [unrolled: 3-line block ×8, first 2 shown]
	ds_read_b128 v[1:4], v83 offset:16
	ds_read_b128 v[9:12], v73 offset:38928
	;; [unrolled: 1-line block ×6, first 2 shown]
	s_waitcnt lgkmcnt(4)
	;;#ASMSTART
	v_dot2_f32_f16 v6, v1, v9, v6
	;;#ASMEND
	;;#ASMSTART
	v_dot2_f32_f16 v6, v2, v10, v6
	;;#ASMEND
	;;#ASMSTART
	v_dot2_f32_f16 v6, v3, v11, v6
	;;#ASMEND
	;;#ASMSTART
	v_dot2_f32_f16 v6, v4, v12, v6
	;;#ASMEND
	s_waitcnt lgkmcnt(3)
	;;#ASMSTART
	v_dot2_f32_f16 v24, v1, v35, v24
	;;#ASMEND
	;;#ASMSTART
	v_dot2_f32_f16 v24, v2, v36, v24
	;;#ASMEND
	;;#ASMSTART
	v_dot2_f32_f16 v24, v3, v37, v24
	;;#ASMEND
	;;#ASMSTART
	v_dot2_f32_f16 v24, v4, v38, v24
	;;#ASMEND
	;; [unrolled: 13-line block ×3, first 2 shown]
	;;#ASMSTART
	v_dot2_f32_f16 v25, v39, v35, v25
	;;#ASMEND
	;;#ASMSTART
	v_dot2_f32_f16 v25, v40, v36, v25
	;;#ASMEND
	;; [unrolled: 3-line block ×4, first 2 shown]
	s_waitcnt lgkmcnt(1)
	;;#ASMSTART
	v_dot2_f32_f16 v29, v43, v9, v29
	;;#ASMEND
	;;#ASMSTART
	v_dot2_f32_f16 v29, v44, v10, v29
	;;#ASMEND
	;; [unrolled: 3-line block ×8, first 2 shown]
	s_waitcnt lgkmcnt(0)
	;;#ASMSTART
	v_dot2_f32_f16 v30, v47, v9, v30
	;;#ASMEND
	;;#ASMSTART
	v_dot2_f32_f16 v30, v48, v10, v30
	;;#ASMEND
	;; [unrolled: 3-line block ×8, first 2 shown]
	ds_read_b128 v[1:4], v83 offset:32
	ds_read_b128 v[9:12], v73 offset:38944
	;; [unrolled: 1-line block ×6, first 2 shown]
	s_waitcnt lgkmcnt(4)
	;;#ASMSTART
	v_dot2_f32_f16 v6, v1, v9, v6
	;;#ASMEND
	;;#ASMSTART
	v_dot2_f32_f16 v6, v2, v10, v6
	;;#ASMEND
	;;#ASMSTART
	v_dot2_f32_f16 v6, v3, v11, v6
	;;#ASMEND
	;;#ASMSTART
	v_dot2_f32_f16 v6, v4, v12, v6
	;;#ASMEND
	s_waitcnt lgkmcnt(3)
	;;#ASMSTART
	v_dot2_f32_f16 v24, v1, v35, v24
	;;#ASMEND
	;;#ASMSTART
	v_dot2_f32_f16 v24, v2, v36, v24
	;;#ASMEND
	;;#ASMSTART
	v_dot2_f32_f16 v24, v3, v37, v24
	;;#ASMEND
	;;#ASMSTART
	v_dot2_f32_f16 v24, v4, v38, v24
	;;#ASMEND
	;; [unrolled: 13-line block ×3, first 2 shown]
	;;#ASMSTART
	v_dot2_f32_f16 v25, v39, v35, v25
	;;#ASMEND
	;;#ASMSTART
	v_dot2_f32_f16 v25, v40, v36, v25
	;;#ASMEND
	;; [unrolled: 3-line block ×4, first 2 shown]
	s_waitcnt lgkmcnt(1)
	;;#ASMSTART
	v_dot2_f32_f16 v29, v43, v9, v29
	;;#ASMEND
	;;#ASMSTART
	v_dot2_f32_f16 v29, v44, v10, v29
	;;#ASMEND
	;;#ASMSTART
	v_dot2_f32_f16 v29, v45, v11, v29
	;;#ASMEND
	;;#ASMSTART
	v_dot2_f32_f16 v29, v46, v12, v29
	;;#ASMEND
	;;#ASMSTART
	v_dot2_f32_f16 v26, v43, v35, v26
	;;#ASMEND
	;;#ASMSTART
	v_dot2_f32_f16 v26, v44, v36, v26
	;;#ASMEND
	;;#ASMSTART
	v_dot2_f32_f16 v26, v45, v37, v26
	;;#ASMEND
	;;#ASMSTART
	v_dot2_f32_f16 v26, v46, v38, v26
	;;#ASMEND
	s_waitcnt lgkmcnt(0)
	;;#ASMSTART
	v_dot2_f32_f16 v30, v47, v9, v30
	;;#ASMEND
	;;#ASMSTART
	v_dot2_f32_f16 v30, v48, v10, v30
	;;#ASMEND
	;; [unrolled: 3-line block ×8, first 2 shown]
	ds_read_b128 v[1:4], v83 offset:48
	ds_read_b128 v[9:12], v73 offset:38960
	;; [unrolled: 1-line block ×6, first 2 shown]
	s_waitcnt lgkmcnt(4)
	;;#ASMSTART
	v_dot2_f32_f16 v6, v1, v9, v6
	;;#ASMEND
	;;#ASMSTART
	v_dot2_f32_f16 v6, v2, v10, v6
	;;#ASMEND
	;;#ASMSTART
	v_dot2_f32_f16 v6, v3, v11, v6
	;;#ASMEND
	;;#ASMSTART
	v_dot2_f32_f16 v6, v4, v12, v6
	;;#ASMEND
	s_waitcnt lgkmcnt(3)
	;;#ASMSTART
	v_dot2_f32_f16 v24, v1, v35, v24
	;;#ASMEND
	;;#ASMSTART
	v_dot2_f32_f16 v24, v2, v36, v24
	;;#ASMEND
	;;#ASMSTART
	v_dot2_f32_f16 v24, v3, v37, v24
	;;#ASMEND
	;;#ASMSTART
	v_dot2_f32_f16 v24, v4, v38, v24
	;;#ASMEND
	;; [unrolled: 13-line block ×3, first 2 shown]
	;;#ASMSTART
	v_dot2_f32_f16 v25, v39, v35, v25
	;;#ASMEND
	;;#ASMSTART
	v_dot2_f32_f16 v25, v40, v36, v25
	;;#ASMEND
	;;#ASMSTART
	v_dot2_f32_f16 v25, v41, v37, v25
	;;#ASMEND
	;;#ASMSTART
	v_dot2_f32_f16 v25, v42, v38, v25
	;;#ASMEND
	s_waitcnt lgkmcnt(1)
	;;#ASMSTART
	v_dot2_f32_f16 v29, v43, v9, v29
	;;#ASMEND
	;;#ASMSTART
	v_dot2_f32_f16 v29, v44, v10, v29
	;;#ASMEND
	;;#ASMSTART
	v_dot2_f32_f16 v29, v45, v11, v29
	;;#ASMEND
	;;#ASMSTART
	v_dot2_f32_f16 v29, v46, v12, v29
	;;#ASMEND
	;;#ASMSTART
	v_dot2_f32_f16 v26, v43, v35, v26
	;;#ASMEND
	;;#ASMSTART
	v_dot2_f32_f16 v26, v44, v36, v26
	;;#ASMEND
	;;#ASMSTART
	v_dot2_f32_f16 v26, v45, v37, v26
	;;#ASMEND
	;;#ASMSTART
	v_dot2_f32_f16 v26, v46, v38, v26
	;;#ASMEND
	s_waitcnt lgkmcnt(0)
	;;#ASMSTART
	v_dot2_f32_f16 v30, v47, v9, v30
	;;#ASMEND
	;;#ASMSTART
	v_dot2_f32_f16 v30, v48, v10, v30
	;;#ASMEND
	;;#ASMSTART
	v_dot2_f32_f16 v30, v49, v11, v30
	;;#ASMEND
	;;#ASMSTART
	v_dot2_f32_f16 v30, v50, v12, v30
	;;#ASMEND
	;;#ASMSTART
	v_dot2_f32_f16 v27, v47, v35, v27
	;;#ASMEND
	;;#ASMSTART
	v_dot2_f32_f16 v27, v48, v36, v27
	;;#ASMEND
	;;#ASMSTART
	v_dot2_f32_f16 v27, v49, v37, v27
	;;#ASMEND
	;;#ASMSTART
	v_dot2_f32_f16 v27, v50, v38, v27
	;;#ASMEND
	ds_read_b128 v[1:4], v83 offset:64
	ds_read_b128 v[9:12], v73 offset:38976
	;; [unrolled: 1-line block ×6, first 2 shown]
	s_waitcnt lgkmcnt(4)
	;;#ASMSTART
	v_dot2_f32_f16 v6, v1, v9, v6
	;;#ASMEND
	;;#ASMSTART
	v_dot2_f32_f16 v6, v2, v10, v6
	;;#ASMEND
	;;#ASMSTART
	v_dot2_f32_f16 v6, v3, v11, v6
	;;#ASMEND
	;;#ASMSTART
	v_dot2_f32_f16 v6, v4, v12, v6
	;;#ASMEND
	s_waitcnt lgkmcnt(3)
	;;#ASMSTART
	v_dot2_f32_f16 v24, v1, v35, v24
	;;#ASMEND
	;;#ASMSTART
	v_dot2_f32_f16 v24, v2, v36, v24
	;;#ASMEND
	;;#ASMSTART
	v_dot2_f32_f16 v24, v3, v37, v24
	;;#ASMEND
	;;#ASMSTART
	v_dot2_f32_f16 v24, v4, v38, v24
	;;#ASMEND
	;; [unrolled: 13-line block ×3, first 2 shown]
	;;#ASMSTART
	v_dot2_f32_f16 v25, v39, v35, v25
	;;#ASMEND
	;;#ASMSTART
	v_dot2_f32_f16 v25, v40, v36, v25
	;;#ASMEND
	;; [unrolled: 3-line block ×4, first 2 shown]
	s_waitcnt lgkmcnt(1)
	;;#ASMSTART
	v_dot2_f32_f16 v29, v43, v9, v29
	;;#ASMEND
	;;#ASMSTART
	v_dot2_f32_f16 v29, v44, v10, v29
	;;#ASMEND
	;; [unrolled: 3-line block ×8, first 2 shown]
	s_waitcnt lgkmcnt(0)
	;;#ASMSTART
	v_dot2_f32_f16 v30, v47, v9, v30
	;;#ASMEND
	;;#ASMSTART
	v_dot2_f32_f16 v30, v48, v10, v30
	;;#ASMEND
	;; [unrolled: 3-line block ×8, first 2 shown]
	ds_read_b128 v[1:4], v83 offset:80
	ds_read_b128 v[9:12], v73 offset:38992
	;; [unrolled: 1-line block ×6, first 2 shown]
	s_waitcnt lgkmcnt(4)
	;;#ASMSTART
	v_dot2_f32_f16 v6, v1, v9, v6
	;;#ASMEND
	;;#ASMSTART
	v_dot2_f32_f16 v6, v2, v10, v6
	;;#ASMEND
	;;#ASMSTART
	v_dot2_f32_f16 v6, v3, v11, v6
	;;#ASMEND
	;;#ASMSTART
	v_dot2_f32_f16 v6, v4, v12, v6
	;;#ASMEND
	s_waitcnt lgkmcnt(3)
	;;#ASMSTART
	v_dot2_f32_f16 v24, v1, v35, v24
	;;#ASMEND
	;;#ASMSTART
	v_dot2_f32_f16 v24, v2, v36, v24
	;;#ASMEND
	;;#ASMSTART
	v_dot2_f32_f16 v24, v3, v37, v24
	;;#ASMEND
	;;#ASMSTART
	v_dot2_f32_f16 v24, v4, v38, v24
	;;#ASMEND
	;; [unrolled: 13-line block ×3, first 2 shown]
	;;#ASMSTART
	v_dot2_f32_f16 v25, v39, v35, v25
	;;#ASMEND
	;;#ASMSTART
	v_dot2_f32_f16 v25, v40, v36, v25
	;;#ASMEND
	;; [unrolled: 3-line block ×4, first 2 shown]
	s_waitcnt lgkmcnt(1)
	;;#ASMSTART
	v_dot2_f32_f16 v29, v43, v9, v29
	;;#ASMEND
	;;#ASMSTART
	v_dot2_f32_f16 v29, v44, v10, v29
	;;#ASMEND
	;; [unrolled: 3-line block ×8, first 2 shown]
	s_waitcnt lgkmcnt(0)
	;;#ASMSTART
	v_dot2_f32_f16 v30, v47, v9, v30
	;;#ASMEND
	;;#ASMSTART
	v_dot2_f32_f16 v30, v48, v10, v30
	;;#ASMEND
	;; [unrolled: 3-line block ×8, first 2 shown]
	ds_read_b128 v[1:4], v83 offset:96
	ds_read_b128 v[9:12], v73 offset:39008
	;; [unrolled: 1-line block ×6, first 2 shown]
	s_waitcnt lgkmcnt(4)
	;;#ASMSTART
	v_dot2_f32_f16 v6, v1, v9, v6
	;;#ASMEND
	;;#ASMSTART
	v_dot2_f32_f16 v6, v2, v10, v6
	;;#ASMEND
	;;#ASMSTART
	v_dot2_f32_f16 v6, v3, v11, v6
	;;#ASMEND
	;;#ASMSTART
	v_dot2_f32_f16 v6, v4, v12, v6
	;;#ASMEND
	s_waitcnt lgkmcnt(3)
	;;#ASMSTART
	v_dot2_f32_f16 v24, v1, v35, v24
	;;#ASMEND
	;;#ASMSTART
	v_dot2_f32_f16 v24, v2, v36, v24
	;;#ASMEND
	;;#ASMSTART
	v_dot2_f32_f16 v24, v3, v37, v24
	;;#ASMEND
	;;#ASMSTART
	v_dot2_f32_f16 v24, v4, v38, v24
	;;#ASMEND
	;; [unrolled: 13-line block ×3, first 2 shown]
	;;#ASMSTART
	v_dot2_f32_f16 v25, v39, v35, v25
	;;#ASMEND
	;;#ASMSTART
	v_dot2_f32_f16 v25, v40, v36, v25
	;;#ASMEND
	;; [unrolled: 3-line block ×4, first 2 shown]
	s_waitcnt lgkmcnt(1)
	;;#ASMSTART
	v_dot2_f32_f16 v29, v43, v9, v29
	;;#ASMEND
	;;#ASMSTART
	v_dot2_f32_f16 v29, v44, v10, v29
	;;#ASMEND
	;; [unrolled: 3-line block ×8, first 2 shown]
	s_waitcnt lgkmcnt(0)
	;;#ASMSTART
	v_dot2_f32_f16 v30, v47, v9, v30
	;;#ASMEND
	;;#ASMSTART
	v_dot2_f32_f16 v30, v48, v10, v30
	;;#ASMEND
	;; [unrolled: 3-line block ×8, first 2 shown]
	ds_read_b128 v[1:4], v83 offset:112
	ds_read_b128 v[9:12], v73 offset:39024
	;; [unrolled: 1-line block ×6, first 2 shown]
	s_waitcnt lgkmcnt(4)
	;;#ASMSTART
	v_dot2_f32_f16 v6, v1, v9, v6
	;;#ASMEND
	;;#ASMSTART
	v_dot2_f32_f16 v6, v2, v10, v6
	;;#ASMEND
	;;#ASMSTART
	v_dot2_f32_f16 v6, v3, v11, v6
	;;#ASMEND
	;;#ASMSTART
	v_dot2_f32_f16 v6, v4, v12, v6
	;;#ASMEND
	s_waitcnt lgkmcnt(3)
	;;#ASMSTART
	v_dot2_f32_f16 v24, v1, v35, v24
	;;#ASMEND
	;;#ASMSTART
	v_dot2_f32_f16 v24, v2, v36, v24
	;;#ASMEND
	;;#ASMSTART
	v_dot2_f32_f16 v24, v3, v37, v24
	;;#ASMEND
	;;#ASMSTART
	v_dot2_f32_f16 v24, v4, v38, v24
	;;#ASMEND
	;; [unrolled: 13-line block ×3, first 2 shown]
	;;#ASMSTART
	v_dot2_f32_f16 v25, v39, v35, v25
	;;#ASMEND
	;;#ASMSTART
	v_dot2_f32_f16 v25, v40, v36, v25
	;;#ASMEND
	;; [unrolled: 3-line block ×4, first 2 shown]
	s_waitcnt lgkmcnt(1)
	;;#ASMSTART
	v_dot2_f32_f16 v29, v43, v9, v29
	;;#ASMEND
	;;#ASMSTART
	v_dot2_f32_f16 v29, v44, v10, v29
	;;#ASMEND
	;; [unrolled: 3-line block ×8, first 2 shown]
	s_waitcnt lgkmcnt(0)
	;;#ASMSTART
	v_dot2_f32_f16 v30, v47, v9, v30
	;;#ASMEND
	;;#ASMSTART
	v_dot2_f32_f16 v30, v48, v10, v30
	;;#ASMEND
	;;#ASMSTART
	v_dot2_f32_f16 v30, v49, v11, v30
	;;#ASMEND
	;;#ASMSTART
	v_dot2_f32_f16 v30, v50, v12, v30
	;;#ASMEND
	;;#ASMSTART
	v_dot2_f32_f16 v27, v47, v35, v27
	;;#ASMEND
	;;#ASMSTART
	v_dot2_f32_f16 v27, v48, v36, v27
	;;#ASMEND
	;;#ASMSTART
	v_dot2_f32_f16 v27, v49, v37, v27
	;;#ASMEND
	;;#ASMSTART
	v_dot2_f32_f16 v27, v50, v38, v27
	;;#ASMEND
	ds_read_b128 v[1:4], v83 offset:128
	ds_read_b128 v[9:12], v73 offset:39040
	;; [unrolled: 1-line block ×6, first 2 shown]
	s_waitcnt lgkmcnt(4)
	;;#ASMSTART
	v_dot2_f32_f16 v6, v1, v9, v6
	;;#ASMEND
	;;#ASMSTART
	v_dot2_f32_f16 v6, v2, v10, v6
	;;#ASMEND
	;;#ASMSTART
	v_dot2_f32_f16 v6, v3, v11, v6
	;;#ASMEND
	;;#ASMSTART
	v_dot2_f32_f16 v6, v4, v12, v6
	;;#ASMEND
	s_waitcnt lgkmcnt(3)
	;;#ASMSTART
	v_dot2_f32_f16 v24, v1, v35, v24
	;;#ASMEND
	;;#ASMSTART
	v_dot2_f32_f16 v24, v2, v36, v24
	;;#ASMEND
	;;#ASMSTART
	v_dot2_f32_f16 v24, v3, v37, v24
	;;#ASMEND
	;;#ASMSTART
	v_dot2_f32_f16 v24, v4, v38, v24
	;;#ASMEND
	;; [unrolled: 13-line block ×3, first 2 shown]
	;;#ASMSTART
	v_dot2_f32_f16 v25, v39, v35, v25
	;;#ASMEND
	;;#ASMSTART
	v_dot2_f32_f16 v25, v40, v36, v25
	;;#ASMEND
	;; [unrolled: 3-line block ×4, first 2 shown]
	s_waitcnt lgkmcnt(1)
	;;#ASMSTART
	v_dot2_f32_f16 v29, v43, v9, v29
	;;#ASMEND
	;;#ASMSTART
	v_dot2_f32_f16 v29, v44, v10, v29
	;;#ASMEND
	;; [unrolled: 3-line block ×8, first 2 shown]
	s_waitcnt lgkmcnt(0)
	;;#ASMSTART
	v_dot2_f32_f16 v30, v47, v9, v30
	;;#ASMEND
	;;#ASMSTART
	v_dot2_f32_f16 v30, v48, v10, v30
	;;#ASMEND
	;; [unrolled: 3-line block ×8, first 2 shown]
	ds_read_b128 v[1:4], v83 offset:144
	ds_read_b128 v[9:12], v73 offset:39056
	;; [unrolled: 1-line block ×6, first 2 shown]
	s_waitcnt lgkmcnt(4)
	;;#ASMSTART
	v_dot2_f32_f16 v6, v1, v9, v6
	;;#ASMEND
	;;#ASMSTART
	v_dot2_f32_f16 v6, v2, v10, v6
	;;#ASMEND
	;;#ASMSTART
	v_dot2_f32_f16 v6, v3, v11, v6
	;;#ASMEND
	;;#ASMSTART
	v_dot2_f32_f16 v6, v4, v12, v6
	;;#ASMEND
	s_waitcnt lgkmcnt(3)
	;;#ASMSTART
	v_dot2_f32_f16 v24, v1, v35, v24
	;;#ASMEND
	;;#ASMSTART
	v_dot2_f32_f16 v24, v2, v36, v24
	;;#ASMEND
	;;#ASMSTART
	v_dot2_f32_f16 v24, v3, v37, v24
	;;#ASMEND
	;;#ASMSTART
	v_dot2_f32_f16 v24, v4, v38, v24
	;;#ASMEND
	;; [unrolled: 13-line block ×3, first 2 shown]
	;;#ASMSTART
	v_dot2_f32_f16 v25, v39, v35, v25
	;;#ASMEND
	;;#ASMSTART
	v_dot2_f32_f16 v25, v40, v36, v25
	;;#ASMEND
	;; [unrolled: 3-line block ×4, first 2 shown]
	s_waitcnt lgkmcnt(1)
	;;#ASMSTART
	v_dot2_f32_f16 v29, v43, v9, v29
	;;#ASMEND
	;;#ASMSTART
	v_dot2_f32_f16 v29, v44, v10, v29
	;;#ASMEND
	;; [unrolled: 3-line block ×8, first 2 shown]
	s_waitcnt lgkmcnt(0)
	;;#ASMSTART
	v_dot2_f32_f16 v30, v47, v9, v30
	;;#ASMEND
	;;#ASMSTART
	v_dot2_f32_f16 v30, v48, v10, v30
	;;#ASMEND
	;; [unrolled: 3-line block ×8, first 2 shown]
	ds_read_b128 v[1:4], v83 offset:160
	ds_read_b128 v[9:12], v73 offset:39072
	;; [unrolled: 1-line block ×6, first 2 shown]
	s_waitcnt lgkmcnt(4)
	;;#ASMSTART
	v_dot2_f32_f16 v6, v1, v9, v6
	;;#ASMEND
	;;#ASMSTART
	v_dot2_f32_f16 v6, v2, v10, v6
	;;#ASMEND
	;;#ASMSTART
	v_dot2_f32_f16 v6, v3, v11, v6
	;;#ASMEND
	;;#ASMSTART
	v_dot2_f32_f16 v6, v4, v12, v6
	;;#ASMEND
	s_waitcnt lgkmcnt(3)
	;;#ASMSTART
	v_dot2_f32_f16 v24, v1, v35, v24
	;;#ASMEND
	;;#ASMSTART
	v_dot2_f32_f16 v24, v2, v36, v24
	;;#ASMEND
	;;#ASMSTART
	v_dot2_f32_f16 v24, v3, v37, v24
	;;#ASMEND
	;;#ASMSTART
	v_dot2_f32_f16 v24, v4, v38, v24
	;;#ASMEND
	;; [unrolled: 13-line block ×3, first 2 shown]
	;;#ASMSTART
	v_dot2_f32_f16 v25, v39, v35, v25
	;;#ASMEND
	;;#ASMSTART
	v_dot2_f32_f16 v25, v40, v36, v25
	;;#ASMEND
	;; [unrolled: 3-line block ×4, first 2 shown]
	s_waitcnt lgkmcnt(1)
	;;#ASMSTART
	v_dot2_f32_f16 v29, v43, v9, v29
	;;#ASMEND
	;;#ASMSTART
	v_dot2_f32_f16 v29, v44, v10, v29
	;;#ASMEND
	;;#ASMSTART
	v_dot2_f32_f16 v29, v45, v11, v29
	;;#ASMEND
	;;#ASMSTART
	v_dot2_f32_f16 v29, v46, v12, v29
	;;#ASMEND
	;;#ASMSTART
	v_dot2_f32_f16 v26, v43, v35, v26
	;;#ASMEND
	;;#ASMSTART
	v_dot2_f32_f16 v26, v44, v36, v26
	;;#ASMEND
	;;#ASMSTART
	v_dot2_f32_f16 v26, v45, v37, v26
	;;#ASMEND
	;;#ASMSTART
	v_dot2_f32_f16 v26, v46, v38, v26
	;;#ASMEND
	s_waitcnt lgkmcnt(0)
	;;#ASMSTART
	v_dot2_f32_f16 v30, v47, v9, v30
	;;#ASMEND
	;;#ASMSTART
	v_dot2_f32_f16 v30, v48, v10, v30
	;;#ASMEND
	;; [unrolled: 3-line block ×8, first 2 shown]
	ds_read_b128 v[1:4], v83 offset:176
	ds_read_b128 v[9:12], v73 offset:39088
	;; [unrolled: 1-line block ×6, first 2 shown]
	s_waitcnt lgkmcnt(4)
	;;#ASMSTART
	v_dot2_f32_f16 v6, v1, v9, v6
	;;#ASMEND
	;;#ASMSTART
	v_dot2_f32_f16 v6, v2, v10, v6
	;;#ASMEND
	;;#ASMSTART
	v_dot2_f32_f16 v6, v3, v11, v6
	;;#ASMEND
	;;#ASMSTART
	v_dot2_f32_f16 v6, v4, v12, v6
	;;#ASMEND
	s_waitcnt lgkmcnt(3)
	;;#ASMSTART
	v_dot2_f32_f16 v24, v1, v35, v24
	;;#ASMEND
	;;#ASMSTART
	v_dot2_f32_f16 v24, v2, v36, v24
	;;#ASMEND
	;;#ASMSTART
	v_dot2_f32_f16 v24, v3, v37, v24
	;;#ASMEND
	;;#ASMSTART
	v_dot2_f32_f16 v24, v4, v38, v24
	;;#ASMEND
	;; [unrolled: 13-line block ×3, first 2 shown]
	;;#ASMSTART
	v_dot2_f32_f16 v25, v39, v35, v25
	;;#ASMEND
	;;#ASMSTART
	v_dot2_f32_f16 v25, v40, v36, v25
	;;#ASMEND
	;; [unrolled: 3-line block ×4, first 2 shown]
	s_waitcnt lgkmcnt(1)
	;;#ASMSTART
	v_dot2_f32_f16 v29, v43, v9, v29
	;;#ASMEND
	;;#ASMSTART
	v_dot2_f32_f16 v29, v44, v10, v29
	;;#ASMEND
	;; [unrolled: 3-line block ×8, first 2 shown]
	s_waitcnt lgkmcnt(0)
	;;#ASMSTART
	v_dot2_f32_f16 v30, v47, v9, v30
	;;#ASMEND
	;;#ASMSTART
	v_dot2_f32_f16 v30, v48, v10, v30
	;;#ASMEND
	;; [unrolled: 3-line block ×8, first 2 shown]
	ds_read_b128 v[1:4], v83 offset:192
	ds_read_b128 v[9:12], v73 offset:39104
	;; [unrolled: 1-line block ×6, first 2 shown]
	s_waitcnt lgkmcnt(4)
	;;#ASMSTART
	v_dot2_f32_f16 v6, v1, v9, v6
	;;#ASMEND
	;;#ASMSTART
	v_dot2_f32_f16 v6, v2, v10, v6
	;;#ASMEND
	;;#ASMSTART
	v_dot2_f32_f16 v6, v3, v11, v6
	;;#ASMEND
	;;#ASMSTART
	v_dot2_f32_f16 v6, v4, v12, v6
	;;#ASMEND
	s_waitcnt lgkmcnt(3)
	;;#ASMSTART
	v_dot2_f32_f16 v24, v1, v35, v24
	;;#ASMEND
	;;#ASMSTART
	v_dot2_f32_f16 v24, v2, v36, v24
	;;#ASMEND
	;;#ASMSTART
	v_dot2_f32_f16 v24, v3, v37, v24
	;;#ASMEND
	;;#ASMSTART
	v_dot2_f32_f16 v24, v4, v38, v24
	;;#ASMEND
	;; [unrolled: 13-line block ×3, first 2 shown]
	;;#ASMSTART
	v_dot2_f32_f16 v25, v39, v35, v25
	;;#ASMEND
	;;#ASMSTART
	v_dot2_f32_f16 v25, v40, v36, v25
	;;#ASMEND
	;; [unrolled: 3-line block ×4, first 2 shown]
	s_waitcnt lgkmcnt(1)
	;;#ASMSTART
	v_dot2_f32_f16 v29, v43, v9, v29
	;;#ASMEND
	;;#ASMSTART
	v_dot2_f32_f16 v29, v44, v10, v29
	;;#ASMEND
	;;#ASMSTART
	v_dot2_f32_f16 v29, v45, v11, v29
	;;#ASMEND
	;;#ASMSTART
	v_dot2_f32_f16 v29, v46, v12, v29
	;;#ASMEND
	;;#ASMSTART
	v_dot2_f32_f16 v26, v43, v35, v26
	;;#ASMEND
	;;#ASMSTART
	v_dot2_f32_f16 v26, v44, v36, v26
	;;#ASMEND
	;;#ASMSTART
	v_dot2_f32_f16 v26, v45, v37, v26
	;;#ASMEND
	;;#ASMSTART
	v_dot2_f32_f16 v26, v46, v38, v26
	;;#ASMEND
	s_waitcnt lgkmcnt(0)
	;;#ASMSTART
	v_dot2_f32_f16 v30, v47, v9, v30
	;;#ASMEND
	;;#ASMSTART
	v_dot2_f32_f16 v30, v48, v10, v30
	;;#ASMEND
	;; [unrolled: 3-line block ×8, first 2 shown]
	ds_read_b128 v[1:4], v83 offset:208
	ds_read_b128 v[9:12], v73 offset:39120
	;; [unrolled: 1-line block ×6, first 2 shown]
	s_waitcnt lgkmcnt(4)
	;;#ASMSTART
	v_dot2_f32_f16 v6, v1, v9, v6
	;;#ASMEND
	;;#ASMSTART
	v_dot2_f32_f16 v6, v2, v10, v6
	;;#ASMEND
	;;#ASMSTART
	v_dot2_f32_f16 v6, v3, v11, v6
	;;#ASMEND
	;;#ASMSTART
	v_dot2_f32_f16 v6, v4, v12, v6
	;;#ASMEND
	s_waitcnt lgkmcnt(3)
	;;#ASMSTART
	v_dot2_f32_f16 v24, v1, v35, v24
	;;#ASMEND
	;;#ASMSTART
	v_dot2_f32_f16 v24, v2, v36, v24
	;;#ASMEND
	;;#ASMSTART
	v_dot2_f32_f16 v24, v3, v37, v24
	;;#ASMEND
	;;#ASMSTART
	v_dot2_f32_f16 v24, v4, v38, v24
	;;#ASMEND
	;; [unrolled: 13-line block ×3, first 2 shown]
	;;#ASMSTART
	v_dot2_f32_f16 v25, v39, v35, v25
	;;#ASMEND
	;;#ASMSTART
	v_dot2_f32_f16 v25, v40, v36, v25
	;;#ASMEND
	;; [unrolled: 3-line block ×4, first 2 shown]
	s_waitcnt lgkmcnt(1)
	;;#ASMSTART
	v_dot2_f32_f16 v29, v43, v9, v29
	;;#ASMEND
	;;#ASMSTART
	v_dot2_f32_f16 v29, v44, v10, v29
	;;#ASMEND
	;;#ASMSTART
	v_dot2_f32_f16 v29, v45, v11, v29
	;;#ASMEND
	;;#ASMSTART
	v_dot2_f32_f16 v29, v46, v12, v29
	;;#ASMEND
	;;#ASMSTART
	v_dot2_f32_f16 v26, v43, v35, v26
	;;#ASMEND
	;;#ASMSTART
	v_dot2_f32_f16 v26, v44, v36, v26
	;;#ASMEND
	;;#ASMSTART
	v_dot2_f32_f16 v26, v45, v37, v26
	;;#ASMEND
	;;#ASMSTART
	v_dot2_f32_f16 v26, v46, v38, v26
	;;#ASMEND
	s_waitcnt lgkmcnt(0)
	;;#ASMSTART
	v_dot2_f32_f16 v30, v47, v9, v30
	;;#ASMEND
	;;#ASMSTART
	v_dot2_f32_f16 v30, v48, v10, v30
	;;#ASMEND
	;; [unrolled: 3-line block ×8, first 2 shown]
	ds_read_b128 v[1:4], v83 offset:224
	ds_read_b128 v[9:12], v73 offset:39136
	;; [unrolled: 1-line block ×6, first 2 shown]
	s_waitcnt lgkmcnt(4)
	;;#ASMSTART
	v_dot2_f32_f16 v6, v1, v9, v6
	;;#ASMEND
	;;#ASMSTART
	v_dot2_f32_f16 v6, v2, v10, v6
	;;#ASMEND
	;;#ASMSTART
	v_dot2_f32_f16 v6, v3, v11, v6
	;;#ASMEND
	;;#ASMSTART
	v_dot2_f32_f16 v6, v4, v12, v6
	;;#ASMEND
	s_waitcnt lgkmcnt(3)
	;;#ASMSTART
	v_dot2_f32_f16 v24, v1, v35, v24
	;;#ASMEND
	;;#ASMSTART
	v_dot2_f32_f16 v24, v2, v36, v24
	;;#ASMEND
	;;#ASMSTART
	v_dot2_f32_f16 v24, v3, v37, v24
	;;#ASMEND
	;;#ASMSTART
	v_dot2_f32_f16 v24, v4, v38, v24
	;;#ASMEND
	;; [unrolled: 13-line block ×3, first 2 shown]
	;;#ASMSTART
	v_dot2_f32_f16 v25, v39, v35, v25
	;;#ASMEND
	;;#ASMSTART
	v_dot2_f32_f16 v25, v40, v36, v25
	;;#ASMEND
	;; [unrolled: 3-line block ×4, first 2 shown]
	s_waitcnt lgkmcnt(1)
	;;#ASMSTART
	v_dot2_f32_f16 v29, v43, v9, v29
	;;#ASMEND
	;;#ASMSTART
	v_dot2_f32_f16 v29, v44, v10, v29
	;;#ASMEND
	;; [unrolled: 3-line block ×8, first 2 shown]
	s_waitcnt lgkmcnt(0)
	;;#ASMSTART
	v_dot2_f32_f16 v30, v47, v9, v30
	;;#ASMEND
	;;#ASMSTART
	v_dot2_f32_f16 v30, v48, v10, v30
	;;#ASMEND
	;; [unrolled: 3-line block ×8, first 2 shown]
	ds_read_b128 v[9:12], v83 offset:240
	ds_read_b128 v[38:41], v73 offset:39152
	;; [unrolled: 1-line block ×6, first 2 shown]
	s_waitcnt lgkmcnt(4)
	;;#ASMSTART
	v_dot2_f32_f16 v6, v9, v38, v6
	;;#ASMEND
	;;#ASMSTART
	v_dot2_f32_f16 v6, v10, v39, v6
	;;#ASMEND
	;;#ASMSTART
	v_dot2_f32_f16 v6, v11, v40, v6
	;;#ASMEND
	;;#ASMSTART
	v_dot2_f32_f16 v6, v12, v41, v6
	;;#ASMEND
	s_waitcnt lgkmcnt(3)
	;;#ASMSTART
	v_dot2_f32_f16 v24, v9, v42, v24
	;;#ASMEND
	;;#ASMSTART
	v_dot2_f32_f16 v24, v10, v43, v24
	;;#ASMEND
	;;#ASMSTART
	v_dot2_f32_f16 v24, v11, v44, v24
	;;#ASMEND
	;;#ASMSTART
	v_dot2_f32_f16 v24, v12, v45, v24
	;;#ASMEND
	;; [unrolled: 13-line block ×3, first 2 shown]
	;;#ASMSTART
	v_dot2_f32_f16 v25, v46, v42, v25
	;;#ASMEND
	;;#ASMSTART
	v_dot2_f32_f16 v25, v47, v43, v25
	;;#ASMEND
	;; [unrolled: 3-line block ×4, first 2 shown]
	s_waitcnt lgkmcnt(1)
	;;#ASMSTART
	v_dot2_f32_f16 v29, v50, v38, v29
	;;#ASMEND
	;;#ASMSTART
	v_dot2_f32_f16 v29, v51, v39, v29
	;;#ASMEND
	;; [unrolled: 3-line block ×5, first 2 shown]
	v_mad_u64_u32 v[3:4], null, v82, s22, s[18:19]
	;;#ASMSTART
	v_dot2_f32_f16 v26, v51, v43, v26
	;;#ASMEND
	;;#ASMSTART
	v_dot2_f32_f16 v26, v52, v44, v26
	;;#ASMEND
	v_mov_b32_e32 v1, v33
	;;#ASMSTART
	v_dot2_f32_f16 v26, v53, v45, v26
	;;#ASMEND
	s_waitcnt lgkmcnt(0)
	;;#ASMSTART
	v_dot2_f32_f16 v30, v54, v38, v30
	;;#ASMEND
	v_mov_b32_e32 v2, v34
	v_cndmask_b32_e64 v37, 0, 1, s16
	;;#ASMSTART
	v_dot2_f32_f16 v30, v55, v39, v30
	;;#ASMEND
	;;#ASMSTART
	v_dot2_f32_f16 v30, v56, v40, v30
	;;#ASMEND
	;; [unrolled: 3-line block ×7, first 2 shown]
	s_and_saveexec_b32 s15, s14
	s_cbranch_execz .LBB59_36
; %bb.33:
	s_andn2_b32 vcc_lo, exec_lo, s16
	s_cbranch_vccnz .LBB59_35
; %bb.34:
	v_add_nc_u32_e32 v1, v3, v0
	v_ashrrev_i32_e32 v2, 31, v1
	v_lshlrev_b64 v[1:2], 1, v[1:2]
	v_add_co_u32 v1, vcc_lo, s46, v1
	v_add_co_ci_u32_e64 v2, null, s47, v2, vcc_lo
	global_load_ushort v1, v[1:2], off
	s_waitcnt vmcnt(0)
	v_cvt_f32_f16_e32 v1, v1
	v_mul_f32_e32 v5, v79, v1
.LBB59_35:
	v_add_f32_e32 v6, v6, v5
	v_max_f32_e32 v1, v33, v33
	v_add_f32_e32 v2, 0x40051340, v6
	v_max_f32_e32 v1, v1, v2
	v_mov_b32_e32 v2, v34
.LBB59_36:
	s_or_b32 exec_lo, exec_lo, s15
	v_add_nc_u32_e32 v31, 32, v0
	v_cmp_gt_i32_e64 s15, s38, v31
	s_and_saveexec_b32 s16, s15
	s_cbranch_execz .LBB59_41
; %bb.37:
	v_cmp_ne_u32_e32 vcc_lo, 1, v37
	s_cbranch_vccnz .LBB59_39
; %bb.38:
	v_ashrrev_i32_e32 v5, 31, v3
	v_add_co_u32 v4, vcc_lo, v3, v0
	v_add_co_ci_u32_e64 v5, null, 0, v5, vcc_lo
	v_lshlrev_b64 v[4:5], 1, v[4:5]
	v_add_co_u32 v4, vcc_lo, s46, v4
	v_add_co_ci_u32_e64 v5, null, s47, v5, vcc_lo
	global_load_ushort v4, v[4:5], off offset:64
	s_waitcnt vmcnt(0)
	v_cvt_f32_f16_e32 v4, v4
	v_mul_f32_e32 v4, v79, v4
	s_branch .LBB59_40
.LBB59_39:
	v_mov_b32_e32 v4, 0
.LBB59_40:
	v_add_f32_e32 v28, v28, v4
	v_max_f32_e32 v1, v1, v1
	v_add_f32_e32 v4, 0x40051340, v28
	v_max_f32_e32 v1, v1, v4
.LBB59_41:
	s_or_b32 exec_lo, exec_lo, s16
	v_add_nc_u32_e32 v32, 64, v0
	v_cmp_gt_i32_e64 s16, s38, v32
	s_and_saveexec_b32 s17, s16
	s_cbranch_execz .LBB59_46
; %bb.42:
	v_cmp_ne_u32_e32 vcc_lo, 1, v37
	s_cbranch_vccnz .LBB59_44
; %bb.43:
	v_ashrrev_i32_e32 v5, 31, v3
	v_add_co_u32 v4, vcc_lo, v3, v0
	v_add_co_ci_u32_e64 v5, null, 0, v5, vcc_lo
	v_lshlrev_b64 v[4:5], 1, v[4:5]
	v_add_co_u32 v4, vcc_lo, s46, v4
	v_add_co_ci_u32_e64 v5, null, s47, v5, vcc_lo
	global_load_ushort v4, v[4:5], off offset:128
	s_waitcnt vmcnt(0)
	v_cvt_f32_f16_e32 v4, v4
	v_mul_f32_e32 v4, v79, v4
	s_branch .LBB59_45
.LBB59_44:
	v_mov_b32_e32 v4, 0
.LBB59_45:
	v_add_f32_e32 v29, v29, v4
	v_max_f32_e32 v1, v1, v1
	v_add_f32_e32 v4, 0x40051340, v29
	v_max_f32_e32 v1, v1, v4
.LBB59_46:
	;; [unrolled: 28-line block ×3, first 2 shown]
	s_or_b32 exec_lo, exec_lo, s23
	v_xor_b32_e32 v10, 16, v72
	v_xor_b32_e32 v9, 8, v72
	;; [unrolled: 1-line block ×5, first 2 shown]
	v_cmp_gt_i32_e32 vcc_lo, 32, v10
	v_mul_hi_u32 v14, s28, v81
	v_cndmask_b32_e32 v3, v72, v10, vcc_lo
	v_cmp_gt_i32_e32 vcc_lo, 32, v9
	v_lshlrev_b32_e32 v39, 2, v3
	v_cndmask_b32_e32 v4, v72, v9, vcc_lo
	v_cmp_gt_i32_e32 vcc_lo, 32, v11
	ds_bpermute_b32 v3, v39, v1
	v_max_f32_e32 v1, v1, v1
	v_lshlrev_b32_e32 v40, 2, v4
	v_cndmask_b32_e32 v4, v72, v11, vcc_lo
	v_cmp_gt_i32_e32 vcc_lo, 32, v12
	v_lshlrev_b32_e32 v38, 2, v4
	v_cndmask_b32_e32 v4, v72, v12, vcc_lo
	v_cmp_gt_i32_e32 vcc_lo, 32, v13
	v_lshlrev_b32_e32 v36, 2, v4
	v_cndmask_b32_e32 v4, v72, v13, vcc_lo
	s_waitcnt lgkmcnt(0)
	v_max_f32_e32 v3, v3, v3
	v_max_f32_e32 v1, v1, v3
	ds_bpermute_b32 v3, v40, v1
	s_waitcnt lgkmcnt(0)
	v_max_f32_e32 v3, v3, v3
	v_max_f32_e32 v1, v1, v3
	ds_bpermute_b32 v3, v38, v1
	;; [unrolled: 4-line block ×3, first 2 shown]
	s_waitcnt lgkmcnt(0)
	v_max_f32_e32 v5, v1, v1
	v_lshlrev_b32_e32 v1, 2, v4
	v_max_f32_e32 v5, v3, v5
	v_add_nc_u32_e32 v3, v81, v14
	v_mov_b32_e32 v14, 32
	ds_bpermute_b32 v4, v1, v5
	v_lshrrev_b32_e32 v3, s29, v3
	v_mul_lo_u32 v3, v3, s30
	v_sub_nc_u32_e32 v3, v81, v3
	s_waitcnt lgkmcnt(0)
	v_max_f32_e32 v41, v4, v4
	v_mad_u64_u32 v[3:4], null, v3, s22, s[18:19]
	v_max_f32_e32 v5, v5, v41
	s_and_saveexec_b32 s22, s14
	s_cbranch_execnz .LBB59_55
; %bb.52:
	s_or_b32 exec_lo, exec_lo, s22
	s_and_saveexec_b32 s14, s15
	s_cbranch_execnz .LBB59_59
.LBB59_53:
	s_or_b32 exec_lo, exec_lo, s14
	s_and_saveexec_b32 s14, s16
	s_cbranch_execnz .LBB59_63
.LBB59_54:
	s_or_b32 exec_lo, exec_lo, s14
	s_and_saveexec_b32 s14, s17
	s_cbranch_execnz .LBB59_67
	s_branch .LBB59_71
.LBB59_55:
	v_cmp_ne_u32_e32 vcc_lo, 1, v37
	s_cbranch_vccnz .LBB59_57
; %bb.56:
	v_add_nc_u32_e32 v41, v3, v0
	v_ashrrev_i32_e32 v42, 31, v41
	v_lshlrev_b64 v[41:42], 1, v[41:42]
	v_add_co_u32 v41, vcc_lo, s46, v41
	v_add_co_ci_u32_e64 v42, null, s47, v42, vcc_lo
	global_load_ushort v4, v[41:42], off
	s_waitcnt vmcnt(0)
	v_cvt_f32_f16_e32 v4, v4
	v_mul_f32_e32 v4, v79, v4
	s_branch .LBB59_58
.LBB59_57:
	v_mov_b32_e32 v4, 0
.LBB59_58:
	v_add_f32_e32 v24, v24, v4
	v_max_f32_e32 v2, v2, v2
	v_add_f32_e32 v4, 0x40051340, v24
	v_max_f32_e32 v2, v2, v4
	s_or_b32 exec_lo, exec_lo, s22
	s_and_saveexec_b32 s14, s15
	s_cbranch_execz .LBB59_53
.LBB59_59:
	v_cmp_ne_u32_e32 vcc_lo, 1, v37
	s_cbranch_vccnz .LBB59_61
; %bb.60:
	v_ashrrev_i32_e32 v4, 31, v3
	v_add_co_u32 v41, vcc_lo, v3, v0
	v_add_co_ci_u32_e64 v42, null, 0, v4, vcc_lo
	v_lshlrev_b64 v[41:42], 1, v[41:42]
	v_add_co_u32 v41, vcc_lo, s46, v41
	v_add_co_ci_u32_e64 v42, null, s47, v42, vcc_lo
	global_load_ushort v4, v[41:42], off offset:64
	s_waitcnt vmcnt(0)
	v_cvt_f32_f16_e32 v4, v4
	v_mul_f32_e32 v4, v79, v4
	s_branch .LBB59_62
.LBB59_61:
	v_mov_b32_e32 v4, 0
.LBB59_62:
	v_add_f32_e32 v25, v25, v4
	v_max_f32_e32 v2, v2, v2
	v_add_f32_e32 v4, 0x40051340, v25
	v_max_f32_e32 v2, v2, v4
	s_or_b32 exec_lo, exec_lo, s14
	s_and_saveexec_b32 s14, s16
	s_cbranch_execz .LBB59_54
.LBB59_63:
	v_cmp_ne_u32_e32 vcc_lo, 1, v37
	s_cbranch_vccnz .LBB59_65
; %bb.64:
	v_ashrrev_i32_e32 v4, 31, v3
	v_add_co_u32 v41, vcc_lo, v3, v0
	v_add_co_ci_u32_e64 v42, null, 0, v4, vcc_lo
	v_lshlrev_b64 v[41:42], 1, v[41:42]
	v_add_co_u32 v41, vcc_lo, s46, v41
	v_add_co_ci_u32_e64 v42, null, s47, v42, vcc_lo
	global_load_ushort v4, v[41:42], off offset:128
	s_waitcnt vmcnt(0)
	v_cvt_f32_f16_e32 v4, v4
	v_mul_f32_e32 v4, v79, v4
	s_branch .LBB59_66
.LBB59_65:
	v_mov_b32_e32 v4, 0
.LBB59_66:
	v_add_f32_e32 v26, v26, v4
	v_max_f32_e32 v2, v2, v2
	v_add_f32_e32 v4, 0x40051340, v26
	v_max_f32_e32 v2, v2, v4
	s_or_b32 exec_lo, exec_lo, s14
	s_and_saveexec_b32 s14, s17
	s_cbranch_execz .LBB59_71
.LBB59_67:
	v_cmp_ne_u32_e32 vcc_lo, 1, v37
	s_cbranch_vccnz .LBB59_69
; %bb.68:
	v_ashrrev_i32_e32 v4, 31, v3
	v_add_co_u32 v3, vcc_lo, v3, v0
	v_add_co_ci_u32_e64 v4, null, 0, v4, vcc_lo
	v_lshlrev_b64 v[3:4], 1, v[3:4]
	v_add_co_u32 v3, vcc_lo, s46, v3
	v_add_co_ci_u32_e64 v4, null, s47, v4, vcc_lo
	global_load_ushort v3, v[3:4], off offset:192
	s_waitcnt vmcnt(0)
	v_cvt_f32_f16_e32 v3, v3
	v_mul_f32_e32 v3, v79, v3
	s_branch .LBB59_70
.LBB59_69:
	v_mov_b32_e32 v3, 0
.LBB59_70:
	v_add_f32_e32 v27, v27, v3
	v_max_f32_e32 v2, v2, v2
	v_add_f32_e32 v3, 0x40051340, v27
	v_max_f32_e32 v2, v2, v3
.LBB59_71:
	s_or_b32 exec_lo, exec_lo, s14
	ds_bpermute_b32 v3, v39, v2
	v_max_f32_e32 v2, v2, v2
	v_sub_f32_e32 v39, v6, v5
	v_sub_f32_e32 v6, v28, v5
	;; [unrolled: 1-line block ×3, first 2 shown]
	v_mul_lo_u32 v41, s35, v20
	v_sub_f32_e32 v29, v29, v5
	v_mul_f32_e32 v30, 0x3fb8aa3b, v39
	v_mul_f32_e32 v44, 0x3fb8aa3b, v6
	;; [unrolled: 1-line block ×3, first 2 shown]
	s_mul_hi_i32 s15, s18, s35
	v_mul_f32_e32 v45, 0x3fb8aa3b, v29
	v_fma_f32 v47, 0x3fb8aa3b, v39, -v30
	v_rndne_f32_e32 v48, v30
	v_fma_f32 v49, 0x3fb8aa3b, v6, -v44
	v_rndne_f32_e32 v50, v44
	v_fma_f32 v51, 0x3fb8aa3b, v29, -v45
	v_fmac_f32_e32 v47, 0x32a5705f, v39
	v_sub_f32_e32 v30, v30, v48
	v_rndne_f32_e32 v52, v45
	s_waitcnt lgkmcnt(0)
	v_max_f32_e32 v3, v3, v3
	v_fmac_f32_e32 v49, 0x32a5705f, v6
	v_sub_f32_e32 v44, v44, v50
	v_add_f32_e32 v30, v30, v47
	s_mul_i32 s14, s18, s35
	v_max_f32_e32 v2, v2, v3
	s_lshl_b64 s[14:15], s[14:15], 2
	v_fma_f32 v53, 0x3fb8aa3b, v28, -v46
	v_rndne_f32_e32 v54, v46
	v_fmac_f32_e32 v51, 0x32a5705f, v29
	ds_bpermute_b32 v3, v40, v2
	v_sub_f32_e32 v45, v45, v52
	v_add_f32_e32 v44, v44, v49
	v_exp_f32_e32 v30, v30
	s_add_u32 s18, s37, s14
	s_mov_b64 s[22:23], src_private_base
	s_addc_u32 s22, s36, s15
	v_cvt_i32_f32_e32 v48, v48
	v_fmac_f32_e32 v53, 0x32a5705f, v28
	v_sub_f32_e32 v46, v46, v54
	v_add_f32_e32 v45, v45, v51
	v_cvt_i32_f32_e32 v50, v50
	v_cvt_i32_f32_e32 v52, v52
	v_ldexp_f32 v30, v30, v48
	v_add_f32_e32 v46, v46, v53
	v_cmp_gt_u32_e64 s14, s38, v31
	v_lshl_add_u32 v4, v31, 2, v80
	v_cmp_gt_u32_e64 s15, s38, v32
	v_lshl_add_u32 v37, v32, 2, v80
	v_cmp_gt_u32_e64 s16, s38, v35
	s_waitcnt lgkmcnt(0)
	v_max_f32_e32 v3, v3, v3
	s_barrier
	buffer_gl0_inv
	v_lshl_or_b32 v20, v20, 8, v15
	v_max_f32_e32 v40, v2, v3
	v_add_nc_u32_e32 v3, v80, v71
	v_mov_b32_e32 v2, 0
	v_lshl_or_b32 v19, v19, 8, v15
	v_lshl_or_b32 v18, v18, 8, v15
	ds_bpermute_b32 v42, v38, v40
	v_lshl_add_u32 v38, v35, 2, v80
	buffer_store_dword v2, off, s[0:3], 0
	buffer_store_dword v2, off, s[0:3], 0 offset:4
	buffer_store_dword v2, off, s[0:3], 0 offset:8
	;; [unrolled: 1-line block ×3, first 2 shown]
	v_lshl_or_b32 v17, v17, 8, v15
	s_waitcnt lgkmcnt(0)
	v_max_f32_e32 v42, v42, v42
	v_max_f32_e32 v40, v40, v42
	v_ashrrev_i32_e32 v42, 31, v41
	ds_bpermute_b32 v36, v36, v40
	v_lshlrev_b64 v[42:43], 2, v[41:42]
	v_add_co_u32 v42, vcc_lo, s18, v42
	v_add_co_ci_u32_e64 v43, null, s22, v43, vcc_lo
	v_add_co_u32 v42, vcc_lo, v42, v15
	v_add_co_ci_u32_e64 v43, null, 0, v43, vcc_lo
	v_cmp_ngt_f32_e32 vcc_lo, 0xc2ce8ed0, v39
	s_waitcnt lgkmcnt(0)
	v_max_f32_e32 v36, v36, v36
	v_cndmask_b32_e32 v30, 0, v30, vcc_lo
	v_cmp_ngt_f32_e32 vcc_lo, 0xc2ce8ed0, v6
	v_max_f32_e32 v36, v40, v36
	v_exp_f32_e32 v40, v44
	v_exp_f32_e32 v44, v45
	;; [unrolled: 1-line block ×3, first 2 shown]
	v_cvt_i32_f32_e32 v46, v54
	ds_bpermute_b32 v1, v1, v36
	v_ldexp_f32 v40, v40, v50
	v_ldexp_f32 v44, v44, v52
	;; [unrolled: 1-line block ×3, first 2 shown]
	v_cndmask_b32_e32 v40, 0, v40, vcc_lo
	v_cmp_ngt_f32_e32 vcc_lo, 0xc2ce8ed0, v29
	v_cndmask_b32_e32 v44, 0, v44, vcc_lo
	v_cmp_ngt_f32_e32 vcc_lo, 0xc2ce8ed0, v28
	s_waitcnt lgkmcnt(0)
	v_max_f32_e32 v1, v1, v1
	v_cndmask_b32_e32 v45, 0, v45, vcc_lo
	v_cmp_nlt_f32_e32 vcc_lo, 0x42b17218, v39
	v_cndmask_b32_e32 v30, 0x7f800000, v30, vcc_lo
	v_cmp_nlt_f32_e32 vcc_lo, 0x42b17218, v6
	v_max_f32_e32 v6, v36, v1
	v_cndmask_b32_e32 v39, 0x7f800000, v40, vcc_lo
	v_cmp_nlt_f32_e32 vcc_lo, 0x42b17218, v29
	v_sub_f32_e32 v24, v24, v6
	v_sub_f32_e32 v29, v25, v6
	v_sub_f32_e32 v36, v27, v6
	v_sub_f32_e32 v26, v26, v6
	v_cndmask_b32_e32 v1, 0x7f800000, v44, vcc_lo
	v_cmp_nlt_f32_e32 vcc_lo, 0x42b17218, v28
	v_mul_f32_e32 v25, 0x3fb8aa3b, v24
	v_mul_f32_e32 v27, 0x3fb8aa3b, v29
	;; [unrolled: 1-line block ×3, first 2 shown]
	v_cndmask_b32_e64 v31, 0, v39, s14
	v_cndmask_b32_e32 v28, 0x7f800000, v45, vcc_lo
	v_fma_f32 v44, 0x3fb8aa3b, v24, -v25
	v_rndne_f32_e32 v45, v25
	v_mul_f32_e32 v39, 0x3fb8aa3b, v26
	v_fma_f32 v46, 0x3fb8aa3b, v29, -v27
	v_rndne_f32_e32 v47, v27
	v_fma_f32 v50, 0x3fb8aa3b, v36, -v40
	v_rndne_f32_e32 v51, v40
	v_fmac_f32_e32 v44, 0x32a5705f, v24
	v_sub_f32_e32 v25, v25, v45
	v_fma_f32 v48, 0x3fb8aa3b, v26, -v39
	v_rndne_f32_e32 v49, v39
	v_fmac_f32_e32 v46, 0x32a5705f, v29
	v_sub_f32_e32 v52, v27, v47
	v_fmac_f32_e32 v50, 0x32a5705f, v36
	v_sub_f32_e32 v40, v40, v51
	v_cndmask_b32_e64 v27, 0, v1, s15
	v_add_f32_e32 v1, v25, v44
	v_fmac_f32_e32 v48, 0x32a5705f, v26
	v_sub_f32_e32 v39, v39, v49
	v_add_f32_e32 v32, v52, v46
	v_add_f32_e32 v40, v40, v50
	v_exp_f32_e32 v1, v1
	v_cndmask_b32_e64 v25, 0, v28, s16
	v_add_f32_e32 v39, v39, v48
	v_exp_f32_e32 v28, v32
	v_exp_f32_e32 v35, v40
	v_cvt_i32_f32_e32 v40, v45
	v_cvt_i32_f32_e32 v44, v47
	v_exp_f32_e32 v32, v39
	v_cmp_ngt_f32_e64 s17, 0xc2ce8ed0, v24
	v_cvt_i32_f32_e32 v45, v49
	v_ldexp_f32 v1, v1, v40
	v_cvt_i32_f32_e32 v46, v51
	v_cmp_gt_u32_e32 vcc_lo, s38, v0
	v_ldexp_f32 v28, v28, v44
	v_cvt_f16_f32_e32 v47, v31
	v_cndmask_b32_e64 v1, 0, v1, s17
	v_cmp_ngt_f32_e64 s17, 0xc2ce8ed0, v29
	v_ldexp_f32 v32, v32, v45
	v_ldexp_f32 v35, v35, v46
	v_cndmask_b32_e32 v30, 0, v30, vcc_lo
	v_cndmask_b32_e64 v28, 0, v28, s17
	v_cmp_ngt_f32_e64 s17, 0xc2ce8ed0, v26
	v_cvt_f16_f32_e32 v39, v30
	v_add_f32_e32 v31, v30, v31
	v_add_nc_u32_e32 v30, 0x6800, v74
	v_cndmask_b32_e64 v32, 0, v32, s17
	v_cmp_ngt_f32_e64 s17, 0xc2ce8ed0, v36
	v_add_f32_e32 v31, v27, v31
	v_cndmask_b32_e64 v35, 0, v35, s17
	v_cmp_nlt_f32_e64 s17, 0x42b17218, v24
	v_cndmask_b32_e64 v1, 0x7f800000, v1, s17
	v_cmp_nlt_f32_e64 s17, 0x42b17218, v29
	v_cndmask_b32_e64 v24, 0x7f800000, v28, s17
	v_cmp_nlt_f32_e64 s17, 0x42b17218, v26
	v_cndmask_b32_e32 v28, 0, v1, vcc_lo
	v_cvt_f16_f32_e32 v1, v25
	v_add_f32_e32 v25, v25, v31
	v_cndmask_b32_e64 v29, 0, v24, s14
	v_cndmask_b32_e64 v26, 0x7f800000, v32, s17
	v_cmp_nlt_f32_e64 s17, 0x42b17218, v36
	v_cvt_f16_f32_e32 v36, v27
	v_cvt_f16_f32_e32 v40, v29
	v_cndmask_b32_e64 v26, 0, v26, s15
	v_cndmask_b32_e64 v32, 0x7f800000, v35, s17
	;; [unrolled: 1-line block ×3, first 2 shown]
	v_cvt_f16_f32_e32 v44, v26
	v_cndmask_b32_e64 v24, 0, v32, s16
	v_cvt_f16_f32_e32 v32, v28
	v_cvt_f16_f32_e32 v45, v24
	v_pack_b32_f16 v32, v39, v32
	v_pack_b32_f16 v39, v47, v40
	;; [unrolled: 1-line block ×3, first 2 shown]
	v_cndmask_b32_e64 v36, s23, v43, s13
	v_pack_b32_f16 v1, v1, v45
	ds_write_b32 v3, v32
	ds_write_b32 v4, v39
	;; [unrolled: 1-line block ×4, first 2 shown]
	s_lshl_b32 s13, s35, 4
	flat_load_dwordx4 v[35:38], v[35:36]
	v_add_nc_u32_e32 v3, s13, v41
	buffer_store_dword v2, off, s[0:3], 0
	buffer_store_dword v2, off, s[0:3], 0 offset:4
	buffer_store_dword v2, off, s[0:3], 0 offset:8
	buffer_store_dword v2, off, s[0:3], 0 offset:12
	v_add_nc_u32_e32 v32, 0x3000, v74
	v_ashrrev_i32_e32 v4, 31, v3
	v_lshlrev_b64 v[39:40], 2, v[3:4]
	v_add_nc_u32_e32 v3, s13, v3
	v_add_co_u32 v1, vcc_lo, s18, v39
	v_add_co_ci_u32_e64 v4, null, s22, v40, vcc_lo
	v_add_co_u32 v1, vcc_lo, v1, v15
	v_add_co_ci_u32_e64 v4, null, 0, v4, vcc_lo
	v_cndmask_b32_e64 v39, 0, v1, s12
	v_cndmask_b32_e64 v40, s23, v4, s12
	v_ashrrev_i32_e32 v4, 31, v3
	s_waitcnt vmcnt(0) lgkmcnt(0)
	ds_write_b128 v20, v[35:38]
	flat_load_dwordx4 v[35:38], v[39:40]
	v_lshlrev_b64 v[39:40], 2, v[3:4]
	v_lshl_or_b32 v20, v23, 8, v15
	buffer_store_dword v2, off, s[0:3], 0
	buffer_store_dword v2, off, s[0:3], 0 offset:4
	buffer_store_dword v2, off, s[0:3], 0 offset:8
	;; [unrolled: 1-line block ×3, first 2 shown]
	v_add_nc_u32_e32 v3, s13, v3
	v_add_co_u32 v1, vcc_lo, s18, v39
	v_add_co_ci_u32_e64 v4, null, s22, v40, vcc_lo
	v_add_co_u32 v1, vcc_lo, v1, v15
	v_add_co_ci_u32_e64 v4, null, 0, v4, vcc_lo
	v_cndmask_b32_e64 v39, 0, v1, s11
	v_cndmask_b32_e64 v40, s23, v4, s11
	v_ashrrev_i32_e32 v4, 31, v3
	s_waitcnt vmcnt(0) lgkmcnt(0)
	ds_write_b128 v20, v[35:38]
	flat_load_dwordx4 v[35:38], v[39:40]
	v_lshlrev_b64 v[39:40], 2, v[3:4]
	v_lshl_or_b32 v20, v22, 8, v15
	buffer_store_dword v2, off, s[0:3], 0
	buffer_store_dword v2, off, s[0:3], 0 offset:4
	buffer_store_dword v2, off, s[0:3], 0 offset:8
	;; [unrolled: 1-line block ×3, first 2 shown]
	v_add_nc_u32_e32 v3, s13, v3
	v_add_co_u32 v1, vcc_lo, s18, v39
	v_add_co_ci_u32_e64 v4, null, s22, v40, vcc_lo
	v_add_co_u32 v1, vcc_lo, v1, v15
	v_add_co_ci_u32_e64 v4, null, 0, v4, vcc_lo
	v_cndmask_b32_e64 v22, 0, v1, s10
	v_cndmask_b32_e64 v23, s23, v4, s10
	v_ashrrev_i32_e32 v4, 31, v3
	s_waitcnt vmcnt(0) lgkmcnt(0)
	ds_write_b128 v20, v[35:38]
	flat_load_dwordx4 v[35:38], v[22:23]
	v_lshlrev_b64 v[22:23], 2, v[3:4]
	buffer_store_dword v2, off, s[0:3], 0
	buffer_store_dword v2, off, s[0:3], 0 offset:4
	buffer_store_dword v2, off, s[0:3], 0 offset:8
	;; [unrolled: 1-line block ×3, first 2 shown]
	v_add_nc_u32_e32 v3, s13, v3
	v_add_co_u32 v1, vcc_lo, s18, v22
	v_add_co_ci_u32_e64 v4, null, s22, v23, vcc_lo
	v_lshl_or_b32 v22, v21, 8, v15
	v_add_co_u32 v1, vcc_lo, v1, v15
	v_add_co_ci_u32_e64 v4, null, 0, v4, vcc_lo
	v_cndmask_b32_e64 v20, 0, v1, s9
	v_cndmask_b32_e64 v21, s23, v4, s9
	v_ashrrev_i32_e32 v4, 31, v3
	s_waitcnt vmcnt(0) lgkmcnt(0)
	ds_write_b128 v22, v[35:38]
	flat_load_dwordx4 v[20:23], v[20:21]
	v_lshlrev_b64 v[35:36], 2, v[3:4]
	buffer_store_dword v2, off, s[0:3], 0
	buffer_store_dword v2, off, s[0:3], 0 offset:4
	buffer_store_dword v2, off, s[0:3], 0 offset:8
	;; [unrolled: 1-line block ×3, first 2 shown]
	v_add_nc_u32_e32 v3, s13, v3
	v_add_co_u32 v1, vcc_lo, s18, v35
	v_add_co_ci_u32_e64 v4, null, s22, v36, vcc_lo
	v_add_co_u32 v1, vcc_lo, v1, v15
	v_add_co_ci_u32_e64 v4, null, 0, v4, vcc_lo
	v_cndmask_b32_e64 v35, 0, v1, s8
	v_cndmask_b32_e64 v36, s23, v4, s8
	v_ashrrev_i32_e32 v4, 31, v3
	s_waitcnt vmcnt(0) lgkmcnt(0)
	ds_write_b128 v19, v[20:23]
	flat_load_dwordx4 v[19:22], v[35:36]
	v_lshlrev_b64 v[35:36], 2, v[3:4]
	buffer_store_dword v2, off, s[0:3], 0
	buffer_store_dword v2, off, s[0:3], 0 offset:4
	buffer_store_dword v2, off, s[0:3], 0 offset:8
	;; [unrolled: 1-line block ×3, first 2 shown]
	v_add_nc_u32_e32 v3, s13, v3
	v_lshl_or_b32 v23, v16, 8, v15
	v_add_nc_u32_e32 v16, 0x800, v74
	v_add_co_u32 v1, vcc_lo, s18, v35
	v_add_co_ci_u32_e64 v4, null, s22, v36, vcc_lo
	v_add_co_u32 v1, vcc_lo, v1, v15
	v_add_co_ci_u32_e64 v4, null, 0, v4, vcc_lo
	v_cndmask_b32_e64 v35, 0, v1, s7
	v_cndmask_b32_e64 v36, s23, v4, s7
	v_ashrrev_i32_e32 v4, 31, v3
	v_lshlrev_b64 v[3:4], 2, v[3:4]
	v_add_co_u32 v1, vcc_lo, s18, v3
	v_add_co_ci_u32_e64 v3, null, s22, v4, vcc_lo
	v_add_co_u32 v1, vcc_lo, v1, v15
	v_add_co_ci_u32_e64 v4, null, 0, v3, vcc_lo
	v_mov_b32_e32 v15, 0x10001
	v_cndmask_b32_e64 v3, 0, v1, s6
	v_cndmask_b32_e64 v4, s23, v4, s6
	s_waitcnt vmcnt(0) lgkmcnt(0)
	ds_write_b128 v18, v[19:22]
	flat_load_dwordx4 v[18:21], v[35:36]
	buffer_store_dword v2, off, s[0:3], 0
	buffer_store_dword v2, off, s[0:3], 0 offset:4
	buffer_store_dword v2, off, s[0:3], 0 offset:8
	;; [unrolled: 1-line block ×3, first 2 shown]
	v_sub_f32_e32 v22, v33, v5
	v_cmp_ngt_f32_e32 vcc_lo, 0xc2ce8ed0, v22
	s_waitcnt vmcnt(0) lgkmcnt(0)
	ds_write_b128 v17, v[18:21]
	flat_load_dwordx4 v[1:4], v[3:4]
	v_mul_f32_e32 v17, 0x3fb8aa3b, v22
	v_sub_f32_e32 v21, v34, v6
	v_fma_f32 v18, 0x3fb8aa3b, v22, -v17
	v_rndne_f32_e32 v35, v17
	v_mul_f32_e32 v19, 0x3fb8aa3b, v21
	v_fmac_f32_e32 v18, 0x32a5705f, v22
	v_sub_f32_e32 v20, v17, v35
	v_fma_f32 v33, 0x3fb8aa3b, v21, -v19
	v_rndne_f32_e32 v34, v19
	v_cvt_i32_f32_e32 v39, v35
	v_add_nc_u32_e32 v17, 0x1000, v74
	v_add_f32_e32 v20, v20, v18
	v_fmac_f32_e32 v33, 0x32a5705f, v21
	v_sub_f32_e32 v36, v19, v34
	v_cvt_i32_f32_e32 v34, v34
	v_add_nc_u32_e32 v18, 0x1800, v74
	v_exp_f32_e32 v38, v20
	v_add_nc_u32_e32 v19, 0x2000, v74
	v_add_f32_e32 v37, v36, v33
	v_add_nc_u32_e32 v20, 0x2800, v74
	v_add_nc_u32_e32 v33, 0x3800, v74
	;; [unrolled: 1-line block ×4, first 2 shown]
	v_exp_f32_e32 v40, v37
	v_add_nc_u32_e32 v37, 0x5000, v74
	v_ldexp_f32 v41, v38, v39
	v_add_nc_u32_e32 v38, 0x5800, v74
	v_add_nc_u32_e32 v39, 0x6000, v74
	v_cndmask_b32_e32 v41, 0, v41, vcc_lo
	v_cmp_nlt_f32_e32 vcc_lo, 0x42b17218, v22
	v_ldexp_f32 v34, v40, v34
	v_cndmask_b32_e32 v44, 0x7f800000, v41, vcc_lo
	v_cmp_ngt_f32_e32 vcc_lo, 0xc2ce8ed0, v21
	v_fmac_f32_e32 v25, v7, v44
	v_cndmask_b32_e32 v22, 0, v34, vcc_lo
	v_cmp_nlt_f32_e32 vcc_lo, 0x42b17218, v21
	v_add_f32_e32 v21, v28, v29
	v_mov_b32_e32 v7, v25
	v_cndmask_b32_e32 v27, 0x7f800000, v22, vcc_lo
	v_add_f32_e32 v21, v26, v21
	v_add_nc_u32_e32 v22, 0x7000, v74
	v_cvt_f16_f32_e32 v28, v27
	v_add_f32_e32 v21, v24, v21
	v_mul_u32_u24_sdwa v28, v28, v15 dst_sel:DWORD dst_unused:UNUSED_PAD src0_sel:WORD_0 src1_sel:DWORD
	v_fmac_f32_e32 v21, v8, v27
	v_pk_mul_f16 v34, v77, v28
	s_waitcnt vmcnt(0) lgkmcnt(0)
	ds_write_b128 v23, v[1:4]
	s_waitcnt lgkmcnt(0)
	s_waitcnt_vscnt null, 0x0
	s_barrier
	buffer_gl0_inv
	ds_read_b128 v[1:4], v73 offset:34816
	ds_read_b128 v[40:43], v73 offset:34832
	v_cvt_f16_f32_e32 v23, v44
	ds_read2_b64 v[44:47], v74 offset1:32
	ds_read2_b64 v[24:27], v74 offset0:64 offset1:96
	v_mul_u32_u24_sdwa v29, v23, v15 dst_sel:DWORD dst_unused:UNUSED_PAD src0_sel:WORD_0 src1_sel:DWORD
	v_add_nc_u32_e32 v23, 0x7800, v74
	v_pk_mul_f16 v31, v78, v29
	s_waitcnt lgkmcnt(3)
	v_mul_u32_u24_sdwa v8, v1, v15 dst_sel:DWORD dst_unused:UNUSED_PAD src0_sel:WORD_0 src1_sel:DWORD
	v_mul_u32_u24_sdwa v48, v1, v15 dst_sel:DWORD dst_unused:UNUSED_PAD src0_sel:WORD_1 src1_sel:DWORD
	s_waitcnt lgkmcnt(2)
	v_mul_u32_u24_sdwa v57, v40, v15 dst_sel:DWORD dst_unused:UNUSED_PAD src0_sel:WORD_0 src1_sel:DWORD
	v_mul_u32_u24_sdwa v58, v40, v15 dst_sel:DWORD dst_unused:UNUSED_PAD src0_sel:WORD_1 src1_sel:DWORD
	v_mul_u32_u24_sdwa v49, v2, v15 dst_sel:DWORD dst_unused:UNUSED_PAD src0_sel:WORD_0 src1_sel:DWORD
	s_waitcnt lgkmcnt(1)
	v_pk_mul_f16 v40, v44, v8
	v_pk_mul_f16 v44, v44, v48
	v_mul_u32_u24_sdwa v52, v2, v15 dst_sel:DWORD dst_unused:UNUSED_PAD src0_sel:WORD_1 src1_sel:DWORD
	v_mul_u32_u24_sdwa v53, v3, v15 dst_sel:DWORD dst_unused:UNUSED_PAD src0_sel:WORD_0 src1_sel:DWORD
	v_mul_u32_u24_sdwa v54, v3, v15 dst_sel:DWORD dst_unused:UNUSED_PAD src0_sel:WORD_1 src1_sel:DWORD
	v_mul_u32_u24_sdwa v55, v4, v15 dst_sel:DWORD dst_unused:UNUSED_PAD src0_sel:WORD_0 src1_sel:DWORD
	v_mul_u32_u24_sdwa v56, v4, v15 dst_sel:DWORD dst_unused:UNUSED_PAD src0_sel:WORD_1 src1_sel:DWORD
	ds_read2_b64 v[1:4], v74 offset0:128 offset1:160
	v_pk_fma_f16 v8, v45, v8, v31
	v_pk_fma_f16 v29, v76, v29, v40
	;; [unrolled: 1-line block ×4, first 2 shown]
	v_mul_u32_u24_sdwa v59, v41, v15 dst_sel:DWORD dst_unused:UNUSED_PAD src0_sel:WORD_0 src1_sel:DWORD
	v_pk_fma_f16 v8, v47, v49, v8
	v_pk_fma_f16 v29, v46, v49, v29
	;; [unrolled: 1-line block ×4, first 2 shown]
	v_mul_u32_u24_sdwa v60, v41, v15 dst_sel:DWORD dst_unused:UNUSED_PAD src0_sel:WORD_1 src1_sel:DWORD
	v_mul_u32_u24_sdwa v61, v42, v15 dst_sel:DWORD dst_unused:UNUSED_PAD src0_sel:WORD_0 src1_sel:DWORD
	v_mul_u32_u24_sdwa v62, v42, v15 dst_sel:DWORD dst_unused:UNUSED_PAD src0_sel:WORD_1 src1_sel:DWORD
	v_mul_u32_u24_sdwa v63, v43, v15 dst_sel:DWORD dst_unused:UNUSED_PAD src0_sel:WORD_0 src1_sel:DWORD
	v_mul_u32_u24_sdwa v64, v43, v15 dst_sel:DWORD dst_unused:UNUSED_PAD src0_sel:WORD_1 src1_sel:DWORD
	ds_read2_b64 v[40:43], v74 offset0:192 offset1:224
	s_waitcnt lgkmcnt(2)
	v_pk_fma_f16 v8, v25, v53, v8
	v_pk_fma_f16 v29, v24, v53, v29
	;; [unrolled: 1-line block ×4, first 2 shown]
	ds_read_b128 v[48:51], v73 offset:34848
	v_pk_fma_f16 v8, v27, v55, v8
	v_pk_fma_f16 v28, v26, v55, v29
	;; [unrolled: 1-line block ×4, first 2 shown]
	ds_read2_b64 v[44:47], v16 offset1:32
	s_waitcnt lgkmcnt(3)
	v_pk_fma_f16 v8, v2, v57, v8
	v_pk_fma_f16 v28, v1, v57, v28
	v_pk_fma_f16 v2, v2, v58, v29
	v_pk_fma_f16 v1, v1, v58, v31
	ds_read2_b64 v[52:55], v16 offset0:64 offset1:96
	v_pk_fma_f16 v8, v4, v59, v8
	v_pk_fma_f16 v28, v3, v59, v28
	;; [unrolled: 1-line block ×4, first 2 shown]
	ds_read2_b64 v[24:27], v16 offset0:128 offset1:160
	s_waitcnt lgkmcnt(4)
	v_pk_fma_f16 v8, v41, v61, v8
	v_pk_fma_f16 v28, v40, v61, v28
	;; [unrolled: 1-line block ×4, first 2 shown]
	ds_read_b128 v[56:59], v73 offset:34864
	ds_read2_b64 v[1:4], v16 offset0:192 offset1:224
	s_waitcnt lgkmcnt(5)
	v_mul_u32_u24_sdwa v16, v48, v15 dst_sel:DWORD dst_unused:UNUSED_PAD src0_sel:WORD_0 src1_sel:DWORD
	v_mul_u32_u24_sdwa v34, v48, v15 dst_sel:DWORD dst_unused:UNUSED_PAD src0_sel:WORD_1 src1_sel:DWORD
	v_pk_fma_f16 v8, v43, v63, v8
	v_pk_fma_f16 v28, v42, v63, v28
	;; [unrolled: 1-line block ×4, first 2 shown]
	v_mul_u32_u24_sdwa v60, v49, v15 dst_sel:DWORD dst_unused:UNUSED_PAD src0_sel:WORD_0 src1_sel:DWORD
	v_mul_u32_u24_sdwa v61, v49, v15 dst_sel:DWORD dst_unused:UNUSED_PAD src0_sel:WORD_1 src1_sel:DWORD
	s_waitcnt lgkmcnt(4)
	v_pk_fma_f16 v8, v45, v16, v8
	v_pk_fma_f16 v29, v45, v34, v29
	;; [unrolled: 1-line block ×4, first 2 shown]
	v_mul_u32_u24_sdwa v62, v50, v15 dst_sel:DWORD dst_unused:UNUSED_PAD src0_sel:WORD_0 src1_sel:DWORD
	v_mul_u32_u24_sdwa v63, v50, v15 dst_sel:DWORD dst_unused:UNUSED_PAD src0_sel:WORD_1 src1_sel:DWORD
	v_pk_fma_f16 v8, v47, v60, v8
	v_pk_fma_f16 v16, v46, v60, v16
	;; [unrolled: 1-line block ×4, first 2 shown]
	v_mul_u32_u24_sdwa v64, v51, v15 dst_sel:DWORD dst_unused:UNUSED_PAD src0_sel:WORD_0 src1_sel:DWORD
	v_mul_u32_u24_sdwa v65, v51, v15 dst_sel:DWORD dst_unused:UNUSED_PAD src0_sel:WORD_1 src1_sel:DWORD
	s_waitcnt lgkmcnt(3)
	v_pk_fma_f16 v8, v53, v62, v8
	v_pk_fma_f16 v16, v52, v62, v16
	;; [unrolled: 1-line block ×4, first 2 shown]
	s_waitcnt lgkmcnt(1)
	v_mul_u32_u24_sdwa v31, v56, v15 dst_sel:DWORD dst_unused:UNUSED_PAD src0_sel:WORD_0 src1_sel:DWORD
	v_pk_fma_f16 v8, v55, v64, v8
	v_pk_fma_f16 v16, v54, v64, v16
	v_pk_fma_f16 v29, v55, v65, v29
	v_pk_fma_f16 v28, v54, v65, v28
	v_mul_u32_u24_sdwa v34, v56, v15 dst_sel:DWORD dst_unused:UNUSED_PAD src0_sel:WORD_1 src1_sel:DWORD
	ds_read_b128 v[40:43], v73 offset:34880
	ds_read_b128 v[48:51], v73 offset:34896
	ds_read2_b64 v[44:47], v17 offset1:32
	v_mul_u32_u24_sdwa v56, v57, v15 dst_sel:DWORD dst_unused:UNUSED_PAD src0_sel:WORD_0 src1_sel:DWORD
	v_mul_u32_u24_sdwa v57, v57, v15 dst_sel:DWORD dst_unused:UNUSED_PAD src0_sel:WORD_1 src1_sel:DWORD
	v_pk_fma_f16 v8, v25, v31, v8
	v_pk_fma_f16 v16, v24, v31, v16
	;; [unrolled: 1-line block ×4, first 2 shown]
	ds_read2_b64 v[60:63], v17 offset0:64 offset1:96
	ds_read2_b64 v[52:55], v17 offset0:128 offset1:160
	v_pk_fma_f16 v8, v27, v56, v8
	v_pk_fma_f16 v16, v26, v56, v16
	v_mul_u32_u24_sdwa v28, v58, v15 dst_sel:DWORD dst_unused:UNUSED_PAD src0_sel:WORD_0 src1_sel:DWORD
	v_pk_fma_f16 v29, v27, v57, v25
	v_pk_fma_f16 v31, v26, v57, v24
	ds_read2_b64 v[24:27], v17 offset0:192 offset1:224
	v_mul_u32_u24_sdwa v17, v58, v15 dst_sel:DWORD dst_unused:UNUSED_PAD src0_sel:WORD_1 src1_sel:DWORD
	v_mul_u32_u24_sdwa v34, v59, v15 dst_sel:DWORD dst_unused:UNUSED_PAD src0_sel:WORD_0 src1_sel:DWORD
	v_mul_u32_u24_sdwa v64, v59, v15 dst_sel:DWORD dst_unused:UNUSED_PAD src0_sel:WORD_1 src1_sel:DWORD
	s_waitcnt lgkmcnt(6)
	v_pk_fma_f16 v8, v2, v28, v8
	v_pk_fma_f16 v16, v1, v28, v16
	;; [unrolled: 1-line block ×4, first 2 shown]
	s_waitcnt lgkmcnt(5)
	v_mul_u32_u24_sdwa v17, v40, v15 dst_sel:DWORD dst_unused:UNUSED_PAD src0_sel:WORD_0 src1_sel:DWORD
	v_pk_fma_f16 v8, v4, v34, v8
	v_pk_fma_f16 v16, v3, v34, v16
	v_mul_u32_u24_sdwa v28, v40, v15 dst_sel:DWORD dst_unused:UNUSED_PAD src0_sel:WORD_1 src1_sel:DWORD
	v_pk_fma_f16 v2, v4, v64, v2
	v_pk_fma_f16 v29, v3, v64, v1
	v_mul_u32_u24_sdwa v31, v41, v15 dst_sel:DWORD dst_unused:UNUSED_PAD src0_sel:WORD_0 src1_sel:DWORD
	v_mul_u32_u24_sdwa v34, v41, v15 dst_sel:DWORD dst_unused:UNUSED_PAD src0_sel:WORD_1 src1_sel:DWORD
	s_waitcnt lgkmcnt(3)
	v_pk_fma_f16 v8, v45, v17, v8
	v_pk_fma_f16 v40, v45, v28, v2
	;; [unrolled: 1-line block ×4, first 2 shown]
	ds_read_b128 v[1:4], v73 offset:34912
	v_mul_u32_u24_sdwa v28, v42, v15 dst_sel:DWORD dst_unused:UNUSED_PAD src0_sel:WORD_0 src1_sel:DWORD
	v_pk_fma_f16 v8, v47, v31, v8
	v_pk_fma_f16 v29, v47, v34, v40
	;; [unrolled: 1-line block ×4, first 2 shown]
	v_mul_u32_u24_sdwa v31, v42, v15 dst_sel:DWORD dst_unused:UNUSED_PAD src0_sel:WORD_1 src1_sel:DWORD
	v_mul_u32_u24_sdwa v34, v43, v15 dst_sel:DWORD dst_unused:UNUSED_PAD src0_sel:WORD_0 src1_sel:DWORD
	v_mul_u32_u24_sdwa v64, v43, v15 dst_sel:DWORD dst_unused:UNUSED_PAD src0_sel:WORD_1 src1_sel:DWORD
	s_waitcnt lgkmcnt(3)
	v_pk_fma_f16 v8, v61, v28, v8
	v_pk_fma_f16 v16, v60, v28, v16
	;; [unrolled: 1-line block ×4, first 2 shown]
	v_mul_u32_u24_sdwa v29, v48, v15 dst_sel:DWORD dst_unused:UNUSED_PAD src0_sel:WORD_0 src1_sel:DWORD
	v_pk_fma_f16 v8, v63, v34, v8
	v_pk_fma_f16 v16, v62, v34, v16
	v_mul_u32_u24_sdwa v31, v48, v15 dst_sel:DWORD dst_unused:UNUSED_PAD src0_sel:WORD_1 src1_sel:DWORD
	v_pk_fma_f16 v28, v63, v64, v28
	v_pk_fma_f16 v17, v62, v64, v17
	ds_read2_b64 v[56:59], v18 offset1:32
	v_mul_u32_u24_sdwa v34, v49, v15 dst_sel:DWORD dst_unused:UNUSED_PAD src0_sel:WORD_0 src1_sel:DWORD
	v_mul_u32_u24_sdwa v60, v49, v15 dst_sel:DWORD dst_unused:UNUSED_PAD src0_sel:WORD_1 src1_sel:DWORD
	s_waitcnt lgkmcnt(3)
	v_pk_fma_f16 v8, v53, v29, v8
	v_pk_fma_f16 v16, v52, v29, v16
	;; [unrolled: 1-line block ×4, first 2 shown]
	v_mul_u32_u24_sdwa v61, v50, v15 dst_sel:DWORD dst_unused:UNUSED_PAD src0_sel:WORD_0 src1_sel:DWORD
	v_mul_u32_u24_sdwa v62, v50, v15 dst_sel:DWORD dst_unused:UNUSED_PAD src0_sel:WORD_1 src1_sel:DWORD
	v_mul_u32_u24_sdwa v63, v51, v15 dst_sel:DWORD dst_unused:UNUSED_PAD src0_sel:WORD_0 src1_sel:DWORD
	v_mul_u32_u24_sdwa v64, v51, v15 dst_sel:DWORD dst_unused:UNUSED_PAD src0_sel:WORD_1 src1_sel:DWORD
	ds_read_b128 v[48:51], v73 offset:34928
	s_waitcnt lgkmcnt(2)
	v_mul_u32_u24_sdwa v29, v1, v15 dst_sel:DWORD dst_unused:UNUSED_PAD src0_sel:WORD_0 src1_sel:DWORD
	v_pk_fma_f16 v8, v55, v34, v8
	v_pk_fma_f16 v16, v54, v34, v16
	v_mul_u32_u24_sdwa v31, v1, v15 dst_sel:DWORD dst_unused:UNUSED_PAD src0_sel:WORD_1 src1_sel:DWORD
	v_pk_fma_f16 v1, v55, v60, v28
	v_pk_fma_f16 v17, v54, v60, v17
	ds_read2_b64 v[44:47], v18 offset0:64 offset1:96
	v_pk_fma_f16 v8, v25, v61, v8
	v_pk_fma_f16 v16, v24, v61, v16
	;; [unrolled: 1-line block ×4, first 2 shown]
	ds_read2_b64 v[40:43], v18 offset0:128 offset1:160
	v_mul_u32_u24_sdwa v28, v2, v15 dst_sel:DWORD dst_unused:UNUSED_PAD src0_sel:WORD_0 src1_sel:DWORD
	v_mul_u32_u24_sdwa v34, v2, v15 dst_sel:DWORD dst_unused:UNUSED_PAD src0_sel:WORD_1 src1_sel:DWORD
	v_mul_u32_u24_sdwa v60, v3, v15 dst_sel:DWORD dst_unused:UNUSED_PAD src0_sel:WORD_0 src1_sel:DWORD
	v_mul_u32_u24_sdwa v65, v3, v15 dst_sel:DWORD dst_unused:UNUSED_PAD src0_sel:WORD_1 src1_sel:DWORD
	;; [unrolled: 2-line block ×3, first 2 shown]
	ds_read2_b64 v[1:4], v18 offset0:192 offset1:224
	v_pk_fma_f16 v8, v27, v63, v8
	v_pk_fma_f16 v18, v27, v64, v25
	;; [unrolled: 1-line block ×4, first 2 shown]
	ds_read_b128 v[24:27], v73 offset:34944
	ds_read_b128 v[52:55], v73 offset:34960
	s_waitcnt lgkmcnt(6)
	v_pk_fma_f16 v8, v57, v29, v8
	v_pk_fma_f16 v18, v57, v31, v18
	;; [unrolled: 1-line block ×4, first 2 shown]
	s_waitcnt lgkmcnt(5)
	v_mul_u32_u24_sdwa v29, v48, v15 dst_sel:DWORD dst_unused:UNUSED_PAD src0_sel:WORD_0 src1_sel:DWORD
	v_pk_fma_f16 v8, v59, v28, v8
	v_pk_fma_f16 v18, v59, v34, v18
	;; [unrolled: 1-line block ×4, first 2 shown]
	v_mul_u32_u24_sdwa v31, v48, v15 dst_sel:DWORD dst_unused:UNUSED_PAD src0_sel:WORD_1 src1_sel:DWORD
	s_waitcnt lgkmcnt(4)
	v_pk_fma_f16 v8, v45, v60, v8
	v_pk_fma_f16 v18, v45, v65, v18
	;; [unrolled: 1-line block ×4, first 2 shown]
	v_mul_u32_u24_sdwa v28, v49, v15 dst_sel:DWORD dst_unused:UNUSED_PAD src0_sel:WORD_0 src1_sel:DWORD
	v_pk_fma_f16 v8, v47, v66, v8
	v_pk_fma_f16 v18, v47, v74, v18
	;; [unrolled: 1-line block ×4, first 2 shown]
	v_mul_u32_u24_sdwa v34, v49, v15 dst_sel:DWORD dst_unused:UNUSED_PAD src0_sel:WORD_1 src1_sel:DWORD
	v_mul_u32_u24_sdwa v56, v50, v15 dst_sel:DWORD dst_unused:UNUSED_PAD src0_sel:WORD_0 src1_sel:DWORD
	v_mul_u32_u24_sdwa v57, v50, v15 dst_sel:DWORD dst_unused:UNUSED_PAD src0_sel:WORD_1 src1_sel:DWORD
	v_mul_u32_u24_sdwa v58, v51, v15 dst_sel:DWORD dst_unused:UNUSED_PAD src0_sel:WORD_0 src1_sel:DWORD
	v_mul_u32_u24_sdwa v59, v51, v15 dst_sel:DWORD dst_unused:UNUSED_PAD src0_sel:WORD_1 src1_sel:DWORD
	ds_read2_b64 v[48:51], v19 offset1:32
	s_waitcnt lgkmcnt(4)
	v_pk_fma_f16 v8, v41, v29, v8
	v_pk_fma_f16 v16, v40, v29, v16
	;; [unrolled: 1-line block ×4, first 2 shown]
	s_waitcnt lgkmcnt(2)
	v_mul_u32_u24_sdwa v60, v24, v15 dst_sel:DWORD dst_unused:UNUSED_PAD src0_sel:WORD_0 src1_sel:DWORD
	v_pk_fma_f16 v8, v43, v28, v8
	v_pk_fma_f16 v16, v42, v28, v16
	;; [unrolled: 1-line block ×4, first 2 shown]
	v_mul_u32_u24_sdwa v44, v24, v15 dst_sel:DWORD dst_unused:UNUSED_PAD src0_sel:WORD_1 src1_sel:DWORD
	v_mul_u32_u24_sdwa v45, v25, v15 dst_sel:DWORD dst_unused:UNUSED_PAD src0_sel:WORD_0 src1_sel:DWORD
	v_mul_u32_u24_sdwa v61, v25, v15 dst_sel:DWORD dst_unused:UNUSED_PAD src0_sel:WORD_1 src1_sel:DWORD
	v_mul_u32_u24_sdwa v62, v26, v15 dst_sel:DWORD dst_unused:UNUSED_PAD src0_sel:WORD_0 src1_sel:DWORD
	;; [unrolled: 2-line block ×3, first 2 shown]
	v_mul_u32_u24_sdwa v65, v27, v15 dst_sel:DWORD dst_unused:UNUSED_PAD src0_sel:WORD_1 src1_sel:DWORD
	ds_read2_b64 v[24:27], v19 offset0:64 offset1:96
	v_pk_fma_f16 v8, v2, v56, v8
	v_pk_fma_f16 v16, v1, v56, v16
	;; [unrolled: 1-line block ×4, first 2 shown]
	s_waitcnt lgkmcnt(2)
	v_mul_u32_u24_sdwa v29, v52, v15 dst_sel:DWORD dst_unused:UNUSED_PAD src0_sel:WORD_0 src1_sel:DWORD
	v_mul_u32_u24_sdwa v31, v52, v15 dst_sel:DWORD dst_unused:UNUSED_PAD src0_sel:WORD_1 src1_sel:DWORD
	v_pk_fma_f16 v8, v4, v58, v8
	v_pk_fma_f16 v46, v3, v58, v16
	;; [unrolled: 1-line block ×4, first 2 shown]
	ds_read2_b64 v[40:43], v19 offset0:128 offset1:160
	s_waitcnt lgkmcnt(2)
	v_pk_fma_f16 v8, v49, v60, v8
	v_pk_fma_f16 v46, v48, v60, v46
	;; [unrolled: 1-line block ×4, first 2 shown]
	v_mul_u32_u24_sdwa v28, v53, v15 dst_sel:DWORD dst_unused:UNUSED_PAD src0_sel:WORD_0 src1_sel:DWORD
	v_mul_u32_u24_sdwa v34, v53, v15 dst_sel:DWORD dst_unused:UNUSED_PAD src0_sel:WORD_1 src1_sel:DWORD
	v_mul_u32_u24_sdwa v66, v54, v15 dst_sel:DWORD dst_unused:UNUSED_PAD src0_sel:WORD_0 src1_sel:DWORD
	v_mul_u32_u24_sdwa v74, v54, v15 dst_sel:DWORD dst_unused:UNUSED_PAD src0_sel:WORD_1 src1_sel:DWORD
	v_pk_fma_f16 v8, v51, v45, v8
	v_pk_fma_f16 v52, v50, v45, v46
	;; [unrolled: 1-line block ×4, first 2 shown]
	ds_read2_b64 v[16:19], v19 offset0:192 offset1:224
	s_waitcnt lgkmcnt(2)
	v_pk_fma_f16 v8, v25, v62, v8
	v_pk_fma_f16 v52, v24, v62, v52
	;; [unrolled: 1-line block ×4, first 2 shown]
	ds_read_b128 v[44:47], v73 offset:34976
	v_pk_fma_f16 v8, v27, v64, v8
	v_pk_fma_f16 v56, v26, v64, v52
	v_pk_fma_f16 v57, v27, v65, v25
	v_pk_fma_f16 v58, v26, v65, v24
	ds_read2_b64 v[1:4], v20 offset1:32
	s_waitcnt lgkmcnt(3)
	v_pk_fma_f16 v8, v41, v29, v8
	v_pk_fma_f16 v29, v40, v29, v56
	;; [unrolled: 1-line block ×4, first 2 shown]
	v_mul_u32_u24_sdwa v75, v55, v15 dst_sel:DWORD dst_unused:UNUSED_PAD src0_sel:WORD_0 src1_sel:DWORD
	v_mul_u32_u24_sdwa v76, v55, v15 dst_sel:DWORD dst_unused:UNUSED_PAD src0_sel:WORD_1 src1_sel:DWORD
	ds_read2_b64 v[48:51], v20 offset0:64 offset1:96
	ds_read2_b64 v[52:55], v20 offset0:128 offset1:160
	;; [unrolled: 1-line block ×3, first 2 shown]
	v_pk_fma_f16 v8, v43, v28, v8
	v_pk_fma_f16 v20, v42, v28, v29
	;; [unrolled: 1-line block ×4, first 2 shown]
	ds_read_b128 v[24:27], v73 offset:34992
	s_waitcnt lgkmcnt(6)
	v_pk_fma_f16 v8, v17, v66, v8
	v_pk_fma_f16 v20, v16, v66, v20
	;; [unrolled: 1-line block ×4, first 2 shown]
	s_waitcnt lgkmcnt(5)
	v_mul_u32_u24_sdwa v28, v44, v15 dst_sel:DWORD dst_unused:UNUSED_PAD src0_sel:WORD_0 src1_sel:DWORD
	v_pk_fma_f16 v8, v19, v75, v8
	v_pk_fma_f16 v20, v18, v75, v20
	;; [unrolled: 1-line block ×4, first 2 shown]
	v_mul_u32_u24_sdwa v18, v44, v15 dst_sel:DWORD dst_unused:UNUSED_PAD src0_sel:WORD_1 src1_sel:DWORD
	v_mul_u32_u24_sdwa v19, v45, v15 dst_sel:DWORD dst_unused:UNUSED_PAD src0_sel:WORD_0 src1_sel:DWORD
	v_mul_u32_u24_sdwa v29, v45, v15 dst_sel:DWORD dst_unused:UNUSED_PAD src0_sel:WORD_1 src1_sel:DWORD
	s_waitcnt lgkmcnt(4)
	v_pk_fma_f16 v8, v2, v28, v8
	v_mul_u32_u24_sdwa v31, v46, v15 dst_sel:DWORD dst_unused:UNUSED_PAD src0_sel:WORD_0 src1_sel:DWORD
	v_pk_fma_f16 v2, v2, v18, v17
	v_pk_fma_f16 v17, v1, v28, v20
	;; [unrolled: 1-line block ×3, first 2 shown]
	v_mul_u32_u24_sdwa v16, v46, v15 dst_sel:DWORD dst_unused:UNUSED_PAD src0_sel:WORD_1 src1_sel:DWORD
	v_pk_fma_f16 v8, v4, v19, v8
	v_pk_fma_f16 v18, v4, v29, v2
	;; [unrolled: 1-line block ×4, first 2 shown]
	v_mul_u32_u24_sdwa v20, v47, v15 dst_sel:DWORD dst_unused:UNUSED_PAD src0_sel:WORD_0 src1_sel:DWORD
	v_mul_u32_u24_sdwa v28, v47, v15 dst_sel:DWORD dst_unused:UNUSED_PAD src0_sel:WORD_1 src1_sel:DWORD
	s_waitcnt lgkmcnt(3)
	v_pk_fma_f16 v8, v49, v31, v8
	v_pk_fma_f16 v29, v49, v16, v18
	;; [unrolled: 1-line block ×4, first 2 shown]
	ds_read2_b64 v[40:43], v32 offset1:32
	v_pk_fma_f16 v8, v51, v20, v8
	v_pk_fma_f16 v29, v51, v28, v29
	v_pk_fma_f16 v20, v50, v20, v31
	s_waitcnt lgkmcnt(1)
	v_mul_u32_u24_sdwa v31, v24, v15 dst_sel:DWORD dst_unused:UNUSED_PAD src0_sel:WORD_0 src1_sel:DWORD
	v_pk_fma_f16 v28, v50, v28, v34
	v_mul_u32_u24_sdwa v24, v24, v15 dst_sel:DWORD dst_unused:UNUSED_PAD src0_sel:WORD_1 src1_sel:DWORD
	ds_read2_b64 v[60:63], v32 offset0:64 offset1:96
	ds_read2_b64 v[1:4], v32 offset0:128 offset1:160
	ds_read_b128 v[16:19], v73 offset:35008
	ds_read_b128 v[44:47], v73 offset:35024
	v_mul_u32_u24_sdwa v34, v25, v15 dst_sel:DWORD dst_unused:UNUSED_PAD src0_sel:WORD_0 src1_sel:DWORD
	v_mul_u32_u24_sdwa v48, v25, v15 dst_sel:DWORD dst_unused:UNUSED_PAD src0_sel:WORD_1 src1_sel:DWORD
	v_pk_fma_f16 v8, v53, v31, v8
	v_pk_fma_f16 v20, v52, v31, v20
	v_pk_fma_f16 v29, v53, v24, v29
	v_pk_fma_f16 v28, v52, v24, v28
	v_mul_u32_u24_sdwa v49, v26, v15 dst_sel:DWORD dst_unused:UNUSED_PAD src0_sel:WORD_0 src1_sel:DWORD
	v_mul_u32_u24_sdwa v64, v26, v15 dst_sel:DWORD dst_unused:UNUSED_PAD src0_sel:WORD_1 src1_sel:DWORD
	v_pk_fma_f16 v8, v55, v34, v8
	v_pk_fma_f16 v20, v54, v34, v20
	v_pk_fma_f16 v29, v55, v48, v29
	v_pk_fma_f16 v28, v54, v48, v28
	;; [unrolled: 6-line block ×3, first 2 shown]
	ds_read2_b64 v[24:27], v32 offset0:192 offset1:224
	s_waitcnt lgkmcnt(2)
	v_mul_u32_u24_sdwa v32, v16, v15 dst_sel:DWORD dst_unused:UNUSED_PAD src0_sel:WORD_0 src1_sel:DWORD
	v_pk_fma_f16 v8, v59, v31, v8
	v_pk_fma_f16 v20, v58, v31, v20
	v_mul_u32_u24_sdwa v16, v16, v15 dst_sel:DWORD dst_unused:UNUSED_PAD src0_sel:WORD_1 src1_sel:DWORD
	v_pk_fma_f16 v29, v59, v65, v29
	v_pk_fma_f16 v28, v58, v65, v28
	v_mul_u32_u24_sdwa v31, v17, v15 dst_sel:DWORD dst_unused:UNUSED_PAD src0_sel:WORD_0 src1_sel:DWORD
	v_mul_u32_u24_sdwa v17, v17, v15 dst_sel:DWORD dst_unused:UNUSED_PAD src0_sel:WORD_1 src1_sel:DWORD
	v_pk_fma_f16 v8, v41, v32, v8
	v_pk_fma_f16 v29, v41, v16, v29
	;; [unrolled: 1-line block ×4, first 2 shown]
	v_mul_u32_u24_sdwa v28, v18, v15 dst_sel:DWORD dst_unused:UNUSED_PAD src0_sel:WORD_0 src1_sel:DWORD
	v_pk_fma_f16 v8, v43, v31, v8
	v_pk_fma_f16 v29, v43, v17, v29
	;; [unrolled: 1-line block ×4, first 2 shown]
	v_mul_u32_u24_sdwa v32, v18, v15 dst_sel:DWORD dst_unused:UNUSED_PAD src0_sel:WORD_1 src1_sel:DWORD
	v_mul_u32_u24_sdwa v34, v19, v15 dst_sel:DWORD dst_unused:UNUSED_PAD src0_sel:WORD_0 src1_sel:DWORD
	v_mul_u32_u24_sdwa v64, v19, v15 dst_sel:DWORD dst_unused:UNUSED_PAD src0_sel:WORD_1 src1_sel:DWORD
	v_pk_fma_f16 v8, v61, v28, v8
	v_pk_fma_f16 v20, v60, v28, v20
	;; [unrolled: 1-line block ×4, first 2 shown]
	s_waitcnt lgkmcnt(1)
	v_mul_u32_u24_sdwa v31, v44, v15 dst_sel:DWORD dst_unused:UNUSED_PAD src0_sel:WORD_0 src1_sel:DWORD
	v_pk_fma_f16 v8, v63, v34, v8
	v_pk_fma_f16 v20, v62, v34, v20
	v_mul_u32_u24_sdwa v32, v44, v15 dst_sel:DWORD dst_unused:UNUSED_PAD src0_sel:WORD_1 src1_sel:DWORD
	v_pk_fma_f16 v28, v63, v64, v28
	v_pk_fma_f16 v29, v62, v64, v29
	ds_read_b128 v[48:51], v73 offset:35040
	ds_read_b128 v[52:55], v73 offset:35056
	ds_read2_b64 v[40:43], v33 offset1:32
	v_mul_u32_u24_sdwa v34, v45, v15 dst_sel:DWORD dst_unused:UNUSED_PAD src0_sel:WORD_0 src1_sel:DWORD
	v_mul_u32_u24_sdwa v44, v45, v15 dst_sel:DWORD dst_unused:UNUSED_PAD src0_sel:WORD_1 src1_sel:DWORD
	v_pk_fma_f16 v8, v2, v31, v8
	v_pk_fma_f16 v2, v2, v32, v28
	v_pk_fma_f16 v20, v1, v31, v20
	v_pk_fma_f16 v1, v1, v32, v29
	v_mul_u32_u24_sdwa v45, v46, v15 dst_sel:DWORD dst_unused:UNUSED_PAD src0_sel:WORD_1 src1_sel:DWORD
	v_pk_fma_f16 v8, v4, v34, v8
	v_pk_fma_f16 v28, v4, v44, v2
	;; [unrolled: 1-line block ×4, first 2 shown]
	v_mul_u32_u24_sdwa v44, v46, v15 dst_sel:DWORD dst_unused:UNUSED_PAD src0_sel:WORD_0 src1_sel:DWORD
	ds_read2_b64 v[16:19], v33 offset0:64 offset1:96
	v_mul_u32_u24_sdwa v46, v47, v15 dst_sel:DWORD dst_unused:UNUSED_PAD src0_sel:WORD_0 src1_sel:DWORD
	v_mul_u32_u24_sdwa v47, v47, v15 dst_sel:DWORD dst_unused:UNUSED_PAD src0_sel:WORD_1 src1_sel:DWORD
	ds_read2_b64 v[60:63], v33 offset0:128 offset1:160
	s_waitcnt lgkmcnt(5)
	v_pk_fma_f16 v8, v25, v44, v8
	v_pk_fma_f16 v20, v24, v44, v20
	;; [unrolled: 1-line block ×4, first 2 shown]
	s_waitcnt lgkmcnt(4)
	v_mul_u32_u24_sdwa v44, v48, v15 dst_sel:DWORD dst_unused:UNUSED_PAD src0_sel:WORD_0 src1_sel:DWORD
	v_mul_u32_u24_sdwa v28, v48, v15 dst_sel:DWORD dst_unused:UNUSED_PAD src0_sel:WORD_1 src1_sel:DWORD
	v_pk_fma_f16 v8, v27, v46, v8
	v_pk_fma_f16 v20, v26, v46, v20
	;; [unrolled: 1-line block ×4, first 2 shown]
	v_mul_u32_u24_sdwa v29, v49, v15 dst_sel:DWORD dst_unused:UNUSED_PAD src0_sel:WORD_0 src1_sel:DWORD
	v_mul_u32_u24_sdwa v47, v49, v15 dst_sel:DWORD dst_unused:UNUSED_PAD src0_sel:WORD_1 src1_sel:DWORD
	s_waitcnt lgkmcnt(2)
	v_pk_fma_f16 v8, v41, v44, v8
	v_pk_fma_f16 v20, v40, v44, v20
	;; [unrolled: 1-line block ×4, first 2 shown]
	v_mul_u32_u24_sdwa v48, v50, v15 dst_sel:DWORD dst_unused:UNUSED_PAD src0_sel:WORD_0 src1_sel:DWORD
	v_mul_u32_u24_sdwa v49, v50, v15 dst_sel:DWORD dst_unused:UNUSED_PAD src0_sel:WORD_1 src1_sel:DWORD
	v_pk_fma_f16 v8, v43, v29, v8
	v_pk_fma_f16 v20, v42, v29, v20
	;; [unrolled: 1-line block ×4, first 2 shown]
	ds_read2_b64 v[1:4], v33 offset0:192 offset1:224
	v_mul_u32_u24_sdwa v50, v51, v15 dst_sel:DWORD dst_unused:UNUSED_PAD src0_sel:WORD_0 src1_sel:DWORD
	v_mul_u32_u24_sdwa v51, v51, v15 dst_sel:DWORD dst_unused:UNUSED_PAD src0_sel:WORD_1 src1_sel:DWORD
	s_waitcnt lgkmcnt(2)
	v_pk_fma_f16 v8, v17, v48, v8
	v_pk_fma_f16 v20, v16, v48, v20
	;; [unrolled: 1-line block ×4, first 2 shown]
	ds_read_b128 v[56:59], v73 offset:35072
	ds_read_b128 v[40:43], v73 offset:35088
	v_mul_u32_u24_sdwa v44, v52, v15 dst_sel:DWORD dst_unused:UNUSED_PAD src0_sel:WORD_0 src1_sel:DWORD
	v_mul_u32_u24_sdwa v45, v52, v15 dst_sel:DWORD dst_unused:UNUSED_PAD src0_sel:WORD_1 src1_sel:DWORD
	v_pk_fma_f16 v8, v19, v50, v8
	v_pk_fma_f16 v20, v18, v50, v20
	;; [unrolled: 1-line block ×4, first 2 shown]
	ds_read2_b64 v[31:34], v35 offset1:32
	v_mul_u32_u24_sdwa v29, v53, v15 dst_sel:DWORD dst_unused:UNUSED_PAD src0_sel:WORD_0 src1_sel:DWORD
	v_mul_u32_u24_sdwa v52, v53, v15 dst_sel:DWORD dst_unused:UNUSED_PAD src0_sel:WORD_1 src1_sel:DWORD
	s_waitcnt lgkmcnt(4)
	v_pk_fma_f16 v8, v61, v44, v8
	v_pk_fma_f16 v20, v60, v44, v20
	;; [unrolled: 1-line block ×4, first 2 shown]
	ds_read2_b64 v[24:27], v35 offset0:64 offset1:96
	v_mul_u32_u24_sdwa v53, v54, v15 dst_sel:DWORD dst_unused:UNUSED_PAD src0_sel:WORD_0 src1_sel:DWORD
	v_mul_u32_u24_sdwa v54, v54, v15 dst_sel:DWORD dst_unused:UNUSED_PAD src0_sel:WORD_1 src1_sel:DWORD
	ds_read2_b64 v[16:19], v35 offset0:128 offset1:160
	v_pk_fma_f16 v8, v63, v29, v8
	v_pk_fma_f16 v20, v62, v29, v20
	ds_read2_b64 v[44:47], v35 offset0:192 offset1:224
	v_pk_fma_f16 v29, v63, v52, v48
	v_pk_fma_f16 v35, v62, v52, v49
	v_mul_u32_u24_sdwa v64, v55, v15 dst_sel:DWORD dst_unused:UNUSED_PAD src0_sel:WORD_0 src1_sel:DWORD
	v_mul_u32_u24_sdwa v65, v55, v15 dst_sel:DWORD dst_unused:UNUSED_PAD src0_sel:WORD_1 src1_sel:DWORD
	s_waitcnt lgkmcnt(6)
	v_pk_fma_f16 v8, v2, v53, v8
	v_pk_fma_f16 v20, v1, v53, v20
	;; [unrolled: 1-line block ×4, first 2 shown]
	s_waitcnt lgkmcnt(5)
	v_mul_u32_u24_sdwa v66, v56, v15 dst_sel:DWORD dst_unused:UNUSED_PAD src0_sel:WORD_0 src1_sel:DWORD
	v_mul_u32_u24_sdwa v28, v56, v15 dst_sel:DWORD dst_unused:UNUSED_PAD src0_sel:WORD_1 src1_sel:DWORD
	v_pk_fma_f16 v8, v4, v64, v8
	v_pk_fma_f16 v20, v3, v64, v20
	v_pk_fma_f16 v29, v4, v65, v2
	v_pk_fma_f16 v35, v3, v65, v1
	v_mul_u32_u24_sdwa v56, v57, v15 dst_sel:DWORD dst_unused:UNUSED_PAD src0_sel:WORD_0 src1_sel:DWORD
	v_mul_u32_u24_sdwa v57, v57, v15 dst_sel:DWORD dst_unused:UNUSED_PAD src0_sel:WORD_1 src1_sel:DWORD
	s_waitcnt lgkmcnt(3)
	v_pk_fma_f16 v8, v32, v66, v8
	v_pk_fma_f16 v20, v31, v66, v20
	;; [unrolled: 1-line block ×4, first 2 shown]
	v_mul_u32_u24_sdwa v74, v58, v15 dst_sel:DWORD dst_unused:UNUSED_PAD src0_sel:WORD_0 src1_sel:DWORD
	v_mul_u32_u24_sdwa v58, v58, v15 dst_sel:DWORD dst_unused:UNUSED_PAD src0_sel:WORD_1 src1_sel:DWORD
	v_pk_fma_f16 v8, v34, v56, v8
	v_pk_fma_f16 v20, v33, v56, v20
	;; [unrolled: 1-line block ×4, first 2 shown]
	v_mul_u32_u24_sdwa v75, v59, v15 dst_sel:DWORD dst_unused:UNUSED_PAD src0_sel:WORD_0 src1_sel:DWORD
	v_mul_u32_u24_sdwa v59, v59, v15 dst_sel:DWORD dst_unused:UNUSED_PAD src0_sel:WORD_1 src1_sel:DWORD
	s_waitcnt lgkmcnt(2)
	v_pk_fma_f16 v8, v25, v74, v8
	v_pk_fma_f16 v20, v24, v74, v20
	;; [unrolled: 1-line block ×4, first 2 shown]
	v_mul_u32_u24_sdwa v60, v40, v15 dst_sel:DWORD dst_unused:UNUSED_PAD src0_sel:WORD_0 src1_sel:DWORD
	v_mul_u32_u24_sdwa v61, v40, v15 dst_sel:DWORD dst_unused:UNUSED_PAD src0_sel:WORD_1 src1_sel:DWORD
	v_pk_fma_f16 v8, v27, v75, v8
	v_pk_fma_f16 v20, v26, v75, v20
	;; [unrolled: 1-line block ×4, first 2 shown]
	ds_read2_b64 v[48:51], v36 offset1:32
	ds_read2_b64 v[52:55], v36 offset0:64 offset1:96
	ds_read2_b64 v[1:4], v36 offset0:128 offset1:160
	v_mul_u32_u24_sdwa v35, v41, v15 dst_sel:DWORD dst_unused:UNUSED_PAD src0_sel:WORD_0 src1_sel:DWORD
	v_mul_u32_u24_sdwa v62, v41, v15 dst_sel:DWORD dst_unused:UNUSED_PAD src0_sel:WORD_1 src1_sel:DWORD
	v_mul_u32_u24_sdwa v63, v42, v15 dst_sel:DWORD dst_unused:UNUSED_PAD src0_sel:WORD_0 src1_sel:DWORD
	v_mul_u32_u24_sdwa v64, v42, v15 dst_sel:DWORD dst_unused:UNUSED_PAD src0_sel:WORD_1 src1_sel:DWORD
	;; [unrolled: 2-line block ×3, first 2 shown]
	ds_read_b128 v[31:34], v73 offset:35104
	ds_read_b128 v[40:43], v73 offset:35120
	s_waitcnt lgkmcnt(6)
	v_pk_fma_f16 v8, v17, v60, v8
	v_pk_fma_f16 v20, v16, v60, v20
	v_pk_fma_f16 v17, v17, v61, v28
	v_pk_fma_f16 v16, v16, v61, v29
	ds_read2_b64 v[24:27], v36 offset0:192 offset1:224
	v_pk_fma_f16 v8, v19, v35, v8
	v_pk_fma_f16 v20, v18, v35, v20
	;; [unrolled: 1-line block ×4, first 2 shown]
	ds_read2_b64 v[56:59], v37 offset1:32
	s_waitcnt lgkmcnt(7)
	v_pk_fma_f16 v8, v45, v63, v8
	v_pk_fma_f16 v20, v44, v63, v20
	;; [unrolled: 1-line block ×4, first 2 shown]
	ds_read2_b64 v[16:19], v37 offset0:64 offset1:96
	v_pk_fma_f16 v8, v47, v65, v8
	v_pk_fma_f16 v20, v46, v65, v20
	v_pk_fma_f16 v28, v47, v66, v28
	s_waitcnt lgkmcnt(4)
	v_mul_u32_u24_sdwa v35, v31, v15 dst_sel:DWORD dst_unused:UNUSED_PAD src0_sel:WORD_0 src1_sel:DWORD
	v_pk_fma_f16 v29, v46, v66, v29
	v_mul_u32_u24_sdwa v31, v31, v15 dst_sel:DWORD dst_unused:UNUSED_PAD src0_sel:WORD_1 src1_sel:DWORD
	v_mul_u32_u24_sdwa v36, v32, v15 dst_sel:DWORD dst_unused:UNUSED_PAD src0_sel:WORD_0 src1_sel:DWORD
	v_mul_u32_u24_sdwa v32, v32, v15 dst_sel:DWORD dst_unused:UNUSED_PAD src0_sel:WORD_1 src1_sel:DWORD
	v_pk_fma_f16 v8, v49, v35, v8
	v_pk_fma_f16 v20, v48, v35, v20
	v_pk_fma_f16 v28, v49, v31, v28
	v_pk_fma_f16 v29, v48, v31, v29
	v_mul_u32_u24_sdwa v64, v33, v15 dst_sel:DWORD dst_unused:UNUSED_PAD src0_sel:WORD_0 src1_sel:DWORD
	v_mul_u32_u24_sdwa v65, v33, v15 dst_sel:DWORD dst_unused:UNUSED_PAD src0_sel:WORD_1 src1_sel:DWORD
	v_pk_fma_f16 v8, v51, v36, v8
	v_pk_fma_f16 v28, v51, v32, v28
	v_pk_fma_f16 v20, v50, v36, v20
	v_pk_fma_f16 v29, v50, v32, v29
	;; [unrolled: 6-line block ×3, first 2 shown]
	s_waitcnt lgkmcnt(3)
	v_mul_u32_u24_sdwa v36, v40, v15 dst_sel:DWORD dst_unused:UNUSED_PAD src0_sel:WORD_0 src1_sel:DWORD
	v_pk_fma_f16 v8, v55, v35, v8
	v_pk_fma_f16 v20, v54, v35, v20
	v_mul_u32_u24_sdwa v35, v40, v15 dst_sel:DWORD dst_unused:UNUSED_PAD src0_sel:WORD_1 src1_sel:DWORD
	v_pk_fma_f16 v28, v55, v66, v28
	v_pk_fma_f16 v29, v54, v66, v29
	ds_read2_b64 v[60:63], v37 offset0:128 offset1:160
	ds_read_b128 v[31:34], v73 offset:35136
	ds_read_b128 v[44:47], v73 offset:35152
	ds_read2_b64 v[48:51], v37 offset0:192 offset1:224
	v_mul_u32_u24_sdwa v37, v41, v15 dst_sel:DWORD dst_unused:UNUSED_PAD src0_sel:WORD_0 src1_sel:DWORD
	v_mul_u32_u24_sdwa v52, v41, v15 dst_sel:DWORD dst_unused:UNUSED_PAD src0_sel:WORD_1 src1_sel:DWORD
	v_pk_fma_f16 v8, v2, v36, v8
	v_pk_fma_f16 v20, v1, v36, v20
	;; [unrolled: 1-line block ×4, first 2 shown]
	v_mul_u32_u24_sdwa v53, v42, v15 dst_sel:DWORD dst_unused:UNUSED_PAD src0_sel:WORD_0 src1_sel:DWORD
	v_mul_u32_u24_sdwa v64, v42, v15 dst_sel:DWORD dst_unused:UNUSED_PAD src0_sel:WORD_1 src1_sel:DWORD
	v_pk_fma_f16 v8, v4, v37, v8
	v_pk_fma_f16 v20, v3, v37, v20
	;; [unrolled: 1-line block ×4, first 2 shown]
	v_mul_u32_u24_sdwa v65, v43, v15 dst_sel:DWORD dst_unused:UNUSED_PAD src0_sel:WORD_0 src1_sel:DWORD
	v_mul_u32_u24_sdwa v36, v43, v15 dst_sel:DWORD dst_unused:UNUSED_PAD src0_sel:WORD_1 src1_sel:DWORD
	s_waitcnt lgkmcnt(6)
	v_pk_fma_f16 v8, v25, v53, v8
	v_pk_fma_f16 v20, v24, v53, v20
	;; [unrolled: 1-line block ×4, first 2 shown]
	s_waitcnt lgkmcnt(2)
	v_mul_u32_u24_sdwa v28, v31, v15 dst_sel:DWORD dst_unused:UNUSED_PAD src0_sel:WORD_0 src1_sel:DWORD
	v_pk_fma_f16 v8, v27, v65, v8
	v_pk_fma_f16 v20, v26, v65, v20
	v_mul_u32_u24_sdwa v29, v31, v15 dst_sel:DWORD dst_unused:UNUSED_PAD src0_sel:WORD_1 src1_sel:DWORD
	v_pk_fma_f16 v25, v27, v36, v25
	v_pk_fma_f16 v31, v26, v36, v24
	v_mul_u32_u24_sdwa v35, v32, v15 dst_sel:DWORD dst_unused:UNUSED_PAD src0_sel:WORD_0 src1_sel:DWORD
	v_mul_u32_u24_sdwa v32, v32, v15 dst_sel:DWORD dst_unused:UNUSED_PAD src0_sel:WORD_1 src1_sel:DWORD
	v_pk_fma_f16 v8, v57, v28, v8
	v_pk_fma_f16 v36, v57, v29, v25
	v_pk_fma_f16 v20, v56, v28, v20
	v_pk_fma_f16 v28, v56, v29, v31
	v_mul_u32_u24_sdwa v29, v33, v15 dst_sel:DWORD dst_unused:UNUSED_PAD src0_sel:WORD_0 src1_sel:DWORD
	v_pk_fma_f16 v8, v59, v35, v8
	v_pk_fma_f16 v36, v59, v32, v36
	;; [unrolled: 1-line block ×4, first 2 shown]
	v_mul_u32_u24_sdwa v35, v33, v15 dst_sel:DWORD dst_unused:UNUSED_PAD src0_sel:WORD_1 src1_sel:DWORD
	v_mul_u32_u24_sdwa v37, v34, v15 dst_sel:DWORD dst_unused:UNUSED_PAD src0_sel:WORD_0 src1_sel:DWORD
	v_mul_u32_u24_sdwa v64, v34, v15 dst_sel:DWORD dst_unused:UNUSED_PAD src0_sel:WORD_1 src1_sel:DWORD
	v_pk_fma_f16 v8, v17, v29, v8
	v_pk_fma_f16 v20, v16, v29, v20
	;; [unrolled: 1-line block ×4, first 2 shown]
	s_waitcnt lgkmcnt(1)
	v_mul_u32_u24_sdwa v28, v44, v15 dst_sel:DWORD dst_unused:UNUSED_PAD src0_sel:WORD_0 src1_sel:DWORD
	v_pk_fma_f16 v8, v19, v37, v8
	v_pk_fma_f16 v20, v18, v37, v20
	v_mul_u32_u24_sdwa v29, v44, v15 dst_sel:DWORD dst_unused:UNUSED_PAD src0_sel:WORD_1 src1_sel:DWORD
	v_pk_fma_f16 v17, v19, v64, v17
	v_pk_fma_f16 v16, v18, v64, v16
	ds_read2_b64 v[40:43], v38 offset1:32
	ds_read_b128 v[1:4], v73 offset:35168
	ds_read_b128 v[52:55], v73 offset:35184
	v_mul_u32_u24_sdwa v35, v45, v15 dst_sel:DWORD dst_unused:UNUSED_PAD src0_sel:WORD_0 src1_sel:DWORD
	v_mul_u32_u24_sdwa v36, v45, v15 dst_sel:DWORD dst_unused:UNUSED_PAD src0_sel:WORD_1 src1_sel:DWORD
	v_pk_fma_f16 v8, v61, v28, v8
	v_pk_fma_f16 v37, v61, v29, v17
	;; [unrolled: 1-line block ×4, first 2 shown]
	v_mul_u32_u24_sdwa v60, v46, v15 dst_sel:DWORD dst_unused:UNUSED_PAD src0_sel:WORD_0 src1_sel:DWORD
	v_pk_fma_f16 v8, v63, v35, v8
	v_pk_fma_f16 v29, v63, v36, v37
	;; [unrolled: 1-line block ×4, first 2 shown]
	v_mul_u32_u24_sdwa v61, v46, v15 dst_sel:DWORD dst_unused:UNUSED_PAD src0_sel:WORD_1 src1_sel:DWORD
	ds_read2_b64 v[56:59], v38 offset0:64 offset1:96
	v_mul_u32_u24_sdwa v62, v47, v15 dst_sel:DWORD dst_unused:UNUSED_PAD src0_sel:WORD_0 src1_sel:DWORD
	v_mul_u32_u24_sdwa v63, v47, v15 dst_sel:DWORD dst_unused:UNUSED_PAD src0_sel:WORD_1 src1_sel:DWORD
	s_waitcnt lgkmcnt(4)
	v_pk_fma_f16 v8, v49, v60, v8
	v_pk_fma_f16 v20, v48, v60, v20
	;; [unrolled: 1-line block ×4, first 2 shown]
	s_waitcnt lgkmcnt(2)
	v_mul_u32_u24_sdwa v60, v1, v15 dst_sel:DWORD dst_unused:UNUSED_PAD src0_sel:WORD_0 src1_sel:DWORD
	v_mul_u32_u24_sdwa v48, v1, v15 dst_sel:DWORD dst_unused:UNUSED_PAD src0_sel:WORD_1 src1_sel:DWORD
	v_pk_fma_f16 v8, v51, v62, v8
	v_pk_fma_f16 v20, v50, v62, v20
	;; [unrolled: 1-line block ×4, first 2 shown]
	ds_read2_b64 v[31:34], v38 offset0:128 offset1:160
	v_mul_u32_u24_sdwa v49, v2, v15 dst_sel:DWORD dst_unused:UNUSED_PAD src0_sel:WORD_0 src1_sel:DWORD
	v_mul_u32_u24_sdwa v50, v2, v15 dst_sel:DWORD dst_unused:UNUSED_PAD src0_sel:WORD_1 src1_sel:DWORD
	v_pk_fma_f16 v8, v41, v60, v8
	v_pk_fma_f16 v20, v40, v60, v20
	;; [unrolled: 1-line block ×4, first 2 shown]
	v_mul_u32_u24_sdwa v51, v3, v15 dst_sel:DWORD dst_unused:UNUSED_PAD src0_sel:WORD_0 src1_sel:DWORD
	v_mul_u32_u24_sdwa v61, v3, v15 dst_sel:DWORD dst_unused:UNUSED_PAD src0_sel:WORD_1 src1_sel:DWORD
	v_pk_fma_f16 v8, v43, v49, v8
	v_pk_fma_f16 v20, v42, v49, v20
	;; [unrolled: 1-line block ×4, first 2 shown]
	ds_read2_b64 v[16:19], v38 offset0:192 offset1:224
	v_mul_u32_u24_sdwa v62, v4, v15 dst_sel:DWORD dst_unused:UNUSED_PAD src0_sel:WORD_0 src1_sel:DWORD
	v_mul_u32_u24_sdwa v63, v4, v15 dst_sel:DWORD dst_unused:UNUSED_PAD src0_sel:WORD_1 src1_sel:DWORD
	s_waitcnt lgkmcnt(2)
	v_pk_fma_f16 v8, v57, v51, v8
	v_pk_fma_f16 v20, v56, v51, v20
	;; [unrolled: 1-line block ×4, first 2 shown]
	ds_read_b128 v[24:27], v73 offset:35200
	ds_read_b128 v[40:43], v73 offset:35216
	v_mul_u32_u24_sdwa v60, v52, v15 dst_sel:DWORD dst_unused:UNUSED_PAD src0_sel:WORD_0 src1_sel:DWORD
	v_mul_u32_u24_sdwa v48, v52, v15 dst_sel:DWORD dst_unused:UNUSED_PAD src0_sel:WORD_1 src1_sel:DWORD
	v_pk_fma_f16 v8, v59, v62, v8
	v_pk_fma_f16 v20, v58, v62, v20
	v_pk_fma_f16 v29, v59, v63, v29
	v_pk_fma_f16 v28, v58, v63, v28
	ds_read2_b64 v[35:38], v39 offset1:32
	v_mul_u32_u24_sdwa v49, v53, v15 dst_sel:DWORD dst_unused:UNUSED_PAD src0_sel:WORD_0 src1_sel:DWORD
	v_mul_u32_u24_sdwa v52, v53, v15 dst_sel:DWORD dst_unused:UNUSED_PAD src0_sel:WORD_1 src1_sel:DWORD
	s_waitcnt lgkmcnt(4)
	v_pk_fma_f16 v8, v32, v60, v8
	v_pk_fma_f16 v20, v31, v60, v20
	;; [unrolled: 1-line block ×4, first 2 shown]
	v_mul_u32_u24_sdwa v53, v54, v15 dst_sel:DWORD dst_unused:UNUSED_PAD src0_sel:WORD_0 src1_sel:DWORD
	v_mul_u32_u24_sdwa v54, v54, v15 dst_sel:DWORD dst_unused:UNUSED_PAD src0_sel:WORD_1 src1_sel:DWORD
	v_pk_fma_f16 v8, v34, v49, v8
	v_pk_fma_f16 v20, v33, v49, v20
	;; [unrolled: 1-line block ×4, first 2 shown]
	ds_read2_b64 v[44:47], v39 offset0:64 offset1:96
	v_mul_u32_u24_sdwa v64, v55, v15 dst_sel:DWORD dst_unused:UNUSED_PAD src0_sel:WORD_0 src1_sel:DWORD
	v_mul_u32_u24_sdwa v65, v55, v15 dst_sel:DWORD dst_unused:UNUSED_PAD src0_sel:WORD_1 src1_sel:DWORD
	s_waitcnt lgkmcnt(4)
	v_pk_fma_f16 v8, v17, v53, v8
	v_pk_fma_f16 v20, v16, v53, v20
	;; [unrolled: 1-line block ×4, first 2 shown]
	s_waitcnt lgkmcnt(3)
	v_mul_u32_u24_sdwa v66, v24, v15 dst_sel:DWORD dst_unused:UNUSED_PAD src0_sel:WORD_0 src1_sel:DWORD
	v_mul_u32_u24_sdwa v56, v24, v15 dst_sel:DWORD dst_unused:UNUSED_PAD src0_sel:WORD_1 src1_sel:DWORD
	v_pk_fma_f16 v8, v19, v64, v8
	v_pk_fma_f16 v20, v18, v64, v20
	;; [unrolled: 1-line block ×4, first 2 shown]
	ds_read2_b64 v[1:4], v39 offset0:128 offset1:160
	v_mul_u32_u24_sdwa v57, v25, v15 dst_sel:DWORD dst_unused:UNUSED_PAD src0_sel:WORD_0 src1_sel:DWORD
	v_mul_u32_u24_sdwa v58, v25, v15 dst_sel:DWORD dst_unused:UNUSED_PAD src0_sel:WORD_1 src1_sel:DWORD
	s_waitcnt lgkmcnt(2)
	v_pk_fma_f16 v8, v36, v66, v8
	v_pk_fma_f16 v18, v35, v66, v20
	;; [unrolled: 1-line block ×4, first 2 shown]
	v_mul_u32_u24_sdwa v59, v26, v15 dst_sel:DWORD dst_unused:UNUSED_PAD src0_sel:WORD_0 src1_sel:DWORD
	v_mul_u32_u24_sdwa v61, v26, v15 dst_sel:DWORD dst_unused:UNUSED_PAD src0_sel:WORD_1 src1_sel:DWORD
	v_mul_u32_u24_sdwa v62, v27, v15 dst_sel:DWORD dst_unused:UNUSED_PAD src0_sel:WORD_0 src1_sel:DWORD
	v_mul_u32_u24_sdwa v63, v27, v15 dst_sel:DWORD dst_unused:UNUSED_PAD src0_sel:WORD_1 src1_sel:DWORD
	ds_read2_b64 v[24:27], v39 offset0:192 offset1:224
	v_mul_u32_u24_sdwa v28, v40, v15 dst_sel:DWORD dst_unused:UNUSED_PAD src0_sel:WORD_0 src1_sel:DWORD
	v_mul_u32_u24_sdwa v29, v40, v15 dst_sel:DWORD dst_unused:UNUSED_PAD src0_sel:WORD_1 src1_sel:DWORD
	v_mul_u32_u24_sdwa v60, v41, v15 dst_sel:DWORD dst_unused:UNUSED_PAD src0_sel:WORD_0 src1_sel:DWORD
	v_mul_u32_u24_sdwa v64, v41, v15 dst_sel:DWORD dst_unused:UNUSED_PAD src0_sel:WORD_1 src1_sel:DWORD
	v_pk_fma_f16 v8, v38, v57, v8
	v_pk_fma_f16 v39, v38, v58, v17
	;; [unrolled: 1-line block ×4, first 2 shown]
	v_mul_u32_u24_sdwa v66, v43, v15 dst_sel:DWORD dst_unused:UNUSED_PAD src0_sel:WORD_0 src1_sel:DWORD
	v_mul_u32_u24_sdwa v74, v43, v15 dst_sel:DWORD dst_unused:UNUSED_PAD src0_sel:WORD_1 src1_sel:DWORD
	s_waitcnt lgkmcnt(2)
	v_pk_fma_f16 v8, v45, v59, v8
	v_pk_fma_f16 v43, v45, v61, v39
	;; [unrolled: 1-line block ×4, first 2 shown]
	ds_read2_b64 v[48:51], v30 offset1:32
	ds_read2_b64 v[31:34], v30 offset0:64 offset1:96
	ds_read2_b64 v[52:55], v30 offset0:128 offset1:160
	v_mul_u32_u24_sdwa v65, v42, v15 dst_sel:DWORD dst_unused:UNUSED_PAD src0_sel:WORD_0 src1_sel:DWORD
	v_mul_u32_u24_sdwa v20, v42, v15 dst_sel:DWORD dst_unused:UNUSED_PAD src0_sel:WORD_1 src1_sel:DWORD
	ds_read_b128 v[16:19], v73 offset:35232
	ds_read_b128 v[35:38], v73 offset:35248
	ds_read2_b64 v[39:42], v30 offset0:192 offset1:224
	v_pk_fma_f16 v8, v47, v62, v8
	v_pk_fma_f16 v30, v47, v63, v43
	;; [unrolled: 1-line block ×4, first 2 shown]
	ds_read2_b64 v[43:46], v22 offset1:32
	s_waitcnt lgkmcnt(8)
	v_pk_fma_f16 v8, v2, v28, v8
	v_pk_fma_f16 v2, v2, v29, v30
	;; [unrolled: 1-line block ×4, first 2 shown]
	ds_read2_b64 v[56:59], v22 offset0:64 offset1:96
	v_pk_fma_f16 v8, v4, v60, v8
	v_pk_fma_f16 v29, v4, v64, v2
	;; [unrolled: 1-line block ×4, first 2 shown]
	ds_read2_b64 v[1:4], v22 offset0:128 offset1:160
	s_waitcnt lgkmcnt(9)
	v_pk_fma_f16 v8, v25, v65, v8
	v_pk_fma_f16 v25, v25, v20, v29
	;; [unrolled: 1-line block ×4, first 2 shown]
	s_waitcnt lgkmcnt(5)
	v_mul_u32_u24_sdwa v47, v16, v15 dst_sel:DWORD dst_unused:UNUSED_PAD src0_sel:WORD_0 src1_sel:DWORD
	v_mul_u32_u24_sdwa v16, v16, v15 dst_sel:DWORD dst_unused:UNUSED_PAD src0_sel:WORD_1 src1_sel:DWORD
	v_pk_fma_f16 v8, v27, v66, v8
	v_pk_fma_f16 v24, v27, v74, v25
	;; [unrolled: 1-line block ×4, first 2 shown]
	v_mul_u32_u24_sdwa v29, v17, v15 dst_sel:DWORD dst_unused:UNUSED_PAD src0_sel:WORD_0 src1_sel:DWORD
	v_mul_u32_u24_sdwa v17, v17, v15 dst_sel:DWORD dst_unused:UNUSED_PAD src0_sel:WORD_1 src1_sel:DWORD
	v_pk_fma_f16 v8, v49, v47, v8
	v_pk_fma_f16 v28, v49, v16, v24
	;; [unrolled: 1-line block ×4, first 2 shown]
	ds_read_b128 v[24:27], v73 offset:35264
	ds_read_b128 v[60:63], v73 offset:35280
	v_pk_fma_f16 v8, v51, v29, v8
	v_pk_fma_f16 v28, v51, v17, v28
	;; [unrolled: 1-line block ×3, first 2 shown]
	v_mul_u32_u24_sdwa v29, v18, v15 dst_sel:DWORD dst_unused:UNUSED_PAD src0_sel:WORD_0 src1_sel:DWORD
	v_pk_fma_f16 v30, v50, v17, v16
	ds_read2_b64 v[47:50], v22 offset0:192 offset1:224
	v_mul_u32_u24_sdwa v22, v18, v15 dst_sel:DWORD dst_unused:UNUSED_PAD src0_sel:WORD_1 src1_sel:DWORD
	v_mul_u32_u24_sdwa v51, v19, v15 dst_sel:DWORD dst_unused:UNUSED_PAD src0_sel:WORD_0 src1_sel:DWORD
	v_mul_u32_u24_sdwa v64, v19, v15 dst_sel:DWORD dst_unused:UNUSED_PAD src0_sel:WORD_1 src1_sel:DWORD
	v_pk_fma_f16 v8, v32, v29, v8
	v_pk_fma_f16 v20, v31, v29, v20
	;; [unrolled: 1-line block ×4, first 2 shown]
	s_waitcnt lgkmcnt(7)
	v_mul_u32_u24_sdwa v29, v35, v15 dst_sel:DWORD dst_unused:UNUSED_PAD src0_sel:WORD_0 src1_sel:DWORD
	v_pk_fma_f16 v8, v34, v51, v8
	v_pk_fma_f16 v20, v33, v51, v20
	v_mul_u32_u24_sdwa v32, v35, v15 dst_sel:DWORD dst_unused:UNUSED_PAD src0_sel:WORD_1 src1_sel:DWORD
	v_pk_fma_f16 v28, v34, v64, v28
	v_pk_fma_f16 v22, v33, v64, v22
	v_mul_u32_u24_sdwa v33, v36, v15 dst_sel:DWORD dst_unused:UNUSED_PAD src0_sel:WORD_0 src1_sel:DWORD
	v_mul_u32_u24_sdwa v34, v36, v15 dst_sel:DWORD dst_unused:UNUSED_PAD src0_sel:WORD_1 src1_sel:DWORD
	v_pk_fma_f16 v8, v53, v29, v8
	v_pk_fma_f16 v35, v53, v32, v28
	;; [unrolled: 1-line block ×4, first 2 shown]
	v_mul_u32_u24_sdwa v36, v37, v15 dst_sel:DWORD dst_unused:UNUSED_PAD src0_sel:WORD_0 src1_sel:DWORD
	v_pk_fma_f16 v8, v55, v33, v8
	v_pk_fma_f16 v55, v55, v34, v35
	;; [unrolled: 1-line block ×4, first 2 shown]
	v_mul_u32_u24_sdwa v37, v37, v15 dst_sel:DWORD dst_unused:UNUSED_PAD src0_sel:WORD_1 src1_sel:DWORD
	v_mul_u32_u24_sdwa v64, v38, v15 dst_sel:DWORD dst_unused:UNUSED_PAD src0_sel:WORD_0 src1_sel:DWORD
	v_mul_u32_u24_sdwa v38, v38, v15 dst_sel:DWORD dst_unused:UNUSED_PAD src0_sel:WORD_1 src1_sel:DWORD
	s_waitcnt lgkmcnt(6)
	v_pk_fma_f16 v8, v40, v36, v8
	v_pk_fma_f16 v20, v39, v36, v20
	;; [unrolled: 1-line block ×4, first 2 shown]
	s_waitcnt lgkmcnt(2)
	v_mul_u32_u24_sdwa v37, v24, v15 dst_sel:DWORD dst_unused:UNUSED_PAD src0_sel:WORD_0 src1_sel:DWORD
	v_pk_fma_f16 v8, v42, v64, v8
	v_pk_fma_f16 v20, v41, v64, v20
	v_mul_u32_u24_sdwa v39, v24, v15 dst_sel:DWORD dst_unused:UNUSED_PAD src0_sel:WORD_1 src1_sel:DWORD
	v_pk_fma_f16 v36, v42, v38, v36
	v_pk_fma_f16 v22, v41, v38, v22
	v_mul_u32_u24_sdwa v38, v25, v15 dst_sel:DWORD dst_unused:UNUSED_PAD src0_sel:WORD_0 src1_sel:DWORD
	v_mul_u32_u24_sdwa v40, v25, v15 dst_sel:DWORD dst_unused:UNUSED_PAD src0_sel:WORD_1 src1_sel:DWORD
	v_pk_fma_f16 v8, v44, v37, v8
	v_pk_fma_f16 v20, v43, v37, v20
	v_pk_fma_f16 v36, v44, v39, v36
	v_pk_fma_f16 v22, v43, v39, v22
	v_mul_u32_u24_sdwa v41, v26, v15 dst_sel:DWORD dst_unused:UNUSED_PAD src0_sel:WORD_0 src1_sel:DWORD
	v_mul_u32_u24_sdwa v42, v26, v15 dst_sel:DWORD dst_unused:UNUSED_PAD src0_sel:WORD_1 src1_sel:DWORD
	v_pk_fma_f16 v8, v46, v38, v8
	v_pk_fma_f16 v20, v45, v38, v20
	;; [unrolled: 6-line block ×3, first 2 shown]
	v_pk_fma_f16 v41, v57, v42, v46
	v_pk_fma_f16 v22, v56, v42, v22
	ds_read_b128 v[28:31], v73 offset:35296
	ds_read_b128 v[24:27], v73 offset:35312
	s_waitcnt lgkmcnt(3)
	v_mul_u32_u24_sdwa v65, v60, v15 dst_sel:DWORD dst_unused:UNUSED_PAD src0_sel:WORD_0 src1_sel:DWORD
	v_mul_u32_u24_sdwa v43, v60, v15 dst_sel:DWORD dst_unused:UNUSED_PAD src0_sel:WORD_1 src1_sel:DWORD
	v_pk_fma_f16 v8, v59, v55, v8
	v_pk_fma_f16 v20, v58, v55, v20
	v_pk_fma_f16 v41, v59, v64, v41
	v_pk_fma_f16 v22, v58, v64, v22
	ds_read2_b64 v[16:19], v23 offset1:32
	v_mul_u32_u24_sdwa v44, v61, v15 dst_sel:DWORD dst_unused:UNUSED_PAD src0_sel:WORD_0 src1_sel:DWORD
	v_mul_u32_u24_sdwa v40, v61, v15 dst_sel:DWORD dst_unused:UNUSED_PAD src0_sel:WORD_1 src1_sel:DWORD
	v_pk_fma_f16 v8, v2, v65, v8
	v_pk_fma_f16 v2, v2, v43, v41
	;; [unrolled: 1-line block ×4, first 2 shown]
	v_mul_u32_u24_sdwa v45, v62, v15 dst_sel:DWORD dst_unused:UNUSED_PAD src0_sel:WORD_0 src1_sel:DWORD
	v_mul_u32_u24_sdwa v60, v62, v15 dst_sel:DWORD dst_unused:UNUSED_PAD src0_sel:WORD_1 src1_sel:DWORD
	v_pk_fma_f16 v8, v4, v44, v8
	v_pk_fma_f16 v2, v4, v40, v2
	;; [unrolled: 1-line block ×4, first 2 shown]
	ds_read2_b64 v[32:35], v23 offset0:64 offset1:96
	v_mul_u32_u24_sdwa v61, v63, v15 dst_sel:DWORD dst_unused:UNUSED_PAD src0_sel:WORD_0 src1_sel:DWORD
	v_mul_u32_u24_sdwa v62, v63, v15 dst_sel:DWORD dst_unused:UNUSED_PAD src0_sel:WORD_1 src1_sel:DWORD
	s_waitcnt lgkmcnt(4)
	v_pk_fma_f16 v8, v48, v45, v8
	v_pk_fma_f16 v2, v48, v60, v2
	;; [unrolled: 1-line block ×4, first 2 shown]
	ds_read2_b64 v[51:54], v23 offset0:128 offset1:160
	ds_read2_b64 v[36:39], v23 offset0:192 offset1:224
	s_waitcnt lgkmcnt(5)
	v_mul_u32_u24_sdwa v23, v28, v15 dst_sel:DWORD dst_unused:UNUSED_PAD src0_sel:WORD_0 src1_sel:DWORD
	v_mul_u32_u24_sdwa v28, v28, v15 dst_sel:DWORD dst_unused:UNUSED_PAD src0_sel:WORD_1 src1_sel:DWORD
	v_pk_fma_f16 v8, v50, v61, v8
	v_pk_fma_f16 v2, v50, v62, v2
	v_pk_fma_f16 v4, v49, v61, v4
	v_pk_fma_f16 v1, v49, v62, v1
	v_mul_u32_u24_sdwa v42, v29, v15 dst_sel:DWORD dst_unused:UNUSED_PAD src0_sel:WORD_0 src1_sel:DWORD
	v_mul_u32_u24_sdwa v29, v29, v15 dst_sel:DWORD dst_unused:UNUSED_PAD src0_sel:WORD_1 src1_sel:DWORD
	s_waitcnt lgkmcnt(3)
	v_pk_fma_f16 v8, v17, v23, v8
	v_pk_fma_f16 v2, v17, v28, v2
	v_pk_fma_f16 v4, v16, v23, v4
	v_pk_fma_f16 v1, v16, v28, v1
	v_mul_u32_u24_sdwa v46, v30, v15 dst_sel:DWORD dst_unused:UNUSED_PAD src0_sel:WORD_0 src1_sel:DWORD
	v_mul_u32_u24_sdwa v30, v30, v15 dst_sel:DWORD dst_unused:UNUSED_PAD src0_sel:WORD_1 src1_sel:DWORD
	v_pk_fma_f16 v8, v19, v42, v8
	v_pk_fma_f16 v2, v19, v29, v2
	v_pk_fma_f16 v4, v18, v42, v4
	v_pk_fma_f16 v1, v18, v29, v1
	v_mul_u32_u24_sdwa v22, v31, v15 dst_sel:DWORD dst_unused:UNUSED_PAD src0_sel:WORD_0 src1_sel:DWORD
	v_mul_u32_u24_sdwa v3, v31, v15 dst_sel:DWORD dst_unused:UNUSED_PAD src0_sel:WORD_1 src1_sel:DWORD
	s_waitcnt lgkmcnt(2)
	v_pk_fma_f16 v8, v33, v46, v8
	v_pk_fma_f16 v2, v33, v30, v2
	v_pk_fma_f16 v4, v32, v46, v4
	v_pk_fma_f16 v1, v32, v30, v1
	;; [unrolled: 13-line block ×4, first 2 shown]
	v_mov_b32_e32 v34, v6
	v_mov_b32_e32 v8, v21
	v_pk_fma_f16 v78, v39, v19, v16
	v_pk_fma_f16 v77, v39, v15, v2
	v_pk_fma_f16 v76, v38, v19, v4
	v_pk_fma_f16 v75, v38, v15, v1
	v_mov_b32_e32 v33, v5
	s_barrier
	buffer_gl0_inv
.LBB59_72:
	v_cmp_lt_i32_e32 vcc_lo, v10, v14
	s_cmp_eq_u64 s[20:21], 0
	s_cselect_b32 s6, -1, 0
	s_cmp_lg_u32 s34, 0
	v_cndmask_b32_e32 v1, v72, v10, vcc_lo
	v_cmp_lt_i32_e32 vcc_lo, v9, v14
	s_cselect_b32 s7, -1, 0
	s_or_b32 s6, s7, s6
	v_lshlrev_b32_e32 v1, 2, v1
	v_cndmask_b32_e32 v3, v72, v9, vcc_lo
	v_cmp_lt_i32_e32 vcc_lo, v11, v14
	ds_bpermute_b32 v2, v1, v7
	ds_bpermute_b32 v1, v1, v8
	v_lshlrev_b32_e32 v3, 2, v3
	v_cndmask_b32_e32 v5, v72, v11, vcc_lo
	v_cmp_lt_i32_e32 vcc_lo, v12, v14
	v_lshlrev_b32_e32 v5, 2, v5
	s_waitcnt lgkmcnt(1)
	v_add_f32_e32 v2, v7, v2
	s_waitcnt lgkmcnt(0)
	v_add_f32_e32 v1, v8, v1
	ds_bpermute_b32 v4, v3, v2
	ds_bpermute_b32 v3, v3, v1
	s_waitcnt lgkmcnt(1)
	v_add_f32_e32 v2, v2, v4
	s_waitcnt lgkmcnt(0)
	v_add_f32_e32 v1, v1, v3
	ds_bpermute_b32 v3, v5, v2
	ds_bpermute_b32 v4, v5, v1
	v_cndmask_b32_e32 v5, v72, v12, vcc_lo
	v_cmp_lt_i32_e32 vcc_lo, v13, v14
	v_lshlrev_b32_e32 v5, 2, v5
	s_waitcnt lgkmcnt(1)
	v_add_f32_e32 v2, v2, v3
	s_waitcnt lgkmcnt(0)
	v_add_f32_e32 v1, v1, v4
	ds_bpermute_b32 v3, v5, v2
	ds_bpermute_b32 v4, v5, v1
	v_cndmask_b32_e32 v5, v72, v13, vcc_lo
	s_and_b32 vcc_lo, exec_lo, s6
	v_lshlrev_b32_e32 v5, 2, v5
	s_waitcnt lgkmcnt(1)
	v_add_f32_e32 v2, v2, v3
	s_waitcnt lgkmcnt(0)
	v_add_f32_e32 v3, v1, v4
	ds_bpermute_b32 v1, v5, v2
	ds_bpermute_b32 v4, v5, v3
	s_waitcnt lgkmcnt(1)
	v_add_f32_e32 v1, v2, v1
	s_waitcnt lgkmcnt(0)
	v_add_f32_e32 v2, v3, v4
	s_cbranch_vccnz .LBB59_75
; %bb.73:
	s_lshl_b64 s[6:7], s[44:45], 2
	v_mov_b32_e32 v3, 0
	s_add_u32 s6, s20, s6
	s_addc_u32 s7, s21, s7
	v_max_f32_e32 v4, v33, v33
	v_max_f32_e32 v7, v34, v34
	global_load_dword v3, v3, s[6:7]
	s_waitcnt vmcnt(0)
	v_max_f32_e32 v6, v3, v3
	v_max_f32_e32 v5, v4, v6
	v_max_f32_e32 v6, v7, v6
	v_sub_f32_e32 v4, v33, v5
	v_sub_f32_e32 v7, v3, v5
	;; [unrolled: 1-line block ×4, first 2 shown]
	v_mov_b32_e32 v34, v6
	v_mul_f32_e32 v3, 0x3fb8aa3b, v4
	v_mul_f32_e32 v10, 0x3fb8aa3b, v7
	;; [unrolled: 1-line block ×4, first 2 shown]
	v_cmp_ngt_f32_e32 vcc_lo, 0xc2ce8ed0, v4
	v_fma_f32 v13, 0x3fb8aa3b, v4, -v3
	v_rndne_f32_e32 v14, v3
	v_fma_f32 v15, 0x3fb8aa3b, v7, -v10
	v_rndne_f32_e32 v16, v10
	v_fma_f32 v17, 0x3fb8aa3b, v8, -v11
	v_fmac_f32_e32 v13, 0x32a5705f, v4
	v_sub_f32_e32 v3, v3, v14
	v_rndne_f32_e32 v18, v11
	v_fmac_f32_e32 v15, 0x32a5705f, v7
	v_sub_f32_e32 v10, v10, v16
	v_fma_f32 v19, 0x3fb8aa3b, v9, -v12
	v_add_f32_e32 v3, v3, v13
	v_rndne_f32_e32 v20, v12
	v_fmac_f32_e32 v17, 0x32a5705f, v8
	v_sub_f32_e32 v11, v11, v18
	v_add_f32_e32 v10, v10, v15
	v_exp_f32_e32 v3, v3
	v_fmac_f32_e32 v19, 0x32a5705f, v9
	v_sub_f32_e32 v12, v12, v20
	v_add_f32_e32 v11, v11, v17
	v_exp_f32_e32 v10, v10
	v_cvt_i32_f32_e32 v13, v14
	v_cvt_i32_f32_e32 v14, v16
	v_add_f32_e32 v12, v12, v19
	v_exp_f32_e32 v11, v11
	v_cvt_i32_f32_e32 v15, v18
	v_ldexp_f32 v3, v3, v13
	v_cvt_i32_f32_e32 v16, v20
	v_exp_f32_e32 v12, v12
	v_mov_b32_e32 v17, 0x10001
	v_ldexp_f32 v10, v10, v14
	v_cndmask_b32_e32 v3, 0, v3, vcc_lo
	v_cmp_ngt_f32_e32 vcc_lo, 0xc2ce8ed0, v7
	v_mov_b32_e32 v33, v5
	v_ldexp_f32 v11, v11, v15
	v_cndmask_b32_e32 v10, 0, v10, vcc_lo
	v_cmp_ngt_f32_e32 vcc_lo, 0xc2ce8ed0, v8
	v_ldexp_f32 v12, v12, v16
	v_cndmask_b32_e32 v11, 0, v11, vcc_lo
	v_cmp_ngt_f32_e32 vcc_lo, 0xc2ce8ed0, v9
	v_cndmask_b32_e32 v12, 0, v12, vcc_lo
	v_cmp_nlt_f32_e32 vcc_lo, 0x42b17218, v4
	v_cndmask_b32_e32 v13, 0x7f800000, v3, vcc_lo
	v_cmp_nlt_f32_e32 vcc_lo, 0x42b17218, v7
	;; [unrolled: 2-line block ×3, first 2 shown]
	v_cvt_f16_f32_e32 v8, v13
	v_fmac_f32_e32 v3, v1, v13
	v_cndmask_b32_e32 v7, 0x7f800000, v11, vcc_lo
	v_cmp_nlt_f32_e32 vcc_lo, 0x42b17218, v9
	v_cvt_f16_f32_e32 v9, v7
	v_cndmask_b32_e32 v4, 0x7f800000, v12, vcc_lo
	v_fmac_f32_e32 v4, v2, v7
	v_mul_u32_u24_sdwa v7, v8, v17 dst_sel:DWORD dst_unused:UNUSED_PAD src0_sel:WORD_0 src1_sel:DWORD
	v_mul_u32_u24_sdwa v8, v9, v17 dst_sel:DWORD dst_unused:UNUSED_PAD src0_sel:WORD_0 src1_sel:DWORD
	v_mov_b32_e32 v1, v3
	v_mov_b32_e32 v2, v4
	v_pk_mul_f16 v76, v76, v7
	v_pk_mul_f16 v78, v78, v7
	;; [unrolled: 1-line block ×4, first 2 shown]
	s_mov_b32 s6, exec_lo
	v_cmpx_gt_i32_e64 s30, v70
	s_cbranch_execnz .LBB59_76
.LBB59_74:
	s_endpgm
.LBB59_75:
	v_mov_b32_e32 v3, v1
	v_mov_b32_e32 v4, v2
	s_mov_b32 s6, exec_lo
	v_cmpx_gt_i32_e64 s30, v70
	s_cbranch_execz .LBB59_74
.LBB59_76:
	s_load_dword s5, s[4:5], 0xd4
	v_mov_b32_e32 v7, 1.0
	s_waitcnt lgkmcnt(0)
	s_cmp_lg_u32 s5, 1
	s_cselect_b32 s8, -1, 0
	s_cmp_eq_u32 s5, 1
	s_cselect_b32 s6, -1, 0
	s_and_b32 vcc_lo, exec_lo, s8
	s_cbranch_vccnz .LBB59_78
; %bb.77:
	v_div_scale_f32 v5, null, v3, v3, 1.0
	v_rcp_f32_e32 v6, v5
	v_fma_f32 v7, -v5, v6, 1.0
	v_fmac_f32_e32 v6, v7, v6
	v_div_scale_f32 v7, vcc_lo, 1.0, v3, 1.0
	v_mul_f32_e32 v8, v7, v6
	v_fma_f32 v9, -v5, v8, v7
	v_fmac_f32_e32 v8, v9, v6
	v_fma_f32 v5, -v5, v8, v7
	v_div_fmas_f32 v5, v5, v6, v8
	v_div_fixup_f32 v7, v5, v3, 1.0
.LBB59_78:
	s_mul_i32 s7, s33, s30
	v_mov_b32_e32 v9, 0
	s_add_i32 s7, s7, s19
	v_cmp_eq_u32_e32 vcc_lo, 0, v0
	v_add_nc_u32_e32 v3, s7, v69
	v_cvt_f32_f16_e32 v0, v76
	v_cvt_f32_f16_sdwa v11, v78 dst_sel:DWORD dst_unused:UNUSED_PAD src0_sel:WORD_1
	v_mad_u64_u32 v[5:6], null, v3, s31, s[44:45]
	v_cvt_f32_f16_sdwa v3, v76 dst_sel:DWORD dst_unused:UNUSED_PAD src0_sel:WORD_1
	v_mul_f32_e32 v11, v7, v11
	v_mad_u64_u32 v[5:6], null, s5, v5, s[34:35]
	v_cvt_f32_f16_e32 v6, v78
	v_mul_f32_e32 v10, v7, v6
	v_lshl_add_u32 v8, v5, 7, v71
	v_lshlrev_b64 v[12:13], 2, v[8:9]
	v_mul_f32_e32 v8, v7, v0
	v_mul_f32_e32 v9, v7, v3
	v_add_co_u32 v6, s4, s24, v12
	v_add_co_ci_u32_e64 v7, null, s25, v13, s4
	s_and_b32 s4, vcc_lo, s8
	global_store_dwordx4 v[6:7], v[8:11], off
	s_and_saveexec_b32 s8, s4
	s_cbranch_execz .LBB59_80
; %bb.79:
	v_ashrrev_i32_e32 v6, 31, v5
	v_mov_b32_e32 v0, v33
	v_lshlrev_b64 v[5:6], 3, v[5:6]
	v_add_co_u32 v5, vcc_lo, s26, v5
	v_add_co_ci_u32_e64 v6, null, s27, v6, vcc_lo
	global_store_dwordx2 v[5:6], v[0:1], off
.LBB59_80:
	s_or_b32 exec_lo, exec_lo, s8
	v_cmp_gt_i32_e32 vcc_lo, s30, v68
	s_and_b32 exec_lo, exec_lo, vcc_lo
	s_cbranch_execz .LBB59_74
; %bb.81:
	v_mov_b32_e32 v3, 1.0
	s_andn2_b32 vcc_lo, exec_lo, s6
	s_cbranch_vccnz .LBB59_83
; %bb.82:
	v_div_scale_f32 v0, null, v4, v4, 1.0
	v_rcp_f32_e32 v1, v0
	v_fma_f32 v3, -v0, v1, 1.0
	v_fmac_f32_e32 v1, v3, v1
	v_div_scale_f32 v3, vcc_lo, 1.0, v4, 1.0
	v_mul_f32_e32 v5, v3, v1
	v_fma_f32 v6, -v0, v5, v3
	v_fmac_f32_e32 v5, v6, v1
	v_fma_f32 v0, -v0, v5, v3
	v_div_fmas_f32 v0, v0, v1, v5
	v_div_fixup_f32 v3, v0, v4, 1.0
.LBB59_83:
	v_add_nc_u32_e32 v0, s7, v67
	v_mov_b32_e32 v5, 0
	v_cvt_f32_f16_sdwa v6, v75 dst_sel:DWORD dst_unused:UNUSED_PAD src0_sel:WORD_1
	v_cvt_f32_f16_e32 v7, v77
	v_cvt_f32_f16_sdwa v10, v77 dst_sel:DWORD dst_unused:UNUSED_PAD src0_sel:WORD_1
	v_mad_u64_u32 v[0:1], null, v0, s31, s[44:45]
	v_mad_u64_u32 v[0:1], null, s5, v0, s[34:35]
	v_cvt_f32_f16_e32 v1, v75
	v_lshl_add_u32 v4, v0, 7, v71
	v_lshlrev_b64 v[8:9], 2, v[4:5]
	v_mul_f32_e32 v4, v3, v1
	v_mul_f32_e32 v5, v3, v6
	;; [unrolled: 1-line block ×4, first 2 shown]
	v_add_co_u32 v8, vcc_lo, s24, v8
	v_add_co_ci_u32_e64 v9, null, s25, v9, vcc_lo
	global_store_dwordx4 v[8:9], v[4:7], off
	s_and_b32 exec_lo, exec_lo, s4
	s_cbranch_execz .LBB59_74
; %bb.84:
	v_ashrrev_i32_e32 v1, 31, v0
	v_lshlrev_b64 v[0:1], 3, v[0:1]
	v_add_co_u32 v3, vcc_lo, s26, v0
	v_add_co_ci_u32_e64 v4, null, s27, v1, vcc_lo
	v_mov_b32_e32 v1, v34
	global_store_dwordx2 v[3:4], v[1:2], off
	s_endpgm
	.section	.rodata,"a",@progbits
	.p2align	6, 0x0
	.amdhsa_kernel _ZL15flash_attn_tileILi128ELi128ELi16ELi1ELb0EEvPKcS1_S1_S1_S1_PKiPfP15HIP_vector_typeIfLj2EEffffjfiS5_IjLj3EEiiiiiiiiiiiliiliiiiil
		.amdhsa_group_segment_fixed_size 43008
		.amdhsa_private_segment_fixed_size 32
		.amdhsa_kernarg_size 464
		.amdhsa_user_sgpr_count 8
		.amdhsa_user_sgpr_private_segment_buffer 1
		.amdhsa_user_sgpr_dispatch_ptr 0
		.amdhsa_user_sgpr_queue_ptr 0
		.amdhsa_user_sgpr_kernarg_segment_ptr 1
		.amdhsa_user_sgpr_dispatch_id 0
		.amdhsa_user_sgpr_flat_scratch_init 1
		.amdhsa_user_sgpr_private_segment_size 0
		.amdhsa_wavefront_size32 1
		.amdhsa_uses_dynamic_stack 0
		.amdhsa_system_sgpr_private_segment_wavefront_offset 1
		.amdhsa_system_sgpr_workgroup_id_x 1
		.amdhsa_system_sgpr_workgroup_id_y 1
		.amdhsa_system_sgpr_workgroup_id_z 1
		.amdhsa_system_sgpr_workgroup_info 0
		.amdhsa_system_vgpr_workitem_id 1
		.amdhsa_next_free_vgpr 248
		.amdhsa_next_free_sgpr 53
		.amdhsa_reserve_vcc 1
		.amdhsa_reserve_flat_scratch 1
		.amdhsa_float_round_mode_32 0
		.amdhsa_float_round_mode_16_64 0
		.amdhsa_float_denorm_mode_32 3
		.amdhsa_float_denorm_mode_16_64 3
		.amdhsa_dx10_clamp 1
		.amdhsa_ieee_mode 1
		.amdhsa_fp16_overflow 0
		.amdhsa_workgroup_processor_mode 1
		.amdhsa_memory_ordered 1
		.amdhsa_forward_progress 1
		.amdhsa_shared_vgpr_count 0
		.amdhsa_exception_fp_ieee_invalid_op 0
		.amdhsa_exception_fp_denorm_src 0
		.amdhsa_exception_fp_ieee_div_zero 0
		.amdhsa_exception_fp_ieee_overflow 0
		.amdhsa_exception_fp_ieee_underflow 0
		.amdhsa_exception_fp_ieee_inexact 0
		.amdhsa_exception_int_div_zero 0
	.end_amdhsa_kernel
	.section	.text._ZL15flash_attn_tileILi128ELi128ELi16ELi1ELb0EEvPKcS1_S1_S1_S1_PKiPfP15HIP_vector_typeIfLj2EEffffjfiS5_IjLj3EEiiiiiiiiiiiliiliiiiil,"axG",@progbits,_ZL15flash_attn_tileILi128ELi128ELi16ELi1ELb0EEvPKcS1_S1_S1_S1_PKiPfP15HIP_vector_typeIfLj2EEffffjfiS5_IjLj3EEiiiiiiiiiiiliiliiiiil,comdat
.Lfunc_end59:
	.size	_ZL15flash_attn_tileILi128ELi128ELi16ELi1ELb0EEvPKcS1_S1_S1_S1_PKiPfP15HIP_vector_typeIfLj2EEffffjfiS5_IjLj3EEiiiiiiiiiiiliiliiiiil, .Lfunc_end59-_ZL15flash_attn_tileILi128ELi128ELi16ELi1ELb0EEvPKcS1_S1_S1_S1_PKiPfP15HIP_vector_typeIfLj2EEffffjfiS5_IjLj3EEiiiiiiiiiiiliiliiiiil
                                        ; -- End function
	.set _ZL15flash_attn_tileILi128ELi128ELi16ELi1ELb0EEvPKcS1_S1_S1_S1_PKiPfP15HIP_vector_typeIfLj2EEffffjfiS5_IjLj3EEiiiiiiiiiiiliiliiiiil.num_vgpr, 248
	.set _ZL15flash_attn_tileILi128ELi128ELi16ELi1ELb0EEvPKcS1_S1_S1_S1_PKiPfP15HIP_vector_typeIfLj2EEffffjfiS5_IjLj3EEiiiiiiiiiiiliiliiiiil.num_agpr, 0
	.set _ZL15flash_attn_tileILi128ELi128ELi16ELi1ELb0EEvPKcS1_S1_S1_S1_PKiPfP15HIP_vector_typeIfLj2EEffffjfiS5_IjLj3EEiiiiiiiiiiiliiliiiiil.numbered_sgpr, 53
	.set _ZL15flash_attn_tileILi128ELi128ELi16ELi1ELb0EEvPKcS1_S1_S1_S1_PKiPfP15HIP_vector_typeIfLj2EEffffjfiS5_IjLj3EEiiiiiiiiiiiliiliiiiil.num_named_barrier, 0
	.set _ZL15flash_attn_tileILi128ELi128ELi16ELi1ELb0EEvPKcS1_S1_S1_S1_PKiPfP15HIP_vector_typeIfLj2EEffffjfiS5_IjLj3EEiiiiiiiiiiiliiliiiiil.private_seg_size, 32
	.set _ZL15flash_attn_tileILi128ELi128ELi16ELi1ELb0EEvPKcS1_S1_S1_S1_PKiPfP15HIP_vector_typeIfLj2EEffffjfiS5_IjLj3EEiiiiiiiiiiiliiliiiiil.uses_vcc, 1
	.set _ZL15flash_attn_tileILi128ELi128ELi16ELi1ELb0EEvPKcS1_S1_S1_S1_PKiPfP15HIP_vector_typeIfLj2EEffffjfiS5_IjLj3EEiiiiiiiiiiiliiliiiiil.uses_flat_scratch, 1
	.set _ZL15flash_attn_tileILi128ELi128ELi16ELi1ELb0EEvPKcS1_S1_S1_S1_PKiPfP15HIP_vector_typeIfLj2EEffffjfiS5_IjLj3EEiiiiiiiiiiiliiliiiiil.has_dyn_sized_stack, 0
	.set _ZL15flash_attn_tileILi128ELi128ELi16ELi1ELb0EEvPKcS1_S1_S1_S1_PKiPfP15HIP_vector_typeIfLj2EEffffjfiS5_IjLj3EEiiiiiiiiiiiliiliiiiil.has_recursion, 0
	.set _ZL15flash_attn_tileILi128ELi128ELi16ELi1ELb0EEvPKcS1_S1_S1_S1_PKiPfP15HIP_vector_typeIfLj2EEffffjfiS5_IjLj3EEiiiiiiiiiiiliiliiiiil.has_indirect_call, 0
	.section	.AMDGPU.csdata,"",@progbits
; Kernel info:
; codeLenInByte = 49208
; TotalNumSgprs: 55
; NumVgprs: 248
; ScratchSize: 32
; MemoryBound: 0
; FloatMode: 240
; IeeeMode: 1
; LDSByteSize: 43008 bytes/workgroup (compile time only)
; SGPRBlocks: 0
; VGPRBlocks: 30
; NumSGPRsForWavesPerEU: 55
; NumVGPRsForWavesPerEU: 248
; Occupancy: 4
; WaveLimiterHint : 1
; COMPUTE_PGM_RSRC2:SCRATCH_EN: 1
; COMPUTE_PGM_RSRC2:USER_SGPR: 8
; COMPUTE_PGM_RSRC2:TRAP_HANDLER: 0
; COMPUTE_PGM_RSRC2:TGID_X_EN: 1
; COMPUTE_PGM_RSRC2:TGID_Y_EN: 1
; COMPUTE_PGM_RSRC2:TGID_Z_EN: 1
; COMPUTE_PGM_RSRC2:TIDIG_COMP_CNT: 1
	.section	.text._ZL33flash_attn_stream_k_fixup_uniformILi128ELi16ELi1EEvPfPK15HIP_vector_typeIfLj2EEiiiiiiS1_IjLj3EES5_S5_,"axG",@progbits,_ZL33flash_attn_stream_k_fixup_uniformILi128ELi16ELi1EEvPfPK15HIP_vector_typeIfLj2EEiiiiiiS1_IjLj3EES5_S5_,comdat
	.globl	_ZL33flash_attn_stream_k_fixup_uniformILi128ELi16ELi1EEvPfPK15HIP_vector_typeIfLj2EEiiiiiiS1_IjLj3EES5_S5_ ; -- Begin function _ZL33flash_attn_stream_k_fixup_uniformILi128ELi16ELi1EEvPfPK15HIP_vector_typeIfLj2EEiiiiiiS1_IjLj3EES5_S5_
	.p2align	8
	.type	_ZL33flash_attn_stream_k_fixup_uniformILi128ELi16ELi1EEvPfPK15HIP_vector_typeIfLj2EEiiiiiiS1_IjLj3EES5_S5_,@function
_ZL33flash_attn_stream_k_fixup_uniformILi128ELi16ELi1EEvPfPK15HIP_vector_typeIfLj2EEiiiiiiS1_IjLj3EES5_S5_: ; @_ZL33flash_attn_stream_k_fixup_uniformILi128ELi16ELi1EEvPfPK15HIP_vector_typeIfLj2EEiiiiiiS1_IjLj3EES5_S5_
; %bb.0:
	s_clause 0x2
	s_load_dwordx8 s[12:19], s[4:5], 0x1c
	s_load_dwordx4 s[20:23], s[4:5], 0x3c
	s_load_dwordx2 s[10:11], s[4:5], 0x10
	s_waitcnt lgkmcnt(0)
	s_mul_hi_u32 s0, s15, s6
	s_add_i32 s0, s6, s0
	s_lshr_b32 s0, s0, s16
	s_mul_i32 s1, s0, s17
	s_sub_i32 s2, s6, s1
	s_mul_hi_u32 s1, s2, s18
	s_add_i32 s1, s2, s1
	s_lshr_b32 s1, s1, s19
	s_mul_i32 s3, s1, s20
	s_sub_i32 s2, s2, s3
	;; [unrolled: 5-line block ×3, first 2 shown]
	s_lshl_b32 s2, s15, 4
	s_add_i32 s2, s2, s7
	s_cmp_lt_i32 s2, s10
	s_cselect_b32 s2, -1, 0
	s_add_i32 s3, s9, s8
	s_cmp_lt_i32 s3, s13
	s_cselect_b32 s3, -1, 0
	s_and_b32 s2, s2, s3
	s_andn2_b32 vcc_lo, exec_lo, s2
	s_cbranch_vccnz .LBB60_6
; %bb.1:
	s_mul_i32 s0, s0, s10
	s_mul_i32 s10, s1, s13
	s_add_i32 s0, s0, s7
	s_mul_i32 s0, s0, s11
	s_add_i32 s13, s0, s8
	s_load_dwordx4 s[0:3], s[4:5], 0x0
	s_add_i32 s4, s13, s10
	s_mul_i32 s5, s11, s15
	s_add_i32 s4, s4, s9
	s_lshl_b32 s5, s5, 11
	s_lshl_b32 s4, s4, 7
	s_add_i32 s8, s7, s8
	s_add_i32 s5, s5, s4
	s_mul_i32 s4, s14, s6
	v_or_b32_e32 v1, s5, v0
	s_add_i32 s9, s4, s14
	v_ashrrev_i32_e32 v2, 31, v1
	v_lshlrev_b64 v[1:2], 2, v[1:2]
	s_waitcnt lgkmcnt(0)
	v_add_co_u32 v1, vcc_lo, s0, v1
	v_add_co_ci_u32_e64 v2, null, s1, v2, vcc_lo
	s_lshl_b32 s0, s9, 4
	s_add_i32 s0, s8, s0
	global_load_dword v5, v[1:2], off
	s_add_i32 s0, s0, -16
	s_ashr_i32 s1, s0, 31
	s_lshl_b64 s[0:1], s[0:1], 3
	s_add_u32 s0, s2, s0
	s_addc_u32 s1, s3, s1
	s_add_i32 s5, s9, -2
	s_load_dword s10, s[0:1], 0x4
	s_cmp_lt_i32 s5, s4
	s_cbranch_scc1 .LBB60_4
; %bb.2:
	s_lshl_b32 s16, s12, 6
	s_load_dword s11, s[0:1], 0x0
	s_ashr_i32 s17, s16, 31
	s_waitcnt lgkmcnt(0)
	v_mov_b32_e32 v6, s10
	s_lshl_b64 s[0:1], s[16:17], 2
	s_add_u32 s5, s2, s0
	s_addc_u32 s7, s3, s1
	s_add_i32 s6, s6, 1
	s_lshl_b32 s1, s8, 7
	s_mul_i32 s0, s14, s6
	s_lshl_b32 s6, s0, 11
	s_lshl_b32 s0, s0, 4
	s_add_i32 s1, s1, s6
	s_add_i32 s0, s8, s0
	v_or_b32_e32 v0, s1, v0
	s_lshl_b32 s1, s12, 4
	s_add_i32 s6, s9, -1
	s_add_i32 s0, s0, s1
	v_add_nc_u32_e32 v3, 0xfffff000, v0
	v_mov_b32_e32 v0, s11
	s_sub_i32 s0, s0, 32
.LBB60_3:                               ; =>This Inner Loop Header: Depth=1
	v_ashrrev_i32_e32 v4, 31, v3
	s_ashr_i32 s1, s0, 31
	s_lshl_b64 s[8:9], s[0:1], 3
	s_add_u32 s8, s2, s8
	v_lshlrev_b64 v[7:8], 2, v[3:4]
	s_addc_u32 s9, s3, s9
	v_add_nc_u32_e32 v3, 0xfffff800, v3
	s_add_i32 s6, s6, -1
	s_add_i32 s0, s0, -16
	s_cmp_le_i32 s6, s4
	v_add_co_u32 v7, vcc_lo, s5, v7
	v_add_co_ci_u32_e64 v8, null, s7, v8, vcc_lo
	s_load_dwordx2 s[8:9], s[8:9], 0x0
	global_load_dword v4, v[7:8], off
	v_max_f32_e32 v7, v0, v0
	s_waitcnt lgkmcnt(0)
	v_max_f32_e64 v8, s8, s8
	v_max_f32_e32 v7, v7, v8
	v_sub_f32_e32 v8, s8, v7
	v_sub_f32_e32 v0, v0, v7
	v_mul_f32_e32 v9, 0x3fb8aa3b, v8
	v_mul_f32_e32 v12, 0x3fb8aa3b, v0
	v_cmp_ngt_f32_e32 vcc_lo, 0xc2ce8ed0, v8
	v_fma_f32 v10, 0x3fb8aa3b, v8, -v9
	v_rndne_f32_e32 v11, v9
	v_fma_f32 v13, 0x3fb8aa3b, v0, -v12
	v_rndne_f32_e32 v14, v12
	v_fmac_f32_e32 v10, 0x32a5705f, v8
	v_sub_f32_e32 v9, v9, v11
	v_fmac_f32_e32 v13, 0x32a5705f, v0
	v_cvt_i32_f32_e32 v11, v11
	v_add_f32_e32 v9, v9, v10
	v_sub_f32_e32 v10, v12, v14
	v_exp_f32_e32 v9, v9
	v_add_f32_e32 v10, v10, v13
	v_exp_f32_e32 v10, v10
	v_ldexp_f32 v9, v9, v11
	v_cvt_i32_f32_e32 v11, v14
	v_cndmask_b32_e32 v9, 0, v9, vcc_lo
	v_cmp_nlt_f32_e32 vcc_lo, 0x42b17218, v8
	v_ldexp_f32 v10, v10, v11
	v_mov_b32_e32 v11, v6
	v_cndmask_b32_e32 v9, 0x7f800000, v9, vcc_lo
	v_cmp_ngt_f32_e32 vcc_lo, 0xc2ce8ed0, v0
	v_cndmask_b32_e32 v10, 0, v10, vcc_lo
	v_cmp_le_f32_e32 vcc_lo, 0xc1a00000, v8
	v_cndmask_b32_e32 v8, 0, v9, vcc_lo
	v_cmp_nlt_f32_e32 vcc_lo, 0x42b17218, v0
	s_waitcnt vmcnt(1)
	v_mov_b32_e32 v9, v5
	v_cndmask_b32_e32 v5, 0x7f800000, v10, vcc_lo
	v_mul_f32_e32 v10, s9, v8
	v_cmp_le_f32_e32 vcc_lo, 0xc1a00000, v0
	v_mov_b32_e32 v0, v7
	v_mov_b32_e32 v6, v10
	v_cndmask_b32_e32 v12, 0, v5, vcc_lo
	v_fmac_f32_e32 v6, v11, v12
	s_waitcnt vmcnt(0)
	v_mul_f32_e32 v5, v4, v8
	v_fmac_f32_e32 v5, v9, v12
	s_cbranch_scc0 .LBB60_3
	s_branch .LBB60_5
.LBB60_4:
	s_waitcnt lgkmcnt(0)
	v_mov_b32_e32 v6, s10
.LBB60_5:
	s_waitcnt vmcnt(0)
	v_div_scale_f32 v0, null, v6, v6, v5
	v_rcp_f32_e32 v3, v0
	v_fma_f32 v4, -v0, v3, 1.0
	v_fmac_f32_e32 v3, v4, v3
	v_div_scale_f32 v4, vcc_lo, v5, v6, v5
	v_mul_f32_e32 v7, v4, v3
	v_fma_f32 v8, -v0, v7, v4
	v_fmac_f32_e32 v7, v8, v3
	v_fma_f32 v0, -v0, v7, v4
	v_div_fmas_f32 v0, v0, v3, v7
	v_div_fixup_f32 v0, v0, v6, v5
	global_store_dword v[1:2], v0, off
.LBB60_6:
	s_endpgm
	.section	.rodata,"a",@progbits
	.p2align	6, 0x0
	.amdhsa_kernel _ZL33flash_attn_stream_k_fixup_uniformILi128ELi16ELi1EEvPfPK15HIP_vector_typeIfLj2EEiiiiiiS1_IjLj3EES5_S5_
		.amdhsa_group_segment_fixed_size 0
		.amdhsa_private_segment_fixed_size 0
		.amdhsa_kernarg_size 76
		.amdhsa_user_sgpr_count 6
		.amdhsa_user_sgpr_private_segment_buffer 1
		.amdhsa_user_sgpr_dispatch_ptr 0
		.amdhsa_user_sgpr_queue_ptr 0
		.amdhsa_user_sgpr_kernarg_segment_ptr 1
		.amdhsa_user_sgpr_dispatch_id 0
		.amdhsa_user_sgpr_flat_scratch_init 0
		.amdhsa_user_sgpr_private_segment_size 0
		.amdhsa_wavefront_size32 1
		.amdhsa_uses_dynamic_stack 0
		.amdhsa_system_sgpr_private_segment_wavefront_offset 0
		.amdhsa_system_sgpr_workgroup_id_x 1
		.amdhsa_system_sgpr_workgroup_id_y 1
		.amdhsa_system_sgpr_workgroup_id_z 1
		.amdhsa_system_sgpr_workgroup_info 0
		.amdhsa_system_vgpr_workitem_id 0
		.amdhsa_next_free_vgpr 15
		.amdhsa_next_free_sgpr 24
		.amdhsa_reserve_vcc 1
		.amdhsa_reserve_flat_scratch 0
		.amdhsa_float_round_mode_32 0
		.amdhsa_float_round_mode_16_64 0
		.amdhsa_float_denorm_mode_32 3
		.amdhsa_float_denorm_mode_16_64 3
		.amdhsa_dx10_clamp 1
		.amdhsa_ieee_mode 1
		.amdhsa_fp16_overflow 0
		.amdhsa_workgroup_processor_mode 1
		.amdhsa_memory_ordered 1
		.amdhsa_forward_progress 1
		.amdhsa_shared_vgpr_count 0
		.amdhsa_exception_fp_ieee_invalid_op 0
		.amdhsa_exception_fp_denorm_src 0
		.amdhsa_exception_fp_ieee_div_zero 0
		.amdhsa_exception_fp_ieee_overflow 0
		.amdhsa_exception_fp_ieee_underflow 0
		.amdhsa_exception_fp_ieee_inexact 0
		.amdhsa_exception_int_div_zero 0
	.end_amdhsa_kernel
	.section	.text._ZL33flash_attn_stream_k_fixup_uniformILi128ELi16ELi1EEvPfPK15HIP_vector_typeIfLj2EEiiiiiiS1_IjLj3EES5_S5_,"axG",@progbits,_ZL33flash_attn_stream_k_fixup_uniformILi128ELi16ELi1EEvPfPK15HIP_vector_typeIfLj2EEiiiiiiS1_IjLj3EES5_S5_,comdat
.Lfunc_end60:
	.size	_ZL33flash_attn_stream_k_fixup_uniformILi128ELi16ELi1EEvPfPK15HIP_vector_typeIfLj2EEiiiiiiS1_IjLj3EES5_S5_, .Lfunc_end60-_ZL33flash_attn_stream_k_fixup_uniformILi128ELi16ELi1EEvPfPK15HIP_vector_typeIfLj2EEiiiiiiS1_IjLj3EES5_S5_
                                        ; -- End function
	.set _ZL33flash_attn_stream_k_fixup_uniformILi128ELi16ELi1EEvPfPK15HIP_vector_typeIfLj2EEiiiiiiS1_IjLj3EES5_S5_.num_vgpr, 15
	.set _ZL33flash_attn_stream_k_fixup_uniformILi128ELi16ELi1EEvPfPK15HIP_vector_typeIfLj2EEiiiiiiS1_IjLj3EES5_S5_.num_agpr, 0
	.set _ZL33flash_attn_stream_k_fixup_uniformILi128ELi16ELi1EEvPfPK15HIP_vector_typeIfLj2EEiiiiiiS1_IjLj3EES5_S5_.numbered_sgpr, 24
	.set _ZL33flash_attn_stream_k_fixup_uniformILi128ELi16ELi1EEvPfPK15HIP_vector_typeIfLj2EEiiiiiiS1_IjLj3EES5_S5_.num_named_barrier, 0
	.set _ZL33flash_attn_stream_k_fixup_uniformILi128ELi16ELi1EEvPfPK15HIP_vector_typeIfLj2EEiiiiiiS1_IjLj3EES5_S5_.private_seg_size, 0
	.set _ZL33flash_attn_stream_k_fixup_uniformILi128ELi16ELi1EEvPfPK15HIP_vector_typeIfLj2EEiiiiiiS1_IjLj3EES5_S5_.uses_vcc, 1
	.set _ZL33flash_attn_stream_k_fixup_uniformILi128ELi16ELi1EEvPfPK15HIP_vector_typeIfLj2EEiiiiiiS1_IjLj3EES5_S5_.uses_flat_scratch, 0
	.set _ZL33flash_attn_stream_k_fixup_uniformILi128ELi16ELi1EEvPfPK15HIP_vector_typeIfLj2EEiiiiiiS1_IjLj3EES5_S5_.has_dyn_sized_stack, 0
	.set _ZL33flash_attn_stream_k_fixup_uniformILi128ELi16ELi1EEvPfPK15HIP_vector_typeIfLj2EEiiiiiiS1_IjLj3EES5_S5_.has_recursion, 0
	.set _ZL33flash_attn_stream_k_fixup_uniformILi128ELi16ELi1EEvPfPK15HIP_vector_typeIfLj2EEiiiiiiS1_IjLj3EES5_S5_.has_indirect_call, 0
	.section	.AMDGPU.csdata,"",@progbits
; Kernel info:
; codeLenInByte = 828
; TotalNumSgprs: 26
; NumVgprs: 15
; ScratchSize: 0
; MemoryBound: 0
; FloatMode: 240
; IeeeMode: 1
; LDSByteSize: 0 bytes/workgroup (compile time only)
; SGPRBlocks: 0
; VGPRBlocks: 1
; NumSGPRsForWavesPerEU: 26
; NumVGPRsForWavesPerEU: 15
; Occupancy: 16
; WaveLimiterHint : 0
; COMPUTE_PGM_RSRC2:SCRATCH_EN: 0
; COMPUTE_PGM_RSRC2:USER_SGPR: 6
; COMPUTE_PGM_RSRC2:TRAP_HANDLER: 0
; COMPUTE_PGM_RSRC2:TGID_X_EN: 1
; COMPUTE_PGM_RSRC2:TGID_Y_EN: 1
; COMPUTE_PGM_RSRC2:TGID_Z_EN: 1
; COMPUTE_PGM_RSRC2:TIDIG_COMP_CNT: 0
	.section	.text._ZL33flash_attn_stream_k_fixup_generalILi128ELi16ELi1EEvPfPK15HIP_vector_typeIfLj2EEiiiiS1_IjLj3EES5_S5_S5_,"axG",@progbits,_ZL33flash_attn_stream_k_fixup_generalILi128ELi16ELi1EEvPfPK15HIP_vector_typeIfLj2EEiiiiS1_IjLj3EES5_S5_S5_,comdat
	.globl	_ZL33flash_attn_stream_k_fixup_generalILi128ELi16ELi1EEvPfPK15HIP_vector_typeIfLj2EEiiiiS1_IjLj3EES5_S5_S5_ ; -- Begin function _ZL33flash_attn_stream_k_fixup_generalILi128ELi16ELi1EEvPfPK15HIP_vector_typeIfLj2EEiiiiS1_IjLj3EES5_S5_S5_
	.p2align	8
	.type	_ZL33flash_attn_stream_k_fixup_generalILi128ELi16ELi1EEvPfPK15HIP_vector_typeIfLj2EEiiiiS1_IjLj3EES5_S5_S5_,@function
_ZL33flash_attn_stream_k_fixup_generalILi128ELi16ELi1EEvPfPK15HIP_vector_typeIfLj2EEiiiiS1_IjLj3EES5_S5_S5_: ; @_ZL33flash_attn_stream_k_fixup_generalILi128ELi16ELi1EEvPfPK15HIP_vector_typeIfLj2EEiiiiS1_IjLj3EES5_S5_S5_
; %bb.0:
	s_clause 0x1
	s_load_dwordx4 s[0:3], s[4:5], 0x10
	s_load_dword s9, s[4:5], 0x50
	s_mov_b32 s16, 0
	s_waitcnt lgkmcnt(0)
	s_mul_hi_i32 s17, s3, s6
	s_mul_i32 s18, s3, s6
	s_cmp_lg_u64 s[16:17], 0
	s_cbranch_scc0 .LBB61_21
; %bb.1:
	s_add_u32 s10, s9, 0
	s_addc_u32 s11, 0, 0
	s_xor_b64 s[10:11], s[10:11], 0
	v_cvt_f32_u32_e32 v1, s10
	v_cvt_f32_u32_e32 v2, s11
	s_sub_u32 s14, 0, s10
	s_subb_u32 s15, 0, s11
	v_fmamk_f32 v1, v2, 0x4f800000, v1
	v_rcp_f32_e32 v1, v1
	v_mul_f32_e32 v1, 0x5f7ffffc, v1
	v_mul_f32_e32 v2, 0x2f800000, v1
	v_trunc_f32_e32 v2, v2
	v_fmamk_f32 v1, v2, 0xcf800000, v1
	v_cvt_u32_f32_e32 v2, v2
	v_cvt_u32_f32_e32 v1, v1
	v_readfirstlane_b32 s12, v2
	v_readfirstlane_b32 s13, v1
	s_mul_i32 s19, s14, s12
	s_mul_hi_u32 s21, s14, s13
	s_mul_i32 s20, s15, s13
	s_add_i32 s19, s21, s19
	s_mul_i32 s22, s14, s13
	s_add_i32 s19, s19, s20
	s_mul_hi_u32 s21, s13, s22
	s_mul_i32 s24, s13, s19
	s_mul_hi_u32 s23, s12, s22
	s_mul_i32 s20, s12, s22
	s_mul_hi_u32 s22, s13, s19
	s_add_u32 s21, s21, s24
	s_addc_u32 s22, 0, s22
	s_mul_hi_u32 s25, s12, s19
	s_add_u32 s20, s21, s20
	s_mul_i32 s19, s12, s19
	s_addc_u32 s20, s22, s23
	s_addc_u32 s21, s25, 0
	s_add_u32 s19, s20, s19
	s_addc_u32 s20, 0, s21
	s_add_u32 s13, s13, s19
	s_cselect_b32 s19, -1, 0
	s_mul_hi_u32 s21, s14, s13
	s_cmp_lg_u32 s19, 0
	s_mul_i32 s19, s14, s13
	s_addc_u32 s12, s12, s20
	s_mul_i32 s15, s15, s13
	s_mul_i32 s14, s14, s12
	s_mul_hi_u32 s20, s13, s19
	s_add_i32 s14, s21, s14
	s_mul_hi_u32 s21, s12, s19
	s_add_i32 s14, s14, s15
	s_mul_i32 s15, s12, s19
	s_mul_i32 s23, s13, s14
	s_mul_hi_u32 s22, s13, s14
	s_add_u32 s20, s20, s23
	s_addc_u32 s22, 0, s22
	s_mul_hi_u32 s19, s12, s14
	s_add_u32 s15, s20, s15
	s_mul_i32 s14, s12, s14
	s_addc_u32 s15, s22, s21
	s_addc_u32 s19, s19, 0
	s_add_u32 s14, s15, s14
	s_addc_u32 s15, 0, s19
	s_add_u32 s19, s13, s14
	s_cselect_b32 s13, -1, 0
	s_cmp_lg_u32 s13, 0
	s_addc_u32 s20, s12, s15
	s_ashr_i32 s12, s17, 31
	s_add_u32 s14, s18, s12
	s_mov_b32 s13, s12
	s_addc_u32 s15, s17, s12
	s_xor_b64 s[14:15], s[14:15], s[12:13]
	s_mul_i32 s21, s14, s20
	s_mul_hi_u32 s22, s14, s19
	s_mul_hi_u32 s17, s14, s20
	;; [unrolled: 1-line block ×3, first 2 shown]
	s_mul_i32 s19, s15, s19
	s_add_u32 s21, s22, s21
	s_addc_u32 s17, 0, s17
	s_mul_hi_u32 s23, s15, s20
	s_add_u32 s19, s21, s19
	s_mul_i32 s20, s15, s20
	s_addc_u32 s17, s17, s24
	s_addc_u32 s19, s23, 0
	s_add_u32 s17, s17, s20
	s_addc_u32 s19, 0, s19
	s_mul_hi_u32 s20, s10, s17
	s_mul_i32 s21, s10, s19
	s_mul_i32 s22, s11, s17
	s_add_i32 s20, s20, s21
	s_mul_i32 s21, s10, s17
	s_add_i32 s20, s20, s22
	s_sub_i32 s22, s15, s20
	s_sub_u32 s14, s14, s21
	s_cselect_b32 s21, -1, 0
	s_cmp_lg_u32 s21, 0
	s_subb_u32 s22, s22, s11
	s_sub_u32 s23, s14, s10
	s_cselect_b32 s24, -1, 0
	s_cmp_lg_u32 s24, 0
	s_subb_u32 s22, s22, 0
	s_cmp_ge_u32 s22, s11
	s_cselect_b32 s24, -1, 0
	s_cmp_ge_u32 s23, s10
	s_cselect_b32 s23, -1, 0
	s_cmp_eq_u32 s22, s11
	s_cselect_b32 s22, s23, s24
	s_add_u32 s23, s17, 1
	s_addc_u32 s24, s19, 0
	s_add_u32 s25, s17, 2
	s_addc_u32 s26, s19, 0
	s_cmp_lg_u32 s22, 0
	s_cselect_b32 s22, s25, s23
	s_cselect_b32 s23, s26, s24
	s_cmp_lg_u32 s21, 0
	s_subb_u32 s15, s15, s20
	s_cmp_ge_u32 s15, s11
	s_cselect_b32 s20, -1, 0
	s_cmp_ge_u32 s14, s10
	s_cselect_b32 s10, -1, 0
	s_cmp_eq_u32 s15, s11
	s_cselect_b32 s10, s10, s20
	s_cmp_lg_u32 s10, 0
	s_cselect_b32 s11, s23, s19
	s_cselect_b32 s10, s22, s17
	s_xor_b64 s[12:13], s[12:13], 0
	s_xor_b64 s[10:11], s[10:11], s[12:13]
	s_sub_u32 s10, s10, s12
	s_load_dwordx4 s[12:15], s[4:5], 0x44
	s_andn2_b32 vcc_lo, exec_lo, s16
	s_cbranch_vccnz .LBB61_3
.LBB61_2:
	v_cvt_f32_u32_e32 v1, s9
	s_sub_i32 s11, 0, s9
	v_rcp_iflag_f32_e32 v1, v1
	v_mul_f32_e32 v1, 0x4f7ffffe, v1
	v_cvt_u32_f32_e32 v1, v1
	v_readfirstlane_b32 s10, v1
	s_mul_i32 s11, s11, s10
	s_mul_hi_u32 s11, s10, s11
	s_add_i32 s10, s10, s11
	s_mul_hi_u32 s10, s18, s10
	s_mul_i32 s11, s10, s9
	s_waitcnt lgkmcnt(0)
	s_add_i32 s15, s10, 1
	s_sub_i32 s11, s18, s11
	s_sub_i32 s16, s11, s9
	s_cmp_ge_u32 s11, s9
	s_cselect_b32 s10, s15, s10
	s_cselect_b32 s11, s16, s11
	s_add_i32 s15, s10, 1
	s_cmp_ge_u32 s11, s9
	s_cselect_b32 s10, s15, s10
.LBB61_3:
	s_add_i32 s11, s6, 1
	s_mov_b32 s16, 0
	s_mul_hi_i32 s17, s3, s11
	s_mul_i32 s11, s3, s11
	s_cmp_lg_u64 s[16:17], 0
	s_cbranch_scc0 .LBB61_22
; %bb.4:
	s_add_u32 s18, s9, 0
	s_addc_u32 s19, 0, 0
	s_xor_b64 s[18:19], s[18:19], 0
	v_cvt_f32_u32_e32 v1, s18
	v_cvt_f32_u32_e32 v2, s19
	s_sub_u32 s21, 0, s18
	s_subb_u32 s22, 0, s19
	v_fmamk_f32 v1, v2, 0x4f800000, v1
	v_rcp_f32_e32 v1, v1
	v_mul_f32_e32 v1, 0x5f7ffffc, v1
	v_mul_f32_e32 v2, 0x2f800000, v1
	v_trunc_f32_e32 v2, v2
	v_fmamk_f32 v1, v2, 0xcf800000, v1
	v_cvt_u32_f32_e32 v2, v2
	v_cvt_u32_f32_e32 v1, v1
	s_waitcnt lgkmcnt(0)
	v_readfirstlane_b32 s15, v2
	v_readfirstlane_b32 s20, v1
	s_mul_i32 s23, s21, s15
	s_mul_hi_u32 s25, s21, s20
	s_mul_i32 s24, s22, s20
	s_add_i32 s23, s25, s23
	s_mul_i32 s26, s21, s20
	s_add_i32 s23, s23, s24
	s_mul_hi_u32 s25, s20, s26
	s_mul_i32 s28, s20, s23
	s_mul_hi_u32 s27, s15, s26
	s_mul_i32 s24, s15, s26
	s_mul_hi_u32 s26, s20, s23
	s_add_u32 s25, s25, s28
	s_addc_u32 s26, 0, s26
	s_mul_hi_u32 s29, s15, s23
	s_add_u32 s24, s25, s24
	s_mul_i32 s23, s15, s23
	s_addc_u32 s24, s26, s27
	s_addc_u32 s25, s29, 0
	s_add_u32 s23, s24, s23
	s_addc_u32 s24, 0, s25
	s_add_u32 s20, s20, s23
	s_cselect_b32 s23, -1, 0
	s_mul_hi_u32 s25, s21, s20
	s_cmp_lg_u32 s23, 0
	s_mul_i32 s23, s21, s20
	s_addc_u32 s15, s15, s24
	s_mul_i32 s22, s22, s20
	s_mul_i32 s21, s21, s15
	s_mul_hi_u32 s24, s20, s23
	s_add_i32 s21, s25, s21
	s_mul_hi_u32 s25, s15, s23
	s_add_i32 s21, s21, s22
	s_mul_i32 s22, s15, s23
	s_mul_i32 s27, s20, s21
	s_mul_hi_u32 s26, s20, s21
	s_add_u32 s24, s24, s27
	s_addc_u32 s26, 0, s26
	s_mul_hi_u32 s23, s15, s21
	s_add_u32 s22, s24, s22
	s_mul_i32 s21, s15, s21
	s_addc_u32 s22, s26, s25
	s_addc_u32 s23, s23, 0
	s_add_u32 s21, s22, s21
	s_addc_u32 s22, 0, s23
	s_add_u32 s24, s20, s21
	s_cselect_b32 s20, -1, 0
	s_cmp_lg_u32 s20, 0
	s_addc_u32 s15, s15, s22
	s_ashr_i32 s20, s17, 31
	s_add_u32 s22, s11, s20
	s_mov_b32 s21, s20
	s_addc_u32 s23, s17, s20
	s_xor_b64 s[22:23], s[22:23], s[20:21]
	s_mul_i32 s25, s22, s15
	s_mul_hi_u32 s26, s22, s24
	s_mul_hi_u32 s17, s22, s15
	;; [unrolled: 1-line block ×3, first 2 shown]
	s_mul_i32 s24, s23, s24
	s_add_u32 s25, s26, s25
	s_addc_u32 s17, 0, s17
	s_mul_hi_u32 s27, s23, s15
	s_add_u32 s24, s25, s24
	s_mul_i32 s15, s23, s15
	s_addc_u32 s17, s17, s28
	s_addc_u32 s24, s27, 0
	s_add_u32 s15, s17, s15
	s_addc_u32 s17, 0, s24
	s_mul_hi_u32 s24, s18, s15
	s_mul_i32 s25, s18, s17
	s_mul_i32 s26, s19, s15
	s_add_i32 s24, s24, s25
	s_mul_i32 s25, s18, s15
	s_add_i32 s24, s24, s26
	s_sub_i32 s26, s23, s24
	s_sub_u32 s22, s22, s25
	s_cselect_b32 s25, -1, 0
	s_cmp_lg_u32 s25, 0
	s_subb_u32 s26, s26, s19
	s_sub_u32 s27, s22, s18
	s_cselect_b32 s28, -1, 0
	s_cmp_lg_u32 s28, 0
	s_subb_u32 s26, s26, 0
	s_cmp_ge_u32 s26, s19
	s_cselect_b32 s28, -1, 0
	s_cmp_ge_u32 s27, s18
	s_cselect_b32 s27, -1, 0
	s_cmp_eq_u32 s26, s19
	s_cselect_b32 s26, s27, s28
	s_add_u32 s27, s15, 1
	s_addc_u32 s28, s17, 0
	s_add_u32 s29, s15, 2
	s_addc_u32 s30, s17, 0
	s_cmp_lg_u32 s26, 0
	s_cselect_b32 s26, s29, s27
	s_cselect_b32 s27, s30, s28
	s_cmp_lg_u32 s25, 0
	s_subb_u32 s23, s23, s24
	s_cmp_ge_u32 s23, s19
	s_cselect_b32 s24, -1, 0
	s_cmp_ge_u32 s22, s18
	s_cselect_b32 s18, -1, 0
	s_cmp_eq_u32 s23, s19
	s_cselect_b32 s18, s18, s24
	s_cmp_lg_u32 s18, 0
	s_cselect_b32 s19, s27, s17
	s_cselect_b32 s18, s26, s15
	s_xor_b64 s[20:21], s[20:21], 0
	s_xor_b64 s[18:19], s[18:19], s[20:21]
	s_sub_u32 s18, s18, s20
	s_andn2_b32 vcc_lo, exec_lo, s16
	s_cbranch_vccnz .LBB61_6
.LBB61_5:
	v_cvt_f32_u32_e32 v1, s9
	s_sub_i32 s16, 0, s9
	v_rcp_iflag_f32_e32 v1, v1
	v_mul_f32_e32 v1, 0x4f7ffffe, v1
	v_cvt_u32_f32_e32 v1, v1
	s_waitcnt lgkmcnt(0)
	v_readfirstlane_b32 s15, v1
	s_mul_i32 s16, s16, s15
	s_mul_hi_u32 s16, s15, s16
	s_add_i32 s15, s15, s16
	s_mul_hi_u32 s15, s11, s15
	s_mul_i32 s16, s15, s9
	s_sub_i32 s11, s11, s16
	s_add_i32 s16, s15, 1
	s_sub_i32 s17, s11, s9
	s_cmp_ge_u32 s11, s9
	s_cselect_b32 s15, s16, s15
	s_cselect_b32 s11, s17, s11
	s_add_i32 s16, s15, 1
	s_cmp_ge_u32 s11, s9
	s_cselect_b32 s18, s16, s15
.LBB61_6:
	s_cmp_eq_u32 s10, s18
	s_waitcnt lgkmcnt(0)
	s_mul_hi_u32 s11, s10, s12
	s_cselect_b32 s15, -1, 0
	s_add_i32 s11, s11, s10
	s_lshr_b32 s11, s11, s13
	s_mul_i32 s16, s11, s14
	s_cmp_eq_u32 s16, s10
	s_mul_hi_u32 s16, s18, s12
	s_cselect_b32 s17, -1, 0
	s_add_i32 s16, s16, s18
	s_lshr_b32 s16, s16, s13
	s_cmp_eq_u32 s11, s16
	s_mul_i32 s16, s16, s14
	s_cselect_b32 s19, -1, 0
	s_cmp_lg_u32 s16, s18
	s_cselect_b32 s16, -1, 0
	s_or_b32 s15, s15, s17
	s_and_b32 s16, s19, s16
	s_or_b32 s15, s15, s16
	s_and_b32 vcc_lo, exec_lo, s15
	s_cbranch_vccnz .LBB61_24
; %bb.7:
	s_load_dwordx8 s[20:27], s[4:5], 0x20
	s_waitcnt lgkmcnt(0)
	s_mul_hi_u32 s15, s10, s20
	s_add_i32 s15, s15, s10
	s_lshr_b32 s20, s15, s21
	s_load_dword s15, s[4:5], 0x40
	s_mul_i32 s16, s20, s22
	s_sub_i32 s16, s10, s16
	s_mul_hi_u32 s17, s16, s23
	s_add_i32 s17, s16, s17
	s_lshr_b32 s22, s17, s24
	s_mul_i32 s17, s22, s25
	s_sub_i32 s16, s16, s17
	s_mul_hi_u32 s17, s16, s26
	s_add_i32 s17, s16, s17
	s_lshr_b32 s23, s17, s27
	s_waitcnt lgkmcnt(0)
	s_mul_i32 s15, s23, s15
	s_sub_i32 s15, s16, s15
	s_mul_hi_u32 s16, s15, s12
	s_add_i32 s15, s15, s16
	s_lshr_b32 s24, s15, s13
	s_lshl_b32 s15, s24, 4
	s_add_i32 s15, s15, s7
	s_cmp_lt_i32 s15, s0
	s_cselect_b32 s15, -1, 0
	s_add_i32 s16, s23, s8
	s_cmp_lt_i32 s16, s2
	s_cselect_b32 s16, -1, 0
	s_and_b32 s15, s15, s16
	s_andn2_b32 vcc_lo, exec_lo, s15
	s_cbranch_vccnz .LBB61_24
; %bb.8:
	s_load_dwordx4 s[16:19], s[4:5], 0x0
	s_mov_b32 s4, 0
	s_lshl_b32 s26, s9, 6
	s_mov_b32 s27, s4
	s_add_i32 s15, s7, s8
	s_lshl_b64 s[26:27], s[26:27], 2
	s_mul_i32 s0, s20, s0
	s_mul_i32 s22, s22, s2
	v_cvt_f32_u32_e32 v4, s9
	v_rcp_iflag_f32_e32 v4, v4
	s_waitcnt lgkmcnt(0)
	s_add_u32 s20, s18, s26
	s_addc_u32 s21, s19, s27
	s_add_i32 s0, s0, s7
	v_mul_f32_e32 v4, 0x4f7ffffe, v4
	s_mul_i32 s0, s0, s1
	s_mul_i32 s1, s1, s24
	s_add_i32 s0, s0, s8
	s_lshl_b32 s1, s1, 11
	s_add_i32 s0, s0, s22
	v_cvt_u32_f32_e32 v4, v4
	s_add_i32 s0, s0, s23
	s_lshl_b32 s0, s0, 7
	s_add_i32 s1, s1, s0
	s_lshl_b32 s0, s6, 4
	v_or_b32_e32 v1, s1, v0
	s_add_i32 s0, s0, s15
	v_lshl_or_b32 v0, s15, 7, v0
	s_ashr_i32 s1, s0, 31
	v_ashrrev_i32_e32 v2, 31, v1
	s_lshl_b64 s[0:1], s[0:1], 3
	s_add_u32 s0, s18, s0
	s_addc_u32 s1, s19, s1
	v_lshlrev_b64 v[1:2], 2, v[1:2]
	s_load_dwordx2 s[0:1], s[0:1], 0x0
	s_add_i32 s8, s6, -1
	s_sub_i32 s2, 0, s9
	v_add_co_u32 v1, vcc_lo, s16, v1
	v_add_co_ci_u32_e64 v2, null, s17, v2, vcc_lo
	global_load_dword v3, v[1:2], off
	s_waitcnt lgkmcnt(0)
	v_mov_b32_e32 v5, s1
	v_mov_b32_e32 v6, s0
.LBB61_9:                               ; =>This Inner Loop Header: Depth=1
	s_mul_hi_i32 s5, s8, s3
	s_mul_i32 s6, s8, s3
	s_cmp_lg_u64 s[4:5], 0
	s_mov_b32 s7, -1
                                        ; implicit-def: $sgpr0_sgpr1
	s_cbranch_scc0 .LBB61_11
; %bb.10:                               ;   in Loop: Header=BB61_9 Depth=1
	s_add_u32 s0, s9, 0
	s_addc_u32 s1, 0, 0
	s_xor_b64 s[0:1], s[0:1], 0
	v_cvt_f32_u32_e32 v7, s0
	v_cvt_f32_u32_e32 v8, s1
	s_sub_u32 s17, 0, s0
	s_subb_u32 s22, 0, s1
	v_fmac_f32_e32 v7, 0x4f800000, v8
	v_rcp_f32_e32 v7, v7
	v_mul_f32_e32 v7, 0x5f7ffffc, v7
	v_mul_f32_e32 v8, 0x2f800000, v7
	v_trunc_f32_e32 v8, v8
	v_fmac_f32_e32 v7, 0xcf800000, v8
	v_cvt_u32_f32_e32 v8, v8
	v_cvt_u32_f32_e32 v7, v7
	v_readfirstlane_b32 s7, v8
	v_readfirstlane_b32 s16, v7
	s_mul_i32 s23, s17, s7
	s_mul_hi_u32 s25, s17, s16
	s_mul_i32 s24, s22, s16
	s_add_i32 s23, s25, s23
	s_mul_i32 s26, s17, s16
	s_add_i32 s23, s23, s24
	s_mul_hi_u32 s25, s16, s26
	s_mul_i32 s28, s16, s23
	s_mul_hi_u32 s27, s7, s26
	s_mul_i32 s24, s7, s26
	s_mul_hi_u32 s26, s16, s23
	s_add_u32 s25, s25, s28
	s_addc_u32 s26, 0, s26
	s_mul_hi_u32 s29, s7, s23
	s_add_u32 s24, s25, s24
	s_mul_i32 s23, s7, s23
	s_addc_u32 s24, s26, s27
	s_addc_u32 s25, s29, 0
	s_add_u32 s23, s24, s23
	s_addc_u32 s24, 0, s25
	s_add_u32 s16, s16, s23
	s_cselect_b32 s23, -1, 0
	s_mul_hi_u32 s25, s17, s16
	s_cmp_lg_u32 s23, 0
	s_mul_i32 s23, s17, s16
	s_addc_u32 s7, s7, s24
	s_mul_i32 s22, s22, s16
	s_mul_i32 s17, s17, s7
	s_mul_hi_u32 s24, s16, s23
	s_add_i32 s17, s25, s17
	s_mul_hi_u32 s25, s7, s23
	s_add_i32 s17, s17, s22
	s_mul_i32 s22, s7, s23
	s_mul_i32 s27, s16, s17
	s_mul_hi_u32 s26, s16, s17
	s_add_u32 s24, s24, s27
	s_addc_u32 s26, 0, s26
	s_mul_hi_u32 s23, s7, s17
	s_add_u32 s22, s24, s22
	s_mul_i32 s17, s7, s17
	s_addc_u32 s22, s26, s25
	s_addc_u32 s23, s23, 0
	s_add_u32 s17, s22, s17
	s_addc_u32 s22, 0, s23
	s_add_u32 s24, s16, s17
	s_cselect_b32 s16, -1, 0
	s_cmp_lg_u32 s16, 0
	s_addc_u32 s7, s7, s22
	s_ashr_i32 s16, s5, 31
	s_add_u32 s22, s6, s16
	s_mov_b32 s17, s16
	s_addc_u32 s23, s5, s16
	s_xor_b64 s[22:23], s[22:23], s[16:17]
	s_mul_i32 s25, s22, s7
	s_mul_hi_u32 s26, s22, s24
	s_mul_hi_u32 s5, s22, s7
	;; [unrolled: 1-line block ×3, first 2 shown]
	s_mul_i32 s24, s23, s24
	s_add_u32 s25, s26, s25
	s_addc_u32 s5, 0, s5
	s_mul_hi_u32 s27, s23, s7
	s_add_u32 s24, s25, s24
	s_mul_i32 s7, s23, s7
	s_addc_u32 s5, s5, s28
	s_addc_u32 s24, s27, 0
	s_add_u32 s5, s5, s7
	s_addc_u32 s7, 0, s24
	s_mul_hi_u32 s24, s0, s5
	s_mul_i32 s25, s0, s7
	s_mul_i32 s26, s1, s5
	s_add_i32 s24, s24, s25
	s_mul_i32 s25, s0, s5
	s_add_i32 s24, s24, s26
	s_sub_i32 s26, s23, s24
	s_sub_u32 s22, s22, s25
	s_cselect_b32 s25, -1, 0
	s_cmp_lg_u32 s25, 0
	s_subb_u32 s26, s26, s1
	s_sub_u32 s27, s22, s0
	s_cselect_b32 s28, -1, 0
	s_cmp_lg_u32 s28, 0
	s_subb_u32 s26, s26, 0
	s_cmp_ge_u32 s26, s1
	s_cselect_b32 s28, -1, 0
	s_cmp_ge_u32 s27, s0
	s_cselect_b32 s27, -1, 0
	s_cmp_eq_u32 s26, s1
	s_cselect_b32 s26, s27, s28
	s_add_u32 s27, s5, 1
	s_addc_u32 s28, s7, 0
	s_add_u32 s29, s5, 2
	s_addc_u32 s30, s7, 0
	s_cmp_lg_u32 s26, 0
	s_cselect_b32 s26, s29, s27
	s_cselect_b32 s27, s30, s28
	s_cmp_lg_u32 s25, 0
	s_subb_u32 s23, s23, s24
	s_cmp_ge_u32 s23, s1
	s_cselect_b32 s24, -1, 0
	s_cmp_ge_u32 s22, s0
	s_cselect_b32 s0, -1, 0
	s_cmp_eq_u32 s23, s1
	s_cselect_b32 s0, s0, s24
	s_cmp_lg_u32 s0, 0
	s_cselect_b32 s1, s27, s7
	s_cselect_b32 s0, s26, s5
	s_xor_b64 s[16:17], s[16:17], 0
	s_mov_b32 s7, 0
	s_xor_b64 s[0:1], s[0:1], s[16:17]
	s_sub_u32 s0, s0, s16
.LBB61_11:                              ;   in Loop: Header=BB61_9 Depth=1
	s_andn2_b32 vcc_lo, exec_lo, s7
	s_cbranch_vccnz .LBB61_13
; %bb.12:                               ;   in Loop: Header=BB61_9 Depth=1
	v_readfirstlane_b32 s0, v4
	s_mul_i32 s1, s2, s0
	s_mul_hi_u32 s1, s0, s1
	s_add_i32 s0, s0, s1
	s_mul_hi_u32 s0, s6, s0
	s_mul_i32 s1, s0, s9
	s_add_i32 s5, s0, 1
	s_sub_i32 s1, s6, s1
	s_sub_i32 s6, s1, s9
	s_cmp_ge_u32 s1, s9
	s_cselect_b32 s0, s5, s0
	s_cselect_b32 s1, s6, s1
	s_add_i32 s5, s0, 1
	s_cmp_ge_u32 s1, s9
	s_cselect_b32 s0, s5, s0
.LBB61_13:                              ;   in Loop: Header=BB61_9 Depth=1
	s_cmp_lg_u32 s10, s0
	s_mov_b32 s6, -1
                                        ; implicit-def: $sgpr5
                                        ; implicit-def: $vgpr8
                                        ; implicit-def: $vgpr7
                                        ; implicit-def: $vgpr9
                                        ; implicit-def: $sgpr1
                                        ; implicit-def: $sgpr16
	s_cbranch_scc0 .LBB61_18
; %bb.14:                               ;   in Loop: Header=BB61_9 Depth=1
	s_add_i32 s1, s8, s9
	s_mov_b32 s7, s4
	s_lshl_b32 s1, s1, 4
	s_mov_b32 s16, s10
	s_add_i32 s6, s1, s15
	s_mul_hi_u32 s1, s0, s12
	s_lshl_b64 s[6:7], s[6:7], 3
	s_add_u32 s6, s18, s6
	s_addc_u32 s7, s19, s7
	s_add_i32 s1, s1, s0
	s_lshr_b32 s1, s1, s13
	s_mul_i32 s5, s1, s14
	s_cmp_eq_u32 s5, s0
	s_cselect_b32 s5, -1, 0
	s_cmp_lt_u32 s1, s11
	s_cselect_b32 s1, -1, 0
	s_or_b32 s1, s1, s5
	s_mov_b32 s5, -1
	s_and_b32 vcc_lo, exec_lo, s1
	s_mov_b32 s1, s8
	s_cbranch_vccnz .LBB61_16
; %bb.15:                               ;   in Loop: Header=BB61_9 Depth=1
	s_add_i32 s1, s8, -1
	s_mov_b32 s5, 0
	s_mov_b32 s16, s0
.LBB61_16:                              ;   in Loop: Header=BB61_9 Depth=1
	v_lshl_add_u32 v7, s8, 11, v0
	s_load_dwordx2 s[6:7], s[6:7], 0x0
	v_ashrrev_i32_e32 v8, 31, v7
	v_lshlrev_b64 v[7:8], 2, v[7:8]
	v_add_co_u32 v7, vcc_lo, s20, v7
	v_add_co_ci_u32_e64 v8, null, s21, v8, vcc_lo
	s_waitcnt lgkmcnt(0)
	v_max_f32_e64 v9, s6, s6
	global_load_dword v8, v[7:8], off
	v_max_f32_e32 v7, v6, v6
	v_max_f32_e32 v7, v7, v9
	v_sub_f32_e32 v9, s6, v7
	v_sub_f32_e32 v10, v6, v7
	v_mul_f32_e32 v11, 0x3fb8aa3b, v9
	v_mul_f32_e32 v12, 0x3fb8aa3b, v10
	v_cmp_ngt_f32_e32 vcc_lo, 0xc2ce8ed0, v9
	v_fma_f32 v13, 0x3fb8aa3b, v9, -v11
	v_rndne_f32_e32 v14, v11
	v_fma_f32 v15, 0x3fb8aa3b, v10, -v12
	v_rndne_f32_e32 v16, v12
	v_fmac_f32_e32 v13, 0x32a5705f, v9
	v_sub_f32_e32 v11, v11, v14
	v_fmac_f32_e32 v15, 0x32a5705f, v10
	v_sub_f32_e32 v12, v12, v16
	v_add_f32_e32 v11, v11, v13
	v_cvt_i32_f32_e32 v13, v14
	v_add_f32_e32 v12, v12, v15
	v_cvt_i32_f32_e32 v14, v16
	v_exp_f32_e32 v11, v11
	v_exp_f32_e32 v12, v12
	v_ldexp_f32 v11, v11, v13
	v_ldexp_f32 v12, v12, v14
	v_cndmask_b32_e32 v11, 0, v11, vcc_lo
	v_cmp_ngt_f32_e32 vcc_lo, 0xc2ce8ed0, v10
	v_cndmask_b32_e32 v12, 0, v12, vcc_lo
	v_cmp_nlt_f32_e32 vcc_lo, 0x42b17218, v9
	v_cndmask_b32_e32 v11, 0x7f800000, v11, vcc_lo
	v_cmp_nlt_f32_e32 vcc_lo, 0x42b17218, v10
	v_cndmask_b32_e32 v12, 0x7f800000, v12, vcc_lo
	v_cmp_le_f32_e32 vcc_lo, 0xc1a00000, v9
	v_cndmask_b32_e32 v9, 0, v11, vcc_lo
	v_cmp_le_f32_e32 vcc_lo, 0xc1a00000, v10
	v_cndmask_b32_e32 v10, 0, v12, vcc_lo
	s_waitcnt vmcnt(0)
	v_mul_f32_e32 v8, v8, v9
	v_mul_f32_e32 v9, s7, v9
	v_fmac_f32_e32 v8, v3, v10
	v_fmac_f32_e32 v9, v5, v10
	s_cbranch_execz .LBB61_19
.LBB61_17:                              ;   in Loop: Header=BB61_9 Depth=1
	s_andn2_b32 vcc_lo, exec_lo, s5
	s_cbranch_vccnz .LBB61_20
	s_branch .LBB61_23
.LBB61_18:                              ;   in Loop: Header=BB61_9 Depth=1
	s_andn2_b32 vcc_lo, exec_lo, s6
	s_cbranch_vccnz .LBB61_17
.LBB61_19:                              ;   in Loop: Header=BB61_9 Depth=1
	v_mov_b32_e32 v9, v5
	v_mov_b32_e32 v7, v6
	s_waitcnt vmcnt(0)
	v_mov_b32_e32 v8, v3
	s_add_i32 s1, s8, -1
	s_mov_b32 s16, s10
	s_cbranch_execz .LBB61_23
.LBB61_20:                              ;   in Loop: Header=BB61_9 Depth=1
	v_mov_b32_e32 v5, v9
	v_mov_b32_e32 v6, v7
	s_waitcnt vmcnt(0)
	v_mov_b32_e32 v3, v8
	s_mov_b32 s10, s16
	s_mov_b32 s8, s1
	s_branch .LBB61_9
.LBB61_21:
                                        ; implicit-def: $sgpr10_sgpr11
	s_load_dwordx4 s[12:15], s[4:5], 0x44
	s_branch .LBB61_2
.LBB61_22:
                                        ; implicit-def: $sgpr18_sgpr19
	s_branch .LBB61_5
.LBB61_23:
	v_div_scale_f32 v0, null, v9, v9, v8
	s_waitcnt vmcnt(0)
	v_rcp_f32_e32 v3, v0
	v_fma_f32 v4, -v0, v3, 1.0
	v_fmac_f32_e32 v3, v4, v3
	v_div_scale_f32 v4, vcc_lo, v8, v9, v8
	v_mul_f32_e32 v5, v4, v3
	v_fma_f32 v6, -v0, v5, v4
	v_fmac_f32_e32 v5, v6, v3
	v_fma_f32 v0, -v0, v5, v4
	v_div_fmas_f32 v0, v0, v3, v5
	v_div_fixup_f32 v0, v0, v9, v8
	global_store_dword v[1:2], v0, off
.LBB61_24:
	s_endpgm
	.section	.rodata,"a",@progbits
	.p2align	6, 0x0
	.amdhsa_kernel _ZL33flash_attn_stream_k_fixup_generalILi128ELi16ELi1EEvPfPK15HIP_vector_typeIfLj2EEiiiiS1_IjLj3EES5_S5_S5_
		.amdhsa_group_segment_fixed_size 0
		.amdhsa_private_segment_fixed_size 0
		.amdhsa_kernarg_size 336
		.amdhsa_user_sgpr_count 6
		.amdhsa_user_sgpr_private_segment_buffer 1
		.amdhsa_user_sgpr_dispatch_ptr 0
		.amdhsa_user_sgpr_queue_ptr 0
		.amdhsa_user_sgpr_kernarg_segment_ptr 1
		.amdhsa_user_sgpr_dispatch_id 0
		.amdhsa_user_sgpr_flat_scratch_init 0
		.amdhsa_user_sgpr_private_segment_size 0
		.amdhsa_wavefront_size32 1
		.amdhsa_uses_dynamic_stack 0
		.amdhsa_system_sgpr_private_segment_wavefront_offset 0
		.amdhsa_system_sgpr_workgroup_id_x 1
		.amdhsa_system_sgpr_workgroup_id_y 1
		.amdhsa_system_sgpr_workgroup_id_z 1
		.amdhsa_system_sgpr_workgroup_info 0
		.amdhsa_system_vgpr_workitem_id 0
		.amdhsa_next_free_vgpr 17
		.amdhsa_next_free_sgpr 31
		.amdhsa_reserve_vcc 1
		.amdhsa_reserve_flat_scratch 0
		.amdhsa_float_round_mode_32 0
		.amdhsa_float_round_mode_16_64 0
		.amdhsa_float_denorm_mode_32 3
		.amdhsa_float_denorm_mode_16_64 3
		.amdhsa_dx10_clamp 1
		.amdhsa_ieee_mode 1
		.amdhsa_fp16_overflow 0
		.amdhsa_workgroup_processor_mode 1
		.amdhsa_memory_ordered 1
		.amdhsa_forward_progress 1
		.amdhsa_shared_vgpr_count 0
		.amdhsa_exception_fp_ieee_invalid_op 0
		.amdhsa_exception_fp_denorm_src 0
		.amdhsa_exception_fp_ieee_div_zero 0
		.amdhsa_exception_fp_ieee_overflow 0
		.amdhsa_exception_fp_ieee_underflow 0
		.amdhsa_exception_fp_ieee_inexact 0
		.amdhsa_exception_int_div_zero 0
	.end_amdhsa_kernel
	.section	.text._ZL33flash_attn_stream_k_fixup_generalILi128ELi16ELi1EEvPfPK15HIP_vector_typeIfLj2EEiiiiS1_IjLj3EES5_S5_S5_,"axG",@progbits,_ZL33flash_attn_stream_k_fixup_generalILi128ELi16ELi1EEvPfPK15HIP_vector_typeIfLj2EEiiiiS1_IjLj3EES5_S5_S5_,comdat
.Lfunc_end61:
	.size	_ZL33flash_attn_stream_k_fixup_generalILi128ELi16ELi1EEvPfPK15HIP_vector_typeIfLj2EEiiiiS1_IjLj3EES5_S5_S5_, .Lfunc_end61-_ZL33flash_attn_stream_k_fixup_generalILi128ELi16ELi1EEvPfPK15HIP_vector_typeIfLj2EEiiiiS1_IjLj3EES5_S5_S5_
                                        ; -- End function
	.set _ZL33flash_attn_stream_k_fixup_generalILi128ELi16ELi1EEvPfPK15HIP_vector_typeIfLj2EEiiiiS1_IjLj3EES5_S5_S5_.num_vgpr, 17
	.set _ZL33flash_attn_stream_k_fixup_generalILi128ELi16ELi1EEvPfPK15HIP_vector_typeIfLj2EEiiiiS1_IjLj3EES5_S5_S5_.num_agpr, 0
	.set _ZL33flash_attn_stream_k_fixup_generalILi128ELi16ELi1EEvPfPK15HIP_vector_typeIfLj2EEiiiiS1_IjLj3EES5_S5_S5_.numbered_sgpr, 31
	.set _ZL33flash_attn_stream_k_fixup_generalILi128ELi16ELi1EEvPfPK15HIP_vector_typeIfLj2EEiiiiS1_IjLj3EES5_S5_S5_.num_named_barrier, 0
	.set _ZL33flash_attn_stream_k_fixup_generalILi128ELi16ELi1EEvPfPK15HIP_vector_typeIfLj2EEiiiiS1_IjLj3EES5_S5_S5_.private_seg_size, 0
	.set _ZL33flash_attn_stream_k_fixup_generalILi128ELi16ELi1EEvPfPK15HIP_vector_typeIfLj2EEiiiiS1_IjLj3EES5_S5_S5_.uses_vcc, 1
	.set _ZL33flash_attn_stream_k_fixup_generalILi128ELi16ELi1EEvPfPK15HIP_vector_typeIfLj2EEiiiiS1_IjLj3EES5_S5_S5_.uses_flat_scratch, 0
	.set _ZL33flash_attn_stream_k_fixup_generalILi128ELi16ELi1EEvPfPK15HIP_vector_typeIfLj2EEiiiiS1_IjLj3EES5_S5_S5_.has_dyn_sized_stack, 0
	.set _ZL33flash_attn_stream_k_fixup_generalILi128ELi16ELi1EEvPfPK15HIP_vector_typeIfLj2EEiiiiS1_IjLj3EES5_S5_S5_.has_recursion, 0
	.set _ZL33flash_attn_stream_k_fixup_generalILi128ELi16ELi1EEvPfPK15HIP_vector_typeIfLj2EEiiiiS1_IjLj3EES5_S5_S5_.has_indirect_call, 0
	.section	.AMDGPU.csdata,"",@progbits
; Kernel info:
; codeLenInByte = 2936
; TotalNumSgprs: 33
; NumVgprs: 17
; ScratchSize: 0
; MemoryBound: 0
; FloatMode: 240
; IeeeMode: 1
; LDSByteSize: 0 bytes/workgroup (compile time only)
; SGPRBlocks: 0
; VGPRBlocks: 2
; NumSGPRsForWavesPerEU: 33
; NumVGPRsForWavesPerEU: 17
; Occupancy: 16
; WaveLimiterHint : 0
; COMPUTE_PGM_RSRC2:SCRATCH_EN: 0
; COMPUTE_PGM_RSRC2:USER_SGPR: 6
; COMPUTE_PGM_RSRC2:TRAP_HANDLER: 0
; COMPUTE_PGM_RSRC2:TGID_X_EN: 1
; COMPUTE_PGM_RSRC2:TGID_Y_EN: 1
; COMPUTE_PGM_RSRC2:TGID_Z_EN: 1
; COMPUTE_PGM_RSRC2:TIDIG_COMP_CNT: 0
	.section	.text._ZL15flash_attn_tileILi128ELi128ELi8ELi1ELb0EEvPKcS1_S1_S1_S1_PKiPfP15HIP_vector_typeIfLj2EEffffjfiS5_IjLj3EEiiiiiiiiiiiliiliiiiil,"axG",@progbits,_ZL15flash_attn_tileILi128ELi128ELi8ELi1ELb0EEvPKcS1_S1_S1_S1_PKiPfP15HIP_vector_typeIfLj2EEffffjfiS5_IjLj3EEiiiiiiiiiiiliiliiiiil,comdat
	.globl	_ZL15flash_attn_tileILi128ELi128ELi8ELi1ELb0EEvPKcS1_S1_S1_S1_PKiPfP15HIP_vector_typeIfLj2EEffffjfiS5_IjLj3EEiiiiiiiiiiiliiliiiiil ; -- Begin function _ZL15flash_attn_tileILi128ELi128ELi8ELi1ELb0EEvPKcS1_S1_S1_S1_PKiPfP15HIP_vector_typeIfLj2EEffffjfiS5_IjLj3EEiiiiiiiiiiiliiliiiiil
	.p2align	8
	.type	_ZL15flash_attn_tileILi128ELi128ELi8ELi1ELb0EEvPKcS1_S1_S1_S1_PKiPfP15HIP_vector_typeIfLj2EEffffjfiS5_IjLj3EEiiiiiiiiiiiliiliiiiil,@function
_ZL15flash_attn_tileILi128ELi128ELi8ELi1ELb0EEvPKcS1_S1_S1_S1_PKiPfP15HIP_vector_typeIfLj2EEffffjfiS5_IjLj3EEiiiiiiiiiiiliiliiiiil: ; @_ZL15flash_attn_tileILi128ELi128ELi8ELi1ELb0EEvPKcS1_S1_S1_S1_PKiPfP15HIP_vector_typeIfLj2EEffffjfiS5_IjLj3EEiiiiiiiiiiiliiliiiiil
; %bb.0:
	s_add_u32 s6, s6, s11
	s_addc_u32 s7, s7, 0
	s_setreg_b32 hwreg(HW_REG_FLAT_SCR_LO), s6
	s_setreg_b32 hwreg(HW_REG_FLAT_SCR_HI), s7
	s_clause 0x1
	s_load_dwordx4 s[28:31], s[4:5], 0x5c
	s_load_dwordx2 s[48:49], s[4:5], 0x80
	s_add_u32 s0, s0, s11
	s_addc_u32 s1, s1, 0
	s_mov_b32 s34, s9
	s_load_dwordx2 s[50:51], s[4:5], 0xb8
	s_mov_b64 s[46:47], 0
	s_waitcnt lgkmcnt(0)
	v_cvt_f32_u32_e32 v2, s31
	s_sub_i32 s7, 0, s31
	v_rcp_iflag_f32_e32 v2, v2
	v_mul_f32_e32 v2, 0x4f7ffffe, v2
	v_cvt_u32_f32_e32 v2, v2
	v_readfirstlane_b32 s6, v2
	s_mul_i32 s7, s7, s6
	s_mul_hi_u32 s7, s6, s7
	s_add_i32 s6, s6, s7
	s_mul_hi_u32 s6, s10, s6
	s_mul_i32 s7, s6, s31
	s_add_i32 s9, s6, 1
	s_sub_i32 s7, s10, s7
	s_sub_i32 s11, s7, s31
	s_cmp_ge_u32 s7, s31
	s_cselect_b32 s6, s9, s6
	s_cselect_b32 s7, s11, s7
	s_add_i32 s9, s6, 1
	s_cmp_ge_u32 s7, s31
	s_cselect_b32 s33, s9, s6
	s_abs_i32 s6, s49
	s_abs_i32 s12, s31
	v_cvt_f32_u32_e32 v2, s6
	s_sub_i32 s9, 0, s6
	s_mul_i32 s11, s33, s31
	s_sub_i32 s44, s10, s11
	v_rcp_iflag_f32_e32 v2, v2
	v_mul_f32_e32 v2, 0x4f7ffffe, v2
	v_cvt_u32_f32_e32 v2, v2
	v_readfirstlane_b32 s7, v2
	s_mul_i32 s9, s9, s7
	s_mul_hi_u32 s9, s7, s9
	s_add_i32 s7, s7, s9
	s_xor_b32 s9, s31, s49
	s_mul_hi_u32 s7, s12, s7
	s_ashr_i32 s9, s9, 31
	s_mul_i32 s10, s7, s6
	s_add_i32 s11, s7, 1
	s_sub_i32 s10, s12, s10
	s_sub_i32 s12, s10, s6
	s_cmp_ge_u32 s10, s6
	s_cselect_b32 s7, s11, s7
	s_cselect_b32 s10, s12, s10
	s_add_i32 s11, s7, 1
	s_cmp_ge_u32 s10, s6
	s_load_dwordx16 s[12:27], s[4:5], 0x0
	s_cselect_b32 s6, s11, s7
	s_abs_i32 s49, s44
	s_xor_b32 s6, s6, s9
	s_sub_i32 s10, s6, s9
	s_abs_i32 s35, s10
	v_cvt_f32_u32_e32 v2, s35
	s_sub_i32 s7, 0, s35
	v_rcp_iflag_f32_e32 v2, v2
	v_mul_f32_e32 v2, 0x4f7ffffe, v2
	v_cvt_u32_f32_e32 v2, v2
	v_readfirstlane_b32 s6, v2
	s_mul_i32 s7, s7, s6
	s_mul_hi_u32 s7, s6, s7
	s_add_i32 s6, s6, s7
	s_waitcnt lgkmcnt(0)
	s_cmp_eq_u64 s[18:19], 0
	s_cbranch_scc1 .LBB62_2
; %bb.1:
	s_abs_i32 s7, s50
	s_abs_i32 s38, s33
	v_cvt_f32_u32_e32 v2, s7
	s_sub_i32 s11, 0, s7
	s_load_dwordx2 s[36:37], s[4:5], 0xc8
	v_rcp_iflag_f32_e32 v2, v2
	v_mul_f32_e32 v2, 0x4f7ffffe, v2
	v_cvt_u32_f32_e32 v2, v2
	v_readfirstlane_b32 s9, v2
	s_mul_i32 s11, s11, s9
	s_mul_hi_u32 s11, s9, s11
	s_add_i32 s9, s9, s11
	s_ashr_i32 s11, s33, 31
	s_mul_hi_u32 s9, s38, s9
	s_mul_i32 s9, s9, s7
	s_sub_i32 s9, s38, s9
	s_sub_i32 s38, s9, s7
	s_cmp_ge_u32 s9, s7
	s_cselect_b32 s9, s38, s9
	s_sub_i32 s38, s9, s7
	s_cmp_ge_u32 s9, s7
	s_cselect_b32 s7, s38, s9
	s_xor_b32 s7, s7, s11
	s_sub_i32 s7, s7, s11
	s_ashr_i32 s9, s7, 31
	s_waitcnt lgkmcnt(0)
	s_mul_hi_u32 s11, s36, s7
	s_mul_i32 s9, s36, s9
	s_add_i32 s9, s11, s9
	s_mul_i32 s11, s37, s7
	s_mul_i32 s7, s36, s7
	s_add_i32 s9, s9, s11
	s_add_u32 s46, s18, s7
	s_addc_u32 s47, s19, s9
.LBB62_2:
	s_clause 0x1
	s_load_dwordx4 s[36:39], s[4:5], 0x40
	s_load_dword s7, s[4:5], 0x50
	v_mov_b32_e32 v79, 1.0
	s_waitcnt lgkmcnt(0)
	v_cmp_le_f32_e64 s9, s37, 0
	s_mul_hi_u32 s37, s49, s6
	s_and_b32 vcc_lo, exec_lo, s9
	s_cbranch_vccnz .LBB62_4
; %bb.3:
	v_sub_co_u32 v3, vcc_lo, s44, s7
	v_mov_b32_e32 v2, s38
	s_add_i32 s6, s44, 1
	v_lshlrev_b32_e32 v3, 1, v3
	v_cndmask_b32_e32 v2, s39, v2, vcc_lo
	v_or_b32_e32 v3, 1, v3
	v_cndmask_b32_e64 v3, v3, s6, vcc_lo
	v_cmp_neq_f32_e32 vcc_lo, 1.0, v2
	s_mov_b32 s6, 0x3e76c4e1
	v_cvt_f32_i32_e32 v3, v3
	v_cndmask_b32_e32 v4, 1.0, v3, vcc_lo
	v_cmp_neq_f32_e32 vcc_lo, 0, v4
	v_cndmask_b32_e32 v5, 1.0, v2, vcc_lo
	v_frexp_mant_f32_e64 v2, |v5|
	v_cmp_eq_f32_e64 s9, 0, v5
	v_cmp_gt_f32_e32 vcc_lo, 0x3f2aaaab, v2
	v_cndmask_b32_e64 v3, 1.0, 2.0, vcc_lo
	v_mul_f32_e32 v2, v2, v3
	v_add_f32_e32 v3, 1.0, v2
	v_add_f32_e32 v7, -1.0, v2
	v_rcp_f32_e32 v6, v3
	v_add_f32_e32 v9, -1.0, v3
	v_sub_f32_e32 v2, v2, v9
	v_mul_f32_e32 v8, v7, v6
	v_mul_f32_e32 v10, v3, v8
	v_fma_f32 v3, v8, v3, -v10
	v_fmac_f32_e32 v3, v8, v2
	v_add_f32_e32 v2, v10, v3
	v_sub_f32_e32 v9, v7, v2
	v_sub_f32_e32 v10, v2, v10
	;; [unrolled: 1-line block ×5, first 2 shown]
	v_add_f32_e32 v2, v3, v2
	v_add_f32_e32 v2, v9, v2
	v_mul_f32_e32 v2, v6, v2
	v_add_f32_e32 v6, v8, v2
	v_sub_f32_e32 v3, v6, v8
	v_mul_f32_e32 v7, v6, v6
	v_sub_f32_e32 v8, v2, v3
	v_fma_f32 v2, v6, v6, -v7
	v_add_f32_e32 v3, v8, v8
	v_fmac_f32_e32 v2, v6, v3
	v_add_f32_e32 v9, v7, v2
	v_fmaak_f32 v3, s6, v9, 0x3e91f4c4
	v_sub_f32_e32 v7, v9, v7
	v_mul_f32_e32 v14, v6, v9
	v_fmaak_f32 v3, v9, v3, 0x3ecccdef
	v_sub_f32_e32 v7, v2, v7
	v_fma_f32 v15, v9, v6, -v14
	v_mul_f32_e32 v10, v9, v3
	v_fmac_f32_e32 v15, v9, v8
	v_ldexp_f32 v8, v8, 1
	v_fma_f32 v11, v9, v3, -v10
	v_fmac_f32_e32 v15, v7, v6
	v_fmac_f32_e32 v11, v7, v3
	v_cvt_f64_f32_e64 v[2:3], |v5|
	v_add_f32_e32 v12, v10, v11
	v_sub_f32_e32 v10, v12, v10
	v_add_f32_e32 v13, 0x3f2aaaaa, v12
	v_sub_f32_e32 v10, v11, v10
	v_add_f32_e32 v11, 0xbf2aaaaa, v13
	v_add_f32_e32 v10, 0x31739010, v10
	v_sub_f32_e32 v11, v12, v11
	v_frexp_exp_i32_f64_e32 v2, v[2:3]
	v_add_f32_e32 v9, v10, v11
	v_add_f32_e32 v10, v14, v15
	;; [unrolled: 1-line block ×3, first 2 shown]
	v_sub_f32_e32 v12, v10, v14
	v_sub_f32_e32 v3, v13, v7
	v_mul_f32_e32 v11, v10, v7
	v_sub_f32_e32 v12, v15, v12
	v_add_f32_e32 v3, v9, v3
	v_fma_f32 v9, v10, v7, -v11
	v_subrev_co_ci_u32_e64 v2, null, 0, v2, vcc_lo
	v_fmac_f32_e32 v9, v10, v3
	v_ldexp_f32 v3, v6, 1
	v_cvt_f32_i32_e32 v2, v2
	v_fmac_f32_e32 v9, v12, v7
	v_add_f32_e32 v6, v11, v9
	v_add_f32_e32 v7, v3, v6
	v_sub_f32_e32 v10, v6, v11
	v_mul_f32_e32 v11, 0x3f317218, v2
	v_sub_f32_e32 v3, v7, v3
	v_sub_f32_e32 v9, v9, v10
	v_fma_f32 v10, 0x3f317218, v2, -v11
	v_sub_f32_e32 v3, v6, v3
	v_add_f32_e32 v6, v8, v9
	v_fmamk_f32 v2, v2, 0xb102e308, v10
	v_add_f32_e32 v3, v6, v3
	v_add_f32_e32 v6, v11, v2
	;; [unrolled: 1-line block ×3, first 2 shown]
	v_sub_f32_e32 v11, v6, v11
	v_add_f32_e32 v9, v6, v8
	v_sub_f32_e32 v7, v8, v7
	v_sub_f32_e32 v2, v2, v11
	;; [unrolled: 1-line block ×6, first 2 shown]
	v_add_f32_e32 v8, v2, v3
	v_sub_f32_e32 v6, v6, v12
	v_add_f32_e32 v6, v7, v6
	v_sub_f32_e32 v7, v8, v2
	;; [unrolled: 2-line block ×3, first 2 shown]
	v_sub_f32_e32 v3, v3, v7
	v_add_f32_e32 v10, v9, v6
	v_sub_f32_e32 v2, v2, v8
	v_sub_f32_e32 v7, v10, v9
	v_add_f32_e32 v2, v3, v2
	v_sub_f32_e32 v3, v6, v7
	v_add_f32_e32 v2, v2, v3
	v_add_f32_e32 v3, v10, v2
	v_sub_f32_e32 v6, v3, v10
	v_mul_f32_e32 v7, v4, v3
	v_sub_f32_e32 v2, v2, v6
	v_fma_f32 v3, v4, v3, -v7
	v_cmp_class_f32_e64 vcc_lo, v7, 0x204
	v_fmac_f32_e32 v3, v4, v2
	v_add_f32_e32 v2, v7, v3
	v_cndmask_b32_e32 v6, v2, v7, vcc_lo
	v_sub_f32_e32 v2, v2, v7
	v_cmp_eq_f32_e32 vcc_lo, 0x42b17218, v6
	v_sub_f32_e32 v2, v3, v2
	v_cndmask_b32_e64 v8, 0, 0x37000000, vcc_lo
	v_cmp_neq_f32_e64 vcc_lo, 0x7f800000, |v6|
	v_sub_f32_e32 v9, v6, v8
	v_cndmask_b32_e32 v2, 0, v2, vcc_lo
	v_trunc_f32_e32 v6, v4
	v_mul_f32_e32 v10, 0x3fb8aa3b, v9
	v_cmp_ngt_f32_e32 vcc_lo, 0xc2ce8ed0, v9
	v_add_f32_e32 v2, v8, v2
	v_fma_f32 v11, 0x3fb8aa3b, v9, -v10
	v_rndne_f32_e32 v12, v10
	v_fmamk_f32 v11, v9, 0x32a5705f, v11
	v_sub_f32_e32 v10, v10, v12
	v_cvt_i32_f32_e32 v7, v12
	v_add_f32_e32 v10, v10, v11
	v_exp_f32_e32 v10, v10
	v_ldexp_f32 v3, v10, v7
	v_mul_f32_e32 v7, 0.5, v4
	v_cndmask_b32_e32 v3, 0, v3, vcc_lo
	v_cmp_nlt_f32_e32 vcc_lo, 0x42b17218, v9
	v_trunc_f32_e32 v10, v7
	v_cndmask_b32_e32 v3, 0x7f800000, v3, vcc_lo
	v_cmp_eq_f32_e32 vcc_lo, v6, v4
	v_cmp_neq_f32_e64 s6, v10, v7
	v_fma_f32 v2, v3, v2, v3
	v_cmp_class_f32_e64 s7, v3, 0x204
	s_and_b32 s6, vcc_lo, s6
	v_cndmask_b32_e64 v6, 1.0, v5, s6
	v_cndmask_b32_e64 v2, v2, v3, s7
	v_cmp_gt_f32_e64 s7, 0, v4
	v_bfi_b32 v2, 0x7fffffff, v2, v6
	s_xor_b32 s7, s7, s9
	v_cndmask_b32_e64 v6, 0, v5, s6
	v_cndmask_b32_e64 v3, 0x7f800000, 0, s7
	v_cmp_class_f32_e64 s6, v5, 0x204
	v_cndmask_b32_e32 v4, 0x7fc00000, v2, vcc_lo
	v_cmp_gt_f32_e32 vcc_lo, 0, v5
	v_bfi_b32 v3, 0x7fffffff, v3, v6
	v_cndmask_b32_e32 v2, v2, v4, vcc_lo
	s_or_b32 vcc_lo, s9, s6
	v_cndmask_b32_e32 v2, v2, v3, vcc_lo
	v_cmp_o_f32_e32 vcc_lo, v5, v5
	v_cndmask_b32_e32 v79, 0x7fc00000, v2, vcc_lo
.LBB62_4:
	v_lshlrev_b32_e32 v85, 1, v1
	s_lshl_b32 s18, s8, 3
	s_load_dwordx4 s[40:43], s[4:5], 0x70
	s_ashr_i32 s45, s44, 31
	s_ashr_i32 s38, s10, 31
	v_or_b32_e32 v52, 1, v85
	v_add_nc_u32_e32 v84, s18, v85
	v_lshlrev_b32_e32 v74, 3, v0
	v_lshlrev_b32_e32 v82, 9, v1
	v_mov_b32_e32 v75, 0
	v_add_nc_u32_e32 v53, s18, v52
	v_mul_hi_u32 v2, v84, s28
	v_or_b32_e32 v10, 0x2400, v74
	v_mul_hi_u32 v3, v53, s28
	v_add_nc_u32_e32 v11, v10, v82
	v_add_nc_u32_e32 v2, v84, v2
	s_waitcnt lgkmcnt(0)
	s_mul_i32 s6, s33, s42
	v_add_nc_u32_e32 v3, v53, v3
	v_lshrrev_b32_e32 v2, s29, v2
	s_mul_i32 s7, s44, s41
	s_ashr_i32 s9, s6, 31
	s_add_u32 s6, s12, s6
	v_lshrrev_b32_e32 v3, s29, v3
	v_mul_lo_u32 v2, v2, s30
	s_addc_u32 s9, s13, s9
	s_ashr_i32 s10, s7, 31
	s_add_u32 s11, s6, s7
	v_mul_lo_u32 v4, v3, s30
	s_addc_u32 s9, s9, s10
	s_ashr_i32 s41, s40, 31
	v_sub_nc_u32_e32 v81, v84, v2
	s_lshr_b64 s[6:7], s[40:41], 2
	s_mov_b32 s7, 0
	v_sub_nc_u32_e32 v8, v53, v4
	v_mad_u64_u32 v[2:3], null, s6, v81, 0
	v_mad_u64_u32 v[4:5], null, s6, v8, 0
	s_lshr_b32 s6, s41, 2
	s_cmp_eq_u64 s[22:23], 0
	v_mad_u64_u32 v[6:7], null, s6, v81, v[3:4]
	v_lshlrev_b32_e32 v7, 4, v0
	v_mov_b32_e32 v3, v6
	v_mad_u64_u32 v[5:6], null, s6, v8, v[5:6]
	v_add_co_u32 v8, s6, s11, v7
	v_lshlrev_b64 v[2:3], 2, v[2:3]
	v_add_co_ci_u32_e64 v9, null, s9, 0, s6
	v_lshlrev_b64 v[6:7], 2, v[4:5]
	v_add_co_u32 v2, vcc_lo, v8, v2
	v_add_co_ci_u32_e64 v3, null, v9, v3, vcc_lo
	v_add_co_u32 v6, vcc_lo, v8, v6
	v_add_co_ci_u32_e64 v7, null, v9, v7, vcc_lo
	s_clause 0x1
	global_load_dwordx4 v[2:5], v[2:3], off
	global_load_dwordx4 v[6:9], v[6:7], off
	s_waitcnt vmcnt(1)
	v_fma_mixlo_f16 v3, s36, v3, 0
	v_fma_mixlo_f16 v2, s36, v2, 0
	;; [unrolled: 1-line block ×3, first 2 shown]
	s_waitcnt vmcnt(0)
	v_fma_mixlo_f16 v7, s36, v7, 0
	v_fma_mixlo_f16 v6, s36, v6, 0
	;; [unrolled: 1-line block ×3, first 2 shown]
	v_lshlrev_b32_e32 v3, 16, v3
	v_and_b32_e32 v2, 0xffff, v2
	v_fma_mixlo_f16 v8, s36, v8, 0
	v_fma_mixlo_f16 v9, s36, v9, 0
	v_lshlrev_b32_e32 v7, 16, v7
	v_and_b32_e32 v6, 0xffff, v6
	v_lshlrev_b32_e32 v5, 16, v5
	v_and_b32_e32 v4, 0xffff, v4
	v_or_b32_e32 v2, v3, v2
	v_lshlrev_b32_e32 v9, 16, v9
	v_and_b32_e32 v8, 0xffff, v8
	v_or_b32_e32 v6, v7, v6
	v_or3_b32 v3, v5, v4, 0
	v_or3_b32 v2, 0, 0, v2
	v_lshl_add_u32 v7, v52, 8, v10
	v_or3_b32 v5, v9, v8, 0
	v_or3_b32 v4, 0, 0, v6
	ds_write_b64 v11, v[2:3]
	ds_write_b64 v7, v[4:5]
	s_waitcnt lgkmcnt(0)
	s_barrier
	buffer_gl0_inv
	s_cbranch_scc1 .LBB62_6
; %bb.5:
	s_load_dword s6, s[4:5], 0xd0
	s_waitcnt lgkmcnt(0)
	s_mul_i32 s6, s6, s33
	s_add_i32 s6, s6, s8
	s_lshl_b64 s[6:7], s[6:7], 2
	s_add_u32 s6, s22, s6
	s_addc_u32 s7, s23, s7
	s_load_dword s48, s[6:7], 0x0
.LBB62_6:
	s_clause 0x1
	s_load_dwordx2 s[6:7], s[4:5], 0x8c
	s_load_dwordx4 s[8:11], s[4:5], 0x98
	s_ashr_i32 s36, s33, 31
	s_load_dwordx2 s[12:13], s[4:5], 0xa8
	s_ashr_i32 s22, s51, 1
	s_mul_i32 s39, s37, s35
	v_lshlrev_b32_e32 v72, 2, v0
	v_lshrrev_b32_e32 v3, 3, v0
	v_mul_u32_u24_e32 v83, 0x90, v0
	v_or_b32_e32 v40, 1, v84
	v_lshrrev_b32_e32 v39, 4, v0
	v_and_b32_e32 v19, 28, v72
	v_and_b32_e32 v38, 60, v72
	v_mbcnt_lo_u32_b32 v73, -1, 0
	s_waitcnt lgkmcnt(0)
	s_ashr_i32 s23, s6, 2
	s_ashr_i32 s19, s10, 2
	s_mul_hi_u32 s6, s8, s33
	s_mul_i32 s10, s8, s36
	s_mul_i32 s9, s9, s33
	s_add_i32 s6, s6, s10
	s_mul_i32 s8, s8, s33
	s_add_i32 s6, s6, s9
	s_add_u32 s8, s14, s8
	s_addc_u32 s6, s15, s6
	s_sub_i32 s10, s49, s39
	s_xor_b32 s9, s45, s38
	s_add_i32 s14, s37, 1
	s_sub_i32 s15, s10, s35
	s_cmp_ge_u32 s10, s35
	s_mul_i32 s36, s12, s36
	s_cselect_b32 s14, s14, s37
	s_cselect_b32 s10, s15, s10
	s_add_i32 s15, s14, 1
	s_cmp_ge_u32 s10, s35
	s_cselect_b32 s10, s15, s14
	s_mul_hi_u32 s14, s12, s33
	s_xor_b32 s10, s10, s9
	s_mul_i32 s12, s12, s33
	s_sub_i32 s9, s10, s9
	s_mul_i32 s10, s13, s33
	s_mul_i32 s7, s9, s7
	;; [unrolled: 1-line block ×3, first 2 shown]
	s_ashr_i32 s13, s7, 31
	s_add_u32 s15, s8, s7
	s_addc_u32 s35, s6, s13
	s_add_i32 s6, s14, s36
	s_add_i32 s6, s6, s10
	s_add_u32 s7, s16, s12
	s_addc_u32 s6, s17, s6
	s_ashr_i32 s8, s9, 31
	s_add_u32 s14, s7, s9
	s_addc_u32 s11, s6, s8
	s_lshl_b32 s10, s34, 6
	s_sub_i32 s12, s48, 64
	s_cmp_ge_i32 s10, s12
	s_cbranch_scc1 .LBB62_19
; %bb.7:
	v_mul_hi_u32 v4, s28, v40
	v_lshl_add_u32 v3, v1, 2, v3
	v_lshlrev_b32_e32 v5, 2, v19
	v_add_nc_u32_e32 v7, v39, v85
	s_lshl_b32 s6, s23, 4
	s_cmp_lg_u64 s[46:47], 0
	v_mul_lo_u32 v2, s23, v3
	v_mad_u32_u24 v87, 0x90, v3, v5
	v_add_nc_u32_e32 v6, v40, v4
	s_cselect_b32 s13, -1, 0
	s_lshl_b32 s7, s19, 3
	v_lshlrev_b32_e32 v13, 2, v38
	v_mul_lo_u32 v91, v81, s22
	v_lshrrev_b32_e32 v3, s29, v6
	v_mul_lo_u32 v6, s19, v7
	v_add_nc_u32_e32 v4, s6, v2
	v_lshl_or_b32 v92, v7, 8, v13
	buffer_store_dword v53, off, s[0:3], 0 offset:16 ; 4-byte Folded Spill
	v_mul_lo_u32 v11, v3, s30
	v_ashrrev_i32_e32 v3, 31, v2
	v_add_nc_u32_e32 v8, s6, v4
	v_ashrrev_i32_e32 v5, 31, v4
	v_add_nc_u32_e32 v12, s7, v6
	v_ashrrev_i32_e32 v7, 31, v6
	v_lshlrev_b64 v[52:53], 2, v[2:3]
	v_add_nc_u32_e32 v10, s6, v8
	v_sub_nc_u32_e32 v15, v40, v11
	v_add_nc_u32_e32 v14, s7, v12
	v_ashrrev_i32_e32 v9, 31, v8
	v_ashrrev_i32_e32 v13, 31, v12
	;; [unrolled: 1-line block ×3, first 2 shown]
	v_mul_lo_u32 v93, v15, s22
	v_add_nc_u32_e32 v16, s7, v14
	v_ashrrev_i32_e32 v15, 31, v14
	v_lshlrev_b64 v[54:55], 2, v[4:5]
	v_lshlrev_b64 v[56:57], 2, v[8:9]
	;; [unrolled: 1-line block ×3, first 2 shown]
	v_ashrrev_i32_e32 v17, 31, v16
	v_lshlrev_b64 v[60:61], 2, v[6:7]
	v_lshlrev_b64 v[62:63], 2, v[12:13]
	;; [unrolled: 1-line block ×3, first 2 shown]
	v_mov_b32_e32 v24, 0
	v_lshlrev_b64 v[66:67], 2, v[16:17]
	v_add_nc_u32_e32 v86, 0x2400, v82
	v_add_nc_u32_e32 v88, 0x900, v87
	;; [unrolled: 1-line block ×4, first 2 shown]
	v_lshl_add_u32 v94, v1, 8, 0x2c00
	v_add_nc_u32_e32 v95, 0x800, v92
	v_add_nc_u32_e32 v96, 0x1000, v92
	;; [unrolled: 1-line block ×3, first 2 shown]
	v_mov_b32_e32 v18, 0xfeffffff
	v_lshlrev_b32_e32 v98, 2, v19
	v_lshlrev_b32_e32 v99, 2, v38
	v_mbcnt_lo_u32_b32 v100, -1, 0
	v_mov_b32_e32 v101, 0x10001
	v_mov_b32_e32 v22, 0
	;; [unrolled: 1-line block ×7, first 2 shown]
	s_add_u32 s6, s4, 0xd0
	s_addc_u32 s7, s5, 0
.LBB62_8:                               ; =>This Inner Loop Header: Depth=1
	s_mul_hi_i32 s9, s10, s23
	s_mul_i32 s8, s10, s23
	v_mov_b32_e32 v19, 0
	s_lshl_b64 s[8:9], s[8:9], 2
	v_mov_b32_e32 v20, 0
	s_add_u32 s8, s15, s8
	s_addc_u32 s9, s35, s9
	v_add_co_u32 v2, vcc_lo, s8, v52
	v_add_co_ci_u32_e64 v3, null, s9, v53, vcc_lo
	v_add_co_u32 v4, vcc_lo, s8, v54
	v_add_co_ci_u32_e64 v5, null, s9, v55, vcc_lo
	;; [unrolled: 2-line block ×8, first 2 shown]
	s_clause 0x3
	global_load_dwordx4 v[10:13], v[2:3], off
	global_load_dwordx4 v[14:17], v[4:5], off
	;; [unrolled: 1-line block ×4, first 2 shown]
	s_andn2_b32 vcc_lo, exec_lo, s13
	s_waitcnt vmcnt(3)
	ds_write_b128 v87, v[10:13]
	s_waitcnt vmcnt(2)
	ds_write_b128 v88, v[14:17]
	;; [unrolled: 2-line block ×4, first 2 shown]
	s_waitcnt lgkmcnt(0)
	s_waitcnt_vscnt null, 0x0
	s_barrier
	buffer_gl0_inv
	ds_read_b128 v[12:15], v83
	ds_read_b128 v[29:32], v86
	ds_read_b128 v[33:36], v86 offset:256
	ds_read_b128 v[37:40], v83 offset:4608
	v_mov_b32_e32 v10, 0
	s_waitcnt lgkmcnt(2)
	;;#ASMSTART
	v_dot2_f32_f16 v10, v12, v29, v10
	;;#ASMEND
	;;#ASMSTART
	v_dot2_f32_f16 v10, v13, v30, v10
	;;#ASMEND
	;;#ASMSTART
	v_dot2_f32_f16 v10, v14, v31, v10
	;;#ASMEND
	;;#ASMSTART
	v_dot2_f32_f16 v10, v15, v32, v10
	;;#ASMEND
	s_waitcnt lgkmcnt(1)
	;;#ASMSTART
	v_dot2_f32_f16 v19, v12, v33, v19
	;;#ASMEND
	;;#ASMSTART
	v_dot2_f32_f16 v19, v13, v34, v19
	;;#ASMEND
	v_mov_b32_e32 v11, 0
	;;#ASMSTART
	v_dot2_f32_f16 v19, v14, v35, v19
	;;#ASMEND
	;;#ASMSTART
	v_dot2_f32_f16 v19, v15, v36, v19
	;;#ASMEND
	s_waitcnt lgkmcnt(0)
	;;#ASMSTART
	v_dot2_f32_f16 v11, v37, v29, v11
	;;#ASMEND
	;;#ASMSTART
	v_dot2_f32_f16 v11, v38, v30, v11
	;;#ASMEND
	;;#ASMSTART
	v_dot2_f32_f16 v11, v39, v31, v11
	;;#ASMEND
	;;#ASMSTART
	v_dot2_f32_f16 v11, v40, v32, v11
	;;#ASMEND
	;;#ASMSTART
	v_dot2_f32_f16 v20, v37, v33, v20
	;;#ASMEND
	;;#ASMSTART
	v_dot2_f32_f16 v20, v38, v34, v20
	;;#ASMEND
	;;#ASMSTART
	v_dot2_f32_f16 v20, v39, v35, v20
	;;#ASMEND
	;;#ASMSTART
	v_dot2_f32_f16 v20, v40, v36, v20
	;;#ASMEND
	ds_read_b128 v[12:15], v83 offset:16
	ds_read_b128 v[29:32], v86 offset:16
	ds_read_b128 v[33:36], v86 offset:272
	ds_read_b128 v[37:40], v83 offset:4624
	s_waitcnt lgkmcnt(2)
	;;#ASMSTART
	v_dot2_f32_f16 v10, v12, v29, v10
	;;#ASMEND
	;;#ASMSTART
	v_dot2_f32_f16 v10, v13, v30, v10
	;;#ASMEND
	;;#ASMSTART
	v_dot2_f32_f16 v10, v14, v31, v10
	;;#ASMEND
	;;#ASMSTART
	v_dot2_f32_f16 v10, v15, v32, v10
	;;#ASMEND
	s_waitcnt lgkmcnt(1)
	;;#ASMSTART
	v_dot2_f32_f16 v19, v12, v33, v19
	;;#ASMEND
	;;#ASMSTART
	v_dot2_f32_f16 v19, v13, v34, v19
	;;#ASMEND
	;;#ASMSTART
	v_dot2_f32_f16 v19, v14, v35, v19
	;;#ASMEND
	;;#ASMSTART
	v_dot2_f32_f16 v19, v15, v36, v19
	;;#ASMEND
	s_waitcnt lgkmcnt(0)
	;;#ASMSTART
	v_dot2_f32_f16 v11, v37, v29, v11
	;;#ASMEND
	;;#ASMSTART
	v_dot2_f32_f16 v11, v38, v30, v11
	;;#ASMEND
	;;#ASMSTART
	v_dot2_f32_f16 v11, v39, v31, v11
	;;#ASMEND
	;;#ASMSTART
	v_dot2_f32_f16 v11, v40, v32, v11
	;;#ASMEND
	;;#ASMSTART
	v_dot2_f32_f16 v20, v37, v33, v20
	;;#ASMEND
	;;#ASMSTART
	v_dot2_f32_f16 v20, v38, v34, v20
	;;#ASMEND
	;;#ASMSTART
	v_dot2_f32_f16 v20, v39, v35, v20
	;;#ASMEND
	;;#ASMSTART
	v_dot2_f32_f16 v20, v40, v36, v20
	;;#ASMEND
	ds_read_b128 v[12:15], v83 offset:32
	ds_read_b128 v[29:32], v86 offset:32
	ds_read_b128 v[33:36], v86 offset:288
	ds_read_b128 v[37:40], v83 offset:4640
	s_waitcnt lgkmcnt(2)
	;;#ASMSTART
	v_dot2_f32_f16 v10, v12, v29, v10
	;;#ASMEND
	;;#ASMSTART
	v_dot2_f32_f16 v10, v13, v30, v10
	;;#ASMEND
	;;#ASMSTART
	v_dot2_f32_f16 v10, v14, v31, v10
	;;#ASMEND
	;;#ASMSTART
	v_dot2_f32_f16 v10, v15, v32, v10
	;;#ASMEND
	s_waitcnt lgkmcnt(1)
	;;#ASMSTART
	v_dot2_f32_f16 v19, v12, v33, v19
	;;#ASMEND
	;;#ASMSTART
	v_dot2_f32_f16 v19, v13, v34, v19
	;;#ASMEND
	;;#ASMSTART
	v_dot2_f32_f16 v19, v14, v35, v19
	;;#ASMEND
	;;#ASMSTART
	v_dot2_f32_f16 v19, v15, v36, v19
	;;#ASMEND
	s_waitcnt lgkmcnt(0)
	;;#ASMSTART
	v_dot2_f32_f16 v11, v37, v29, v11
	;;#ASMEND
	;;#ASMSTART
	v_dot2_f32_f16 v11, v38, v30, v11
	;;#ASMEND
	;;#ASMSTART
	v_dot2_f32_f16 v11, v39, v31, v11
	;;#ASMEND
	;;#ASMSTART
	v_dot2_f32_f16 v11, v40, v32, v11
	;;#ASMEND
	;;#ASMSTART
	v_dot2_f32_f16 v20, v37, v33, v20
	;;#ASMEND
	;;#ASMSTART
	v_dot2_f32_f16 v20, v38, v34, v20
	;;#ASMEND
	;;#ASMSTART
	v_dot2_f32_f16 v20, v39, v35, v20
	;;#ASMEND
	;;#ASMSTART
	v_dot2_f32_f16 v20, v40, v36, v20
	;;#ASMEND
	ds_read_b128 v[12:15], v83 offset:48
	ds_read_b128 v[29:32], v86 offset:48
	ds_read_b128 v[33:36], v86 offset:304
	ds_read_b128 v[37:40], v83 offset:4656
	s_waitcnt lgkmcnt(2)
	;;#ASMSTART
	v_dot2_f32_f16 v10, v12, v29, v10
	;;#ASMEND
	;;#ASMSTART
	v_dot2_f32_f16 v10, v13, v30, v10
	;;#ASMEND
	;;#ASMSTART
	v_dot2_f32_f16 v10, v14, v31, v10
	;;#ASMEND
	;;#ASMSTART
	v_dot2_f32_f16 v10, v15, v32, v10
	;;#ASMEND
	s_waitcnt lgkmcnt(1)
	;;#ASMSTART
	v_dot2_f32_f16 v19, v12, v33, v19
	;;#ASMEND
	;;#ASMSTART
	v_dot2_f32_f16 v19, v13, v34, v19
	;;#ASMEND
	;;#ASMSTART
	v_dot2_f32_f16 v19, v14, v35, v19
	;;#ASMEND
	;;#ASMSTART
	v_dot2_f32_f16 v19, v15, v36, v19
	;;#ASMEND
	s_waitcnt lgkmcnt(0)
	;;#ASMSTART
	v_dot2_f32_f16 v11, v37, v29, v11
	;;#ASMEND
	;;#ASMSTART
	v_dot2_f32_f16 v11, v38, v30, v11
	;;#ASMEND
	;;#ASMSTART
	v_dot2_f32_f16 v11, v39, v31, v11
	;;#ASMEND
	;;#ASMSTART
	v_dot2_f32_f16 v11, v40, v32, v11
	;;#ASMEND
	;;#ASMSTART
	v_dot2_f32_f16 v20, v37, v33, v20
	;;#ASMEND
	;;#ASMSTART
	v_dot2_f32_f16 v20, v38, v34, v20
	;;#ASMEND
	;;#ASMSTART
	v_dot2_f32_f16 v20, v39, v35, v20
	;;#ASMEND
	;;#ASMSTART
	v_dot2_f32_f16 v20, v40, v36, v20
	;;#ASMEND
	ds_read_b128 v[12:15], v83 offset:64
	ds_read_b128 v[29:32], v86 offset:64
	ds_read_b128 v[33:36], v86 offset:320
	ds_read_b128 v[37:40], v83 offset:4672
	s_waitcnt lgkmcnt(2)
	;;#ASMSTART
	v_dot2_f32_f16 v10, v12, v29, v10
	;;#ASMEND
	;;#ASMSTART
	v_dot2_f32_f16 v10, v13, v30, v10
	;;#ASMEND
	;;#ASMSTART
	v_dot2_f32_f16 v10, v14, v31, v10
	;;#ASMEND
	;;#ASMSTART
	v_dot2_f32_f16 v10, v15, v32, v10
	;;#ASMEND
	s_waitcnt lgkmcnt(1)
	;;#ASMSTART
	v_dot2_f32_f16 v19, v12, v33, v19
	;;#ASMEND
	;;#ASMSTART
	v_dot2_f32_f16 v19, v13, v34, v19
	;;#ASMEND
	;;#ASMSTART
	v_dot2_f32_f16 v19, v14, v35, v19
	;;#ASMEND
	;;#ASMSTART
	v_dot2_f32_f16 v19, v15, v36, v19
	;;#ASMEND
	s_waitcnt lgkmcnt(0)
	;;#ASMSTART
	v_dot2_f32_f16 v11, v37, v29, v11
	;;#ASMEND
	;;#ASMSTART
	v_dot2_f32_f16 v11, v38, v30, v11
	;;#ASMEND
	;;#ASMSTART
	v_dot2_f32_f16 v11, v39, v31, v11
	;;#ASMEND
	;;#ASMSTART
	v_dot2_f32_f16 v11, v40, v32, v11
	;;#ASMEND
	;;#ASMSTART
	v_dot2_f32_f16 v20, v37, v33, v20
	;;#ASMEND
	;;#ASMSTART
	v_dot2_f32_f16 v20, v38, v34, v20
	;;#ASMEND
	;;#ASMSTART
	v_dot2_f32_f16 v20, v39, v35, v20
	;;#ASMEND
	;;#ASMSTART
	v_dot2_f32_f16 v20, v40, v36, v20
	;;#ASMEND
	ds_read_b128 v[12:15], v83 offset:80
	ds_read_b128 v[29:32], v86 offset:80
	ds_read_b128 v[33:36], v86 offset:336
	ds_read_b128 v[37:40], v83 offset:4688
	s_waitcnt lgkmcnt(2)
	;;#ASMSTART
	v_dot2_f32_f16 v10, v12, v29, v10
	;;#ASMEND
	;;#ASMSTART
	v_dot2_f32_f16 v10, v13, v30, v10
	;;#ASMEND
	;;#ASMSTART
	v_dot2_f32_f16 v10, v14, v31, v10
	;;#ASMEND
	;;#ASMSTART
	v_dot2_f32_f16 v10, v15, v32, v10
	;;#ASMEND
	s_waitcnt lgkmcnt(1)
	;;#ASMSTART
	v_dot2_f32_f16 v19, v12, v33, v19
	;;#ASMEND
	;;#ASMSTART
	v_dot2_f32_f16 v19, v13, v34, v19
	;;#ASMEND
	;;#ASMSTART
	v_dot2_f32_f16 v19, v14, v35, v19
	;;#ASMEND
	;;#ASMSTART
	v_dot2_f32_f16 v19, v15, v36, v19
	;;#ASMEND
	s_waitcnt lgkmcnt(0)
	;;#ASMSTART
	v_dot2_f32_f16 v11, v37, v29, v11
	;;#ASMEND
	;;#ASMSTART
	v_dot2_f32_f16 v11, v38, v30, v11
	;;#ASMEND
	;;#ASMSTART
	v_dot2_f32_f16 v11, v39, v31, v11
	;;#ASMEND
	;;#ASMSTART
	v_dot2_f32_f16 v11, v40, v32, v11
	;;#ASMEND
	;;#ASMSTART
	v_dot2_f32_f16 v20, v37, v33, v20
	;;#ASMEND
	;;#ASMSTART
	v_dot2_f32_f16 v20, v38, v34, v20
	;;#ASMEND
	;;#ASMSTART
	v_dot2_f32_f16 v20, v39, v35, v20
	;;#ASMEND
	;;#ASMSTART
	v_dot2_f32_f16 v20, v40, v36, v20
	;;#ASMEND
	ds_read_b128 v[12:15], v83 offset:96
	ds_read_b128 v[29:32], v86 offset:96
	ds_read_b128 v[33:36], v86 offset:352
	ds_read_b128 v[37:40], v83 offset:4704
	s_waitcnt lgkmcnt(2)
	;;#ASMSTART
	v_dot2_f32_f16 v10, v12, v29, v10
	;;#ASMEND
	;;#ASMSTART
	v_dot2_f32_f16 v10, v13, v30, v10
	;;#ASMEND
	;;#ASMSTART
	v_dot2_f32_f16 v10, v14, v31, v10
	;;#ASMEND
	;;#ASMSTART
	v_dot2_f32_f16 v10, v15, v32, v10
	;;#ASMEND
	s_waitcnt lgkmcnt(1)
	;;#ASMSTART
	v_dot2_f32_f16 v19, v12, v33, v19
	;;#ASMEND
	;;#ASMSTART
	v_dot2_f32_f16 v19, v13, v34, v19
	;;#ASMEND
	;;#ASMSTART
	v_dot2_f32_f16 v19, v14, v35, v19
	;;#ASMEND
	;;#ASMSTART
	v_dot2_f32_f16 v19, v15, v36, v19
	;;#ASMEND
	s_waitcnt lgkmcnt(0)
	;;#ASMSTART
	v_dot2_f32_f16 v11, v37, v29, v11
	;;#ASMEND
	;;#ASMSTART
	v_dot2_f32_f16 v11, v38, v30, v11
	;;#ASMEND
	;;#ASMSTART
	v_dot2_f32_f16 v11, v39, v31, v11
	;;#ASMEND
	;;#ASMSTART
	v_dot2_f32_f16 v11, v40, v32, v11
	;;#ASMEND
	;;#ASMSTART
	v_dot2_f32_f16 v20, v37, v33, v20
	;;#ASMEND
	;;#ASMSTART
	v_dot2_f32_f16 v20, v38, v34, v20
	;;#ASMEND
	;;#ASMSTART
	v_dot2_f32_f16 v20, v39, v35, v20
	;;#ASMEND
	;;#ASMSTART
	v_dot2_f32_f16 v20, v40, v36, v20
	;;#ASMEND
	ds_read_b128 v[12:15], v83 offset:112
	ds_read_b128 v[29:32], v86 offset:112
	ds_read_b128 v[33:36], v86 offset:368
	ds_read_b128 v[37:40], v83 offset:4720
	s_waitcnt lgkmcnt(2)
	;;#ASMSTART
	v_dot2_f32_f16 v10, v12, v29, v10
	;;#ASMEND
	;;#ASMSTART
	v_dot2_f32_f16 v10, v13, v30, v10
	;;#ASMEND
	;;#ASMSTART
	v_dot2_f32_f16 v10, v14, v31, v10
	;;#ASMEND
	;;#ASMSTART
	v_dot2_f32_f16 v10, v15, v32, v10
	;;#ASMEND
	s_waitcnt lgkmcnt(1)
	;;#ASMSTART
	v_dot2_f32_f16 v19, v12, v33, v19
	;;#ASMEND
	;;#ASMSTART
	v_dot2_f32_f16 v19, v13, v34, v19
	;;#ASMEND
	;;#ASMSTART
	v_dot2_f32_f16 v19, v14, v35, v19
	;;#ASMEND
	;;#ASMSTART
	v_dot2_f32_f16 v19, v15, v36, v19
	;;#ASMEND
	s_waitcnt lgkmcnt(0)
	;;#ASMSTART
	v_dot2_f32_f16 v11, v37, v29, v11
	;;#ASMEND
	;;#ASMSTART
	v_dot2_f32_f16 v11, v38, v30, v11
	;;#ASMEND
	;;#ASMSTART
	v_dot2_f32_f16 v11, v39, v31, v11
	;;#ASMEND
	;;#ASMSTART
	v_dot2_f32_f16 v11, v40, v32, v11
	;;#ASMEND
	;;#ASMSTART
	v_dot2_f32_f16 v20, v37, v33, v20
	;;#ASMEND
	;;#ASMSTART
	v_dot2_f32_f16 v20, v38, v34, v20
	;;#ASMEND
	;;#ASMSTART
	v_dot2_f32_f16 v20, v39, v35, v20
	;;#ASMEND
	;;#ASMSTART
	v_dot2_f32_f16 v20, v40, v36, v20
	;;#ASMEND
	s_barrier
	buffer_gl0_inv
	s_clause 0x3
	global_load_dwordx4 v[12:15], v[2:3], off offset:128
	global_load_dwordx4 v[2:5], v[4:5], off offset:128
	;; [unrolled: 1-line block ×4, first 2 shown]
	s_waitcnt vmcnt(3)
	ds_write_b128 v87, v[12:15]
	s_waitcnt vmcnt(2)
	ds_write_b128 v88, v[2:5]
	;; [unrolled: 2-line block ×4, first 2 shown]
	s_waitcnt lgkmcnt(0)
	s_barrier
	buffer_gl0_inv
	ds_read_b128 v[2:5], v83
	ds_read_b128 v[6:9], v86 offset:128
	ds_read_b128 v[12:15], v86 offset:384
	ds_read_b128 v[29:32], v83 offset:4608
	s_waitcnt lgkmcnt(2)
	;;#ASMSTART
	v_dot2_f32_f16 v10, v2, v6, v10
	;;#ASMEND
	;;#ASMSTART
	v_dot2_f32_f16 v10, v3, v7, v10
	;;#ASMEND
	;;#ASMSTART
	v_dot2_f32_f16 v10, v4, v8, v10
	;;#ASMEND
	;;#ASMSTART
	v_dot2_f32_f16 v10, v5, v9, v10
	;;#ASMEND
	s_waitcnt lgkmcnt(1)
	;;#ASMSTART
	v_dot2_f32_f16 v19, v2, v12, v19
	;;#ASMEND
	;;#ASMSTART
	v_dot2_f32_f16 v19, v3, v13, v19
	;;#ASMEND
	;;#ASMSTART
	v_dot2_f32_f16 v19, v4, v14, v19
	;;#ASMEND
	;;#ASMSTART
	v_dot2_f32_f16 v19, v5, v15, v19
	;;#ASMEND
	s_waitcnt lgkmcnt(0)
	;;#ASMSTART
	v_dot2_f32_f16 v11, v29, v6, v11
	;;#ASMEND
	;;#ASMSTART
	v_dot2_f32_f16 v11, v30, v7, v11
	;;#ASMEND
	;;#ASMSTART
	v_dot2_f32_f16 v11, v31, v8, v11
	;;#ASMEND
	;;#ASMSTART
	v_dot2_f32_f16 v11, v32, v9, v11
	;;#ASMEND
	;;#ASMSTART
	v_dot2_f32_f16 v20, v29, v12, v20
	;;#ASMEND
	;;#ASMSTART
	v_dot2_f32_f16 v20, v30, v13, v20
	;;#ASMEND
	;;#ASMSTART
	v_dot2_f32_f16 v20, v31, v14, v20
	;;#ASMEND
	;;#ASMSTART
	v_dot2_f32_f16 v20, v32, v15, v20
	;;#ASMEND
	ds_read_b128 v[2:5], v83 offset:16
	ds_read_b128 v[6:9], v86 offset:144
	ds_read_b128 v[12:15], v86 offset:400
	ds_read_b128 v[29:32], v83 offset:4624
	s_waitcnt lgkmcnt(2)
	;;#ASMSTART
	v_dot2_f32_f16 v10, v2, v6, v10
	;;#ASMEND
	;;#ASMSTART
	v_dot2_f32_f16 v10, v3, v7, v10
	;;#ASMEND
	;;#ASMSTART
	v_dot2_f32_f16 v10, v4, v8, v10
	;;#ASMEND
	;;#ASMSTART
	v_dot2_f32_f16 v10, v5, v9, v10
	;;#ASMEND
	s_waitcnt lgkmcnt(1)
	;;#ASMSTART
	v_dot2_f32_f16 v19, v2, v12, v19
	;;#ASMEND
	;;#ASMSTART
	v_dot2_f32_f16 v19, v3, v13, v19
	;;#ASMEND
	;;#ASMSTART
	v_dot2_f32_f16 v19, v4, v14, v19
	;;#ASMEND
	;;#ASMSTART
	v_dot2_f32_f16 v19, v5, v15, v19
	;;#ASMEND
	s_waitcnt lgkmcnt(0)
	;;#ASMSTART
	v_dot2_f32_f16 v11, v29, v6, v11
	;;#ASMEND
	;;#ASMSTART
	v_dot2_f32_f16 v11, v30, v7, v11
	;;#ASMEND
	;;#ASMSTART
	v_dot2_f32_f16 v11, v31, v8, v11
	;;#ASMEND
	;;#ASMSTART
	v_dot2_f32_f16 v11, v32, v9, v11
	;;#ASMEND
	;;#ASMSTART
	v_dot2_f32_f16 v20, v29, v12, v20
	;;#ASMEND
	;;#ASMSTART
	v_dot2_f32_f16 v20, v30, v13, v20
	;;#ASMEND
	;;#ASMSTART
	v_dot2_f32_f16 v20, v31, v14, v20
	;;#ASMEND
	;;#ASMSTART
	v_dot2_f32_f16 v20, v32, v15, v20
	;;#ASMEND
	ds_read_b128 v[2:5], v83 offset:32
	;; [unrolled: 55-line block ×7, first 2 shown]
	ds_read_b128 v[12:15], v86 offset:240
	ds_read_b128 v[29:32], v86 offset:496
	;; [unrolled: 1-line block ×3, first 2 shown]
	v_add_nc_u32_e32 v4, s10, v0
	s_waitcnt lgkmcnt(2)
	;;#ASMSTART
	v_dot2_f32_f16 v10, v6, v12, v10
	;;#ASMEND
	;;#ASMSTART
	v_dot2_f32_f16 v10, v7, v13, v10
	;;#ASMEND
	v_add_nc_u32_e32 v2, v4, v91
	;;#ASMSTART
	v_dot2_f32_f16 v10, v8, v14, v10
	;;#ASMEND
	;;#ASMSTART
	v_dot2_f32_f16 v10, v9, v15, v10
	;;#ASMEND
	s_waitcnt lgkmcnt(1)
	;;#ASMSTART
	v_dot2_f32_f16 v19, v6, v29, v19
	;;#ASMEND
	;;#ASMSTART
	v_dot2_f32_f16 v19, v7, v30, v19
	;;#ASMEND
	;; [unrolled: 3-line block ×4, first 2 shown]
	s_waitcnt lgkmcnt(0)
	;;#ASMSTART
	v_dot2_f32_f16 v11, v33, v12, v11
	;;#ASMEND
	v_mov_b32_e32 v5, 0
	v_ashrrev_i32_e32 v3, 31, v2
	;;#ASMSTART
	v_dot2_f32_f16 v11, v34, v13, v11
	;;#ASMEND
	;;#ASMSTART
	v_dot2_f32_f16 v11, v35, v14, v11
	;;#ASMEND
	;;#ASMSTART
	v_dot2_f32_f16 v11, v36, v15, v11
	;;#ASMEND
	;;#ASMSTART
	v_dot2_f32_f16 v20, v33, v29, v20
	;;#ASMEND
	;;#ASMSTART
	v_dot2_f32_f16 v20, v34, v30, v20
	;;#ASMEND
	;;#ASMSTART
	v_dot2_f32_f16 v20, v35, v31, v20
	;;#ASMEND
	;;#ASMSTART
	v_dot2_f32_f16 v20, v36, v32, v20
	;;#ASMEND
	s_cbranch_vccnz .LBB62_10
; %bb.9:                                ;   in Loop: Header=BB62_8 Depth=1
	v_lshlrev_b64 v[5:6], 1, v[2:3]
	v_add_co_u32 v5, vcc_lo, s46, v5
	v_add_co_ci_u32_e64 v6, null, s47, v6, vcc_lo
	global_load_ushort v5, v[5:6], off
	s_waitcnt vmcnt(0)
	v_cvt_f32_f16_e32 v5, v5
	v_mul_f32_e32 v5, v79, v5
.LBB62_10:                              ;   in Loop: Header=BB62_8 Depth=1
	v_mov_b32_e32 v31, 0
	v_mov_b32_e32 v6, 0
	s_andn2_b32 vcc_lo, exec_lo, s13
	s_cbranch_vccnz .LBB62_12
; %bb.11:                               ;   in Loop: Header=BB62_8 Depth=1
	v_lshlrev_b64 v[2:3], 1, v[2:3]
	v_add_co_u32 v2, vcc_lo, s46, v2
	v_add_co_ci_u32_e64 v3, null, s47, v3, vcc_lo
	global_load_ushort v2, v[2:3], off offset:64
	s_waitcnt vmcnt(0)
	v_cvt_f32_f16_e32 v2, v2
	v_mul_f32_e32 v6, v79, v2
.LBB62_12:                              ;   in Loop: Header=BB62_8 Depth=1
	v_xor_b32_e32 v2, 16, v100
	v_add_f32_e32 v21, v10, v5
	v_add_f32_e32 v29, v11, v6
	v_cmp_gt_i32_e32 vcc_lo, 32, v2
	v_add_f32_e32 v3, 0x40051340, v21
	v_add_f32_e32 v5, 0x40051340, v29
	v_cndmask_b32_e32 v2, v100, v2, vcc_lo
	v_lshlrev_b32_e32 v33, 2, v2
	v_max3_f32 v2, v18, v3, v5
	v_xor_b32_e32 v5, 8, v100
	ds_bpermute_b32 v3, v33, v2
	v_cmp_gt_i32_e32 vcc_lo, 32, v5
	v_cndmask_b32_e32 v5, v100, v5, vcc_lo
	v_lshlrev_b32_e32 v34, 2, v5
	v_xor_b32_e32 v5, 4, v100
	v_cmp_gt_i32_e32 vcc_lo, 32, v5
	s_waitcnt lgkmcnt(0)
	v_max_f32_e32 v3, v3, v3
	v_cndmask_b32_e32 v5, v100, v5, vcc_lo
	v_max_f32_e32 v2, v2, v3
	v_lshlrev_b32_e32 v35, 2, v5
	v_xor_b32_e32 v5, 2, v100
	ds_bpermute_b32 v3, v34, v2
	v_cmp_gt_i32_e32 vcc_lo, 32, v5
	v_cndmask_b32_e32 v5, v100, v5, vcc_lo
	v_lshlrev_b32_e32 v36, 2, v5
	v_xor_b32_e32 v5, 1, v100
	v_cmp_gt_i32_e32 vcc_lo, 32, v5
	s_waitcnt lgkmcnt(0)
	v_max_f32_e32 v3, v3, v3
	v_cndmask_b32_e32 v5, v100, v5, vcc_lo
	v_max_f32_e32 v2, v2, v3
	s_andn2_b32 vcc_lo, exec_lo, s13
	v_lshlrev_b32_e32 v30, 2, v5
	ds_bpermute_b32 v3, v35, v2
	s_waitcnt lgkmcnt(0)
	v_max_f32_e32 v3, v3, v3
	v_max_f32_e32 v2, v2, v3
	ds_bpermute_b32 v3, v36, v2
	s_waitcnt lgkmcnt(0)
	v_max_f32_e32 v3, v3, v3
	v_max_f32_e32 v37, v2, v3
	v_add_nc_u32_e32 v2, v4, v93
	ds_bpermute_b32 v38, v30, v37
	v_ashrrev_i32_e32 v3, 31, v2
	s_cbranch_vccnz .LBB62_14
; %bb.13:                               ;   in Loop: Header=BB62_8 Depth=1
	v_lshlrev_b64 v[4:5], 1, v[2:3]
	v_add_co_u32 v4, vcc_lo, s46, v4
	v_add_co_ci_u32_e64 v5, null, s47, v5, vcc_lo
	global_load_ushort v4, v[4:5], off
	s_waitcnt vmcnt(0)
	v_cvt_f32_f16_e32 v4, v4
	v_mul_f32_e32 v31, v79, v4
.LBB62_14:                              ;   in Loop: Header=BB62_8 Depth=1
	s_andn2_b32 vcc_lo, exec_lo, s13
	s_cbranch_vccnz .LBB62_16
; %bb.15:                               ;   in Loop: Header=BB62_8 Depth=1
	v_lshlrev_b64 v[2:3], 1, v[2:3]
	v_add_co_u32 v2, vcc_lo, s46, v2
	v_add_co_ci_u32_e64 v3, null, s47, v3, vcc_lo
	global_load_ushort v2, v[2:3], off offset:64
	s_waitcnt vmcnt(0)
	v_cvt_f32_f16_e32 v2, v2
	v_mul_f32_e32 v39, v79, v2
	s_branch .LBB62_17
.LBB62_16:                              ;   in Loop: Header=BB62_8 Depth=1
	v_mov_b32_e32 v39, 0
.LBB62_17:                              ;   in Loop: Header=BB62_8 Depth=1
	s_mul_hi_i32 s9, s10, s19
	s_mul_i32 s8, s10, s19
	s_waitcnt lgkmcnt(0)
	s_lshl_b64 s[8:9], s[8:9], 2
	s_barrier
	s_add_u32 s8, s14, s8
	s_addc_u32 s9, s11, s9
	v_add_co_u32 v2, vcc_lo, s8, v60
	v_add_co_ci_u32_e64 v3, null, s9, v61, vcc_lo
	v_add_co_u32 v4, vcc_lo, s8, v62
	v_add_co_ci_u32_e64 v5, null, s9, v63, vcc_lo
	;; [unrolled: 2-line block ×8, first 2 shown]
	buffer_gl0_inv
	s_clause 0x3
	global_load_dwordx4 v[2:5], v[2:3], off
	global_load_dwordx4 v[6:9], v[6:7], off
	;; [unrolled: 1-line block ×4, first 2 shown]
	v_add_f32_e32 v32, v19, v31
	v_add_f32_e32 v31, v20, v39
	s_or_b32 s8, s10, 32
	s_mul_hi_i32 s9, s8, s19
	v_add_f32_e32 v19, 0x40051340, v32
	v_add_f32_e32 v20, 0x40051340, v31
	s_mul_i32 s8, s8, s19
	s_lshl_b64 s[8:9], s[8:9], 2
	v_max3_f32 v19, v28, v19, v20
	s_add_u32 s8, s14, s8
	s_addc_u32 s9, s11, s9
	ds_bpermute_b32 v20, v33, v19
	v_max_f32_e32 v33, v38, v38
	s_waitcnt lgkmcnt(0)
	v_max_f32_e32 v20, v20, v20
	v_max_f32_e32 v19, v19, v20
	ds_bpermute_b32 v20, v34, v19
	v_max_f32_e32 v34, v37, v37
	v_max_f32_e32 v50, v34, v33
	v_add_nc_u32_e32 v33, v94, v72
	v_sub_f32_e32 v34, v18, v50
	v_add_co_u32 v18, vcc_lo, s8, v60
	v_sub_f32_e32 v29, v29, v50
	v_mul_f32_e32 v45, 0x3fb8aa3b, v34
	v_mul_f32_e32 v44, 0x3fb8aa3b, v29
	s_waitcnt lgkmcnt(0)
	v_max_f32_e32 v20, v20, v20
	v_rndne_f32_e32 v49, v45
	v_fma_f32 v48, 0x3fb8aa3b, v34, -v45
	v_fma_f32 v46, 0x3fb8aa3b, v29, -v44
	v_max_f32_e32 v19, v19, v20
	v_rndne_f32_e32 v47, v44
	v_fmac_f32_e32 v48, 0x32a5705f, v34
	v_fmac_f32_e32 v46, 0x32a5705f, v29
	ds_bpermute_b32 v20, v35, v19
	v_sub_f32_e32 v35, v21, v50
	v_add_co_ci_u32_e64 v21, null, s9, v61, vcc_lo
	v_sub_f32_e32 v44, v44, v47
	v_mul_f32_e32 v43, 0x3fb8aa3b, v35
	s_waitcnt lgkmcnt(0)
	v_max_f32_e32 v20, v20, v20
	v_max_f32_e32 v19, v19, v20
	ds_bpermute_b32 v20, v36, v19
	v_add_co_u32 v36, vcc_lo, s8, v62
	v_add_co_ci_u32_e64 v37, null, s9, v63, vcc_lo
	v_add_co_u32 v38, vcc_lo, s8, v64
	v_add_co_ci_u32_e64 v39, null, s9, v65, vcc_lo
	;; [unrolled: 2-line block ×3, first 2 shown]
	v_add_co_u32 v18, vcc_lo, v18, v99
	s_waitcnt lgkmcnt(0)
	v_max_f32_e32 v20, v20, v20
	v_max_f32_e32 v40, v19, v20
	v_add_co_ci_u32_e64 v19, null, 0, v21, vcc_lo
	v_add_co_u32 v20, vcc_lo, v36, v99
	ds_bpermute_b32 v30, v30, v40
	v_add_co_ci_u32_e64 v21, null, 0, v37, vcc_lo
	v_fma_f32 v36, 0x3fb8aa3b, v35, -v43
	v_rndne_f32_e32 v37, v43
	v_cmp_ngt_f32_e32 vcc_lo, 0xc2ce8ed0, v35
	v_fmac_f32_e32 v36, 0x32a5705f, v35
	v_sub_f32_e32 v43, v43, v37
	v_cvt_i32_f32_e32 v37, v37
	v_add_f32_e32 v36, v43, v36
	v_add_f32_e32 v43, v44, v46
	v_cvt_i32_f32_e32 v44, v49
	v_exp_f32_e32 v36, v36
	s_waitcnt lgkmcnt(0)
	v_max_f32_e32 v30, v30, v30
	v_max_f32_e32 v51, v40, v30
	v_exp_f32_e32 v40, v43
	v_sub_f32_e32 v30, v45, v49
	v_cvt_i32_f32_e32 v43, v47
	v_ldexp_f32 v36, v36, v37
	v_sub_f32_e32 v32, v32, v51
	v_sub_f32_e32 v31, v31, v51
	v_add_f32_e32 v30, v30, v48
	v_sub_f32_e32 v28, v28, v51
	v_cndmask_b32_e32 v36, 0, v36, vcc_lo
	v_mul_f32_e32 v45, 0x3fb8aa3b, v32
	v_mul_f32_e32 v37, 0x3fb8aa3b, v31
	v_ldexp_f32 v40, v40, v43
	v_exp_f32_e32 v30, v30
	v_cmp_ngt_f32_e32 vcc_lo, 0xc2ce8ed0, v29
	v_fma_f32 v43, 0x3fb8aa3b, v32, -v45
	v_rndne_f32_e32 v46, v45
	v_fma_f32 v47, 0x3fb8aa3b, v31, -v37
	v_rndne_f32_e32 v48, v37
	v_cndmask_b32_e32 v40, 0, v40, vcc_lo
	v_fmac_f32_e32 v43, 0x32a5705f, v32
	v_sub_f32_e32 v45, v45, v46
	v_fmac_f32_e32 v47, 0x32a5705f, v31
	v_sub_f32_e32 v37, v37, v48
	v_cmp_nlt_f32_e32 vcc_lo, 0x42b17218, v35
	v_ldexp_f32 v30, v30, v44
	v_add_f32_e32 v43, v45, v43
	v_mul_f32_e32 v44, 0x3fb8aa3b, v28
	v_add_f32_e32 v37, v37, v47
	v_cvt_i32_f32_e32 v46, v46
	v_cndmask_b32_e32 v35, 0x7f800000, v36, vcc_lo
	v_exp_f32_e32 v43, v43
	v_cmp_nlt_f32_e32 vcc_lo, 0x42b17218, v29
	v_exp_f32_e32 v37, v37
	v_fma_f32 v45, 0x3fb8aa3b, v28, -v44
	v_rndne_f32_e32 v49, v44
	v_cvt_i32_f32_e32 v36, v48
	v_cndmask_b32_e32 v40, 0x7f800000, v40, vcc_lo
	v_cmp_ngt_f32_e32 vcc_lo, 0xc2ce8ed0, v32
	v_fmac_f32_e32 v45, 0x32a5705f, v28
	v_sub_f32_e32 v44, v44, v49
	v_ldexp_f32 v43, v43, v46
	v_add_f32_e32 v76, v35, v40
	v_ldexp_f32 v29, v37, v36
	v_add_f32_e32 v44, v44, v45
	v_cndmask_b32_e32 v37, 0, v43, vcc_lo
	v_cmp_ngt_f32_e32 vcc_lo, 0xc2ce8ed0, v31
	v_cvt_i32_f32_e32 v43, v49
	v_exp_f32_e32 v36, v44
	v_cndmask_b32_e32 v29, 0, v29, vcc_lo
	v_cmp_nlt_f32_e32 vcc_lo, 0x42b17218, v32
	v_cndmask_b32_e32 v75, 0x7f800000, v37, vcc_lo
	v_cmp_nlt_f32_e32 vcc_lo, 0x42b17218, v31
	v_ldexp_f32 v32, v36, v43
	v_cvt_f16_f32_e32 v31, v40
	v_cvt_f16_f32_e32 v36, v75
	v_cndmask_b32_e32 v102, 0x7f800000, v29, vcc_lo
	v_cmp_ngt_f32_e32 vcc_lo, 0xc2ce8ed0, v34
	v_cvt_f16_f32_e32 v29, v35
	v_cvt_f16_f32_e32 v37, v102
	v_cndmask_b32_e32 v30, 0, v30, vcc_lo
	v_cmp_ngt_f32_e32 vcc_lo, 0xc2ce8ed0, v28
	v_pack_b32_f16 v29, v29, v36
	v_add_f32_e32 v75, v75, v102
	v_pack_b32_f16 v31, v31, v37
	v_add_nc_u32_e32 v102, 0x1800, v74
	v_cndmask_b32_e32 v32, 0, v32, vcc_lo
	v_cmp_nlt_f32_e32 vcc_lo, 0x42b17218, v34
	ds_write2_b32 v33, v29, v31 offset1:32
	s_waitcnt vmcnt(3)
	ds_write_b128 v92, v[2:5]
	s_waitcnt vmcnt(2)
	ds_write_b128 v95, v[6:9]
	;; [unrolled: 2-line block ×4, first 2 shown]
	v_cndmask_b32_e32 v68, 0x7f800000, v30, vcc_lo
	v_cmp_nlt_f32_e32 vcc_lo, 0x42b17218, v28
	s_waitcnt lgkmcnt(0)
	s_barrier
	buffer_gl0_inv
	ds_read_b128 v[6:9], v94
	v_cndmask_b32_e32 v28, 0x7f800000, v32, vcc_lo
	v_cvt_f16_f32_e32 v2, v68
	ds_read_b128 v[29:32], v94 offset:16
	v_fmac_f32_e32 v76, v27, v68
	v_add_co_u32 v14, vcc_lo, v38, v99
	v_cvt_f16_f32_e32 v3, v28
	v_mul_u32_u24_sdwa v69, v2, v101 dst_sel:DWORD dst_unused:UNUSED_PAD src0_sel:WORD_0 src1_sel:DWORD
	v_add_co_ci_u32_e64 v15, null, 0, v39, vcc_lo
	v_add_co_u32 v16, vcc_lo, v41, v99
	v_mul_u32_u24_sdwa v70, v3, v101 dst_sel:DWORD dst_unused:UNUSED_PAD src0_sel:WORD_0 src1_sel:DWORD
	ds_read2_b64 v[10:13], v74 offset1:32
	ds_read_b128 v[33:36], v94 offset:32
	ds_read_b128 v[120:123], v94 offset:48
	;; [unrolled: 1-line block ×4, first 2 shown]
	v_pk_mul_f16 v25, v25, v69
	v_add_co_ci_u32_e64 v17, null, 0, v42, vcc_lo
	v_pk_mul_f16 v24, v24, v70
	v_fmac_f32_e32 v75, v26, v28
	s_waitcnt lgkmcnt(6)
	v_mul_u32_u24_sdwa v71, v6, v101 dst_sel:DWORD dst_unused:UNUSED_PAD src0_sel:WORD_0 src1_sel:DWORD
	v_mul_u32_u24_sdwa v78, v6, v101 dst_sel:DWORD dst_unused:UNUSED_PAD src0_sel:WORD_1 src1_sel:DWORD
	v_mul_u32_u24_sdwa v119, v7, v101 dst_sel:DWORD dst_unused:UNUSED_PAD src0_sel:WORD_0 src1_sel:DWORD
	v_mul_u32_u24_sdwa v118, v7, v101 dst_sel:DWORD dst_unused:UNUSED_PAD src0_sel:WORD_1 src1_sel:DWORD
	;; [unrolled: 2-line block ×4, first 2 shown]
	ds_read2_b64 v[6:9], v74 offset0:64 offset1:96
	s_waitcnt lgkmcnt(6)
	v_mul_u32_u24_sdwa v113, v29, v101 dst_sel:DWORD dst_unused:UNUSED_PAD src0_sel:WORD_0 src1_sel:DWORD
	s_waitcnt lgkmcnt(5)
	v_pk_mul_f16 v27, v10, v71
	v_pk_mul_f16 v68, v10, v78
	s_waitcnt lgkmcnt(3)
	v_mul_u32_u24_sdwa v44, v120, v101 dst_sel:DWORD dst_unused:UNUSED_PAD src0_sel:WORD_0 src1_sel:DWORD
	v_mul_u32_u24_sdwa v43, v120, v101 dst_sel:DWORD dst_unused:UNUSED_PAD src0_sel:WORD_1 src1_sel:DWORD
	v_mul_u32_u24_sdwa v42, v121, v101 dst_sel:DWORD dst_unused:UNUSED_PAD src0_sel:WORD_0 src1_sel:DWORD
	v_mul_u32_u24_sdwa v41, v121, v101 dst_sel:DWORD dst_unused:UNUSED_PAD src0_sel:WORD_1 src1_sel:DWORD
	;; [unrolled: 2-line block ×4, first 2 shown]
	v_pk_fma_f16 v25, v11, v71, v25
	v_pk_fma_f16 v23, v23, v69, v27
	;; [unrolled: 1-line block ×3, first 2 shown]
	ds_read2_b64 v[120:123], v74 offset0:128 offset1:160
	v_pk_fma_f16 v11, v11, v78, v24
	v_pk_fma_f16 v24, v13, v119, v25
	;; [unrolled: 1-line block ×4, first 2 shown]
	v_mul_u32_u24_sdwa v112, v29, v101 dst_sel:DWORD dst_unused:UNUSED_PAD src0_sel:WORD_1 src1_sel:DWORD
	v_pk_fma_f16 v11, v13, v118, v11
	v_mul_u32_u24_sdwa v111, v30, v101 dst_sel:DWORD dst_unused:UNUSED_PAD src0_sel:WORD_0 src1_sel:DWORD
	v_mul_u32_u24_sdwa v110, v30, v101 dst_sel:DWORD dst_unused:UNUSED_PAD src0_sel:WORD_1 src1_sel:DWORD
	v_mul_u32_u24_sdwa v109, v31, v101 dst_sel:DWORD dst_unused:UNUSED_PAD src0_sel:WORD_0 src1_sel:DWORD
	v_mul_u32_u24_sdwa v108, v31, v101 dst_sel:DWORD dst_unused:UNUSED_PAD src0_sel:WORD_1 src1_sel:DWORD
	;; [unrolled: 2-line block ×7, first 2 shown]
	s_waitcnt lgkmcnt(3)
	v_mul_u32_u24_sdwa v35, v124, v101 dst_sel:DWORD dst_unused:UNUSED_PAD src0_sel:WORD_0 src1_sel:DWORD
	v_mul_u32_u24_sdwa v36, v124, v101 dst_sel:DWORD dst_unused:UNUSED_PAD src0_sel:WORD_1 src1_sel:DWORD
	v_mul_u32_u24_sdwa v33, v125, v101 dst_sel:DWORD dst_unused:UNUSED_PAD src0_sel:WORD_0 src1_sel:DWORD
	v_mul_u32_u24_sdwa v34, v125, v101 dst_sel:DWORD dst_unused:UNUSED_PAD src0_sel:WORD_1 src1_sel:DWORD
	v_mul_u32_u24_sdwa v31, v126, v101 dst_sel:DWORD dst_unused:UNUSED_PAD src0_sel:WORD_0 src1_sel:DWORD
	v_mul_u32_u24_sdwa v32, v126, v101 dst_sel:DWORD dst_unused:UNUSED_PAD src0_sel:WORD_1 src1_sel:DWORD
	v_mul_u32_u24_sdwa v30, v127, v101 dst_sel:DWORD dst_unused:UNUSED_PAD src0_sel:WORD_0 src1_sel:DWORD
	v_mul_u32_u24_sdwa v29, v127, v101 dst_sel:DWORD dst_unused:UNUSED_PAD src0_sel:WORD_1 src1_sel:DWORD
	ds_read2_b64 v[124:127], v74 offset0:192 offset1:224
	s_waitcnt lgkmcnt(2)
	v_pk_fma_f16 v13, v7, v117, v24
	v_pk_fma_f16 v23, v6, v117, v23
	;; [unrolled: 1-line block ×4, first 2 shown]
	v_add_nc_u32_e32 v10, 0x800, v74
	v_pk_fma_f16 v11, v9, v115, v13
	v_pk_fma_f16 v12, v8, v115, v23
	;; [unrolled: 1-line block ×4, first 2 shown]
	ds_read2_b64 v[116:119], v10 offset1:32
	s_waitcnt lgkmcnt(2)
	v_pk_fma_f16 v11, v121, v113, v11
	v_pk_fma_f16 v12, v120, v113, v12
	;; [unrolled: 1-line block ×4, first 2 shown]
	ds_read2_b64 v[6:9], v10 offset0:64 offset1:96
	v_pk_fma_f16 v11, v123, v111, v11
	v_pk_fma_f16 v12, v122, v111, v12
	;; [unrolled: 1-line block ×4, first 2 shown]
	ds_read2_b64 v[112:115], v10 offset0:128 offset1:160
	s_waitcnt lgkmcnt(3)
	v_pk_fma_f16 v11, v125, v109, v11
	v_pk_fma_f16 v12, v124, v109, v12
	;; [unrolled: 1-line block ×4, first 2 shown]
	ds_read2_b64 v[120:123], v10 offset0:192 offset1:224
	v_pk_fma_f16 v11, v127, v107, v11
	v_pk_fma_f16 v12, v126, v107, v12
	;; [unrolled: 1-line block ×4, first 2 shown]
	v_add_nc_u32_e32 v22, 0x1000, v74
	s_waitcnt lgkmcnt(3)
	v_pk_fma_f16 v11, v117, v105, v11
	v_pk_fma_f16 v12, v116, v105, v12
	v_pk_fma_f16 v13, v117, v104, v13
	v_pk_fma_f16 v23, v116, v104, v23
	ds_read2_b64 v[108:111], v22 offset1:32
	v_pk_fma_f16 v11, v119, v103, v11
	v_pk_fma_f16 v12, v118, v103, v12
	;; [unrolled: 1-line block ×4, first 2 shown]
	ds_read2_b64 v[124:127], v22 offset0:64 offset1:96
	s_waitcnt lgkmcnt(4)
	v_pk_fma_f16 v11, v7, v48, v11
	v_pk_fma_f16 v12, v6, v48, v12
	;; [unrolled: 1-line block ×4, first 2 shown]
	v_mul_u32_u24_sdwa v24, v2, v101 dst_sel:DWORD dst_unused:UNUSED_PAD src0_sel:WORD_0 src1_sel:DWORD
	v_pk_fma_f16 v11, v9, v46, v11
	v_pk_fma_f16 v12, v8, v46, v12
	;; [unrolled: 1-line block ×4, first 2 shown]
	v_mul_u32_u24_sdwa v25, v2, v101 dst_sel:DWORD dst_unused:UNUSED_PAD src0_sel:WORD_1 src1_sel:DWORD
	s_waitcnt lgkmcnt(3)
	v_pk_fma_f16 v11, v113, v44, v11
	v_pk_fma_f16 v12, v112, v44, v12
	v_pk_fma_f16 v13, v113, v43, v13
	v_pk_fma_f16 v23, v112, v43, v23
	v_mul_u32_u24_sdwa v27, v3, v101 dst_sel:DWORD dst_unused:UNUSED_PAD src0_sel:WORD_0 src1_sel:DWORD
	v_pk_fma_f16 v11, v115, v42, v11
	v_pk_fma_f16 v12, v114, v42, v12
	;; [unrolled: 1-line block ×4, first 2 shown]
	v_mul_u32_u24_sdwa v41, v3, v101 dst_sel:DWORD dst_unused:UNUSED_PAD src0_sel:WORD_1 src1_sel:DWORD
	s_waitcnt lgkmcnt(2)
	v_pk_fma_f16 v2, v121, v40, v11
	v_mul_u32_u24_sdwa v42, v4, v101 dst_sel:DWORD dst_unused:UNUSED_PAD src0_sel:WORD_0 src1_sel:DWORD
	v_pk_fma_f16 v3, v121, v39, v13
	v_pk_fma_f16 v11, v120, v39, v23
	v_mul_u32_u24_sdwa v47, v4, v101 dst_sel:DWORD dst_unused:UNUSED_PAD src0_sel:WORD_1 src1_sel:DWORD
	v_pk_fma_f16 v4, v120, v40, v12
	v_pk_fma_f16 v12, v123, v37, v2
	;; [unrolled: 1-line block ×4, first 2 shown]
	ds_read2_b64 v[104:107], v22 offset0:128 offset1:160
	v_pk_fma_f16 v49, v122, v37, v4
	s_waitcnt lgkmcnt(2)
	v_pk_fma_f16 v12, v109, v35, v12
	v_pk_fma_f16 v13, v109, v36, v13
	;; [unrolled: 1-line block ×3, first 2 shown]
	ds_read2_b64 v[116:119], v22 offset0:192 offset1:224
	v_pk_fma_f16 v35, v108, v35, v49
	v_pk_fma_f16 v12, v111, v33, v12
	;; [unrolled: 1-line block ×4, first 2 shown]
	ds_read2_b64 v[68:71], v102 offset1:32
	ds_read2_b64 v[6:9], v102 offset0:64 offset1:96
	ds_read2_b64 v[43:46], v102 offset0:128 offset1:160
	v_mul_u32_u24_sdwa v48, v5, v101 dst_sel:DWORD dst_unused:UNUSED_PAD src0_sel:WORD_0 src1_sel:DWORD
	v_mul_u32_u24_sdwa v23, v5, v101 dst_sel:DWORD dst_unused:UNUSED_PAD src0_sel:WORD_1 src1_sel:DWORD
	ds_read_b128 v[2:5], v94 offset:96
	ds_read_b128 v[37:40], v94 offset:112
	ds_read2_b64 v[112:115], v102 offset0:192 offset1:224
	s_waitcnt lgkmcnt(0)
	s_barrier
	buffer_gl0_inv
	v_pk_fma_f16 v49, v110, v33, v35
	s_clause 0x1
	global_load_dwordx4 v[33:36], v[18:19], off
	global_load_dwordx4 v[18:21], v[20:21], off
	v_pk_fma_f16 v78, v125, v31, v12
	v_pk_fma_f16 v103, v125, v32, v13
	;; [unrolled: 1-line block ×3, first 2 shown]
	s_clause 0x1
	global_load_dwordx4 v[11:14], v[14:15], off
	global_load_dwordx4 v[108:111], v[16:17], off
	v_pk_fma_f16 v31, v124, v31, v49
	v_pk_fma_f16 v15, v127, v30, v78
	s_waitcnt vmcnt(3)
	ds_write_b128 v92, v[33:36]
	s_waitcnt vmcnt(2)
	ds_write_b128 v95, v[18:21]
	;; [unrolled: 2-line block ×4, first 2 shown]
	v_pk_fma_f16 v16, v126, v30, v31
	v_pk_fma_f16 v30, v127, v29, v103
	;; [unrolled: 1-line block ×4, first 2 shown]
	v_mul_u32_u24_sdwa v17, v2, v101 dst_sel:DWORD dst_unused:UNUSED_PAD src0_sel:WORD_0 src1_sel:DWORD
	v_pk_fma_f16 v16, v104, v24, v16
	v_pk_fma_f16 v30, v105, v25, v30
	;; [unrolled: 1-line block ×4, first 2 shown]
	v_mul_u32_u24_sdwa v2, v2, v101 dst_sel:DWORD dst_unused:UNUSED_PAD src0_sel:WORD_1 src1_sel:DWORD
	v_pk_fma_f16 v16, v106, v27, v16
	v_pk_fma_f16 v29, v107, v41, v30
	;; [unrolled: 1-line block ×4, first 2 shown]
	v_mul_u32_u24_sdwa v31, v3, v101 dst_sel:DWORD dst_unused:UNUSED_PAD src0_sel:WORD_0 src1_sel:DWORD
	v_pk_fma_f16 v16, v116, v42, v16
	v_pk_fma_f16 v29, v117, v47, v29
	;; [unrolled: 1-line block ×4, first 2 shown]
	v_mul_u32_u24_sdwa v3, v3, v101 dst_sel:DWORD dst_unused:UNUSED_PAD src0_sel:WORD_1 src1_sel:DWORD
	v_pk_fma_f16 v16, v118, v48, v16
	v_pk_fma_f16 v29, v119, v23, v29
	;; [unrolled: 1-line block ×4, first 2 shown]
	v_mul_u32_u24_sdwa v32, v4, v101 dst_sel:DWORD dst_unused:UNUSED_PAD src0_sel:WORD_0 src1_sel:DWORD
	v_pk_fma_f16 v16, v68, v17, v16
	v_pk_fma_f16 v29, v69, v2, v29
	;; [unrolled: 1-line block ×3, first 2 shown]
	v_mul_u32_u24_sdwa v4, v4, v101 dst_sel:DWORD dst_unused:UNUSED_PAD src0_sel:WORD_1 src1_sel:DWORD
	v_pk_fma_f16 v15, v71, v31, v15
	v_pk_fma_f16 v16, v70, v31, v16
	;; [unrolled: 1-line block ×4, first 2 shown]
	v_mul_u32_u24_sdwa v24, v5, v101 dst_sel:DWORD dst_unused:UNUSED_PAD src0_sel:WORD_0 src1_sel:DWORD
	v_mul_u32_u24_sdwa v5, v5, v101 dst_sel:DWORD dst_unused:UNUSED_PAD src0_sel:WORD_1 src1_sel:DWORD
	v_pk_fma_f16 v3, v7, v32, v15
	v_pk_fma_f16 v7, v7, v4, v23
	;; [unrolled: 1-line block ×4, first 2 shown]
	v_mul_u32_u24_sdwa v27, v37, v101 dst_sel:DWORD dst_unused:UNUSED_PAD src0_sel:WORD_0 src1_sel:DWORD
	v_pk_fma_f16 v3, v9, v24, v3
	v_pk_fma_f16 v6, v9, v5, v7
	;; [unrolled: 1-line block ×3, first 2 shown]
	v_mul_u32_u24_sdwa v30, v37, v101 dst_sel:DWORD dst_unused:UNUSED_PAD src0_sel:WORD_1 src1_sel:DWORD
	v_pk_fma_f16 v2, v8, v5, v2
	v_mul_u32_u24_sdwa v25, v38, v101 dst_sel:DWORD dst_unused:UNUSED_PAD src0_sel:WORD_0 src1_sel:DWORD
	v_pk_fma_f16 v3, v44, v27, v3
	v_pk_fma_f16 v7, v43, v27, v7
	v_mul_u32_u24_sdwa v17, v38, v101 dst_sel:DWORD dst_unused:UNUSED_PAD src0_sel:WORD_1 src1_sel:DWORD
	v_pk_fma_f16 v6, v44, v30, v6
	v_pk_fma_f16 v2, v43, v30, v2
	v_mul_u32_u24_sdwa v15, v39, v101 dst_sel:DWORD dst_unused:UNUSED_PAD src0_sel:WORD_0 src1_sel:DWORD
	v_pk_fma_f16 v3, v46, v25, v3
	v_pk_fma_f16 v7, v45, v25, v7
	s_waitcnt lgkmcnt(0)
	s_barrier
	buffer_gl0_inv
	ds_read_b128 v[11:14], v94 offset:128
	v_mul_u32_u24_sdwa v4, v39, v101 dst_sel:DWORD dst_unused:UNUSED_PAD src0_sel:WORD_1 src1_sel:DWORD
	v_pk_fma_f16 v6, v46, v17, v6
	v_pk_fma_f16 v2, v45, v17, v2
	;; [unrolled: 1-line block ×4, first 2 shown]
	ds_read_b128 v[15:18], v94 offset:144
	v_mul_u32_u24_sdwa v5, v40, v101 dst_sel:DWORD dst_unused:UNUSED_PAD src0_sel:WORD_0 src1_sel:DWORD
	v_mul_u32_u24_sdwa v8, v40, v101 dst_sel:DWORD dst_unused:UNUSED_PAD src0_sel:WORD_1 src1_sel:DWORD
	v_pk_fma_f16 v6, v113, v4, v6
	v_pk_fma_f16 v2, v112, v4, v2
	;; [unrolled: 1-line block ×6, first 2 shown]
	ds_read2_b64 v[23:26], v74 offset1:32
	ds_read_b128 v[42:45], v94 offset:160
	ds_read_b128 v[46:49], v94 offset:176
	ds_read2_b64 v[68:71], v74 offset0:64 offset1:96
	ds_read2_b64 v[109:112], v74 offset0:128 offset1:160
	;; [unrolled: 1-line block ×3, first 2 shown]
	ds_read2_b64 v[30:33], v10 offset1:32
	ds_read2_b64 v[34:37], v10 offset0:64 offset1:96
	ds_read2_b64 v[6:9], v10 offset0:128 offset1:160
	;; [unrolled: 1-line block ×3, first 2 shown]
	s_waitcnt lgkmcnt(11)
	v_mul_u32_u24_sdwa v10, v11, v101 dst_sel:DWORD dst_unused:UNUSED_PAD src0_sel:WORD_0 src1_sel:DWORD
	v_mul_u32_u24_sdwa v28, v11, v101 dst_sel:DWORD dst_unused:UNUSED_PAD src0_sel:WORD_1 src1_sel:DWORD
	v_mul_u32_u24_sdwa v29, v12, v101 dst_sel:DWORD dst_unused:UNUSED_PAD src0_sel:WORD_0 src1_sel:DWORD
	v_mul_u32_u24_sdwa v78, v12, v101 dst_sel:DWORD dst_unused:UNUSED_PAD src0_sel:WORD_1 src1_sel:DWORD
	;; [unrolled: 2-line block ×3, first 2 shown]
	s_waitcnt lgkmcnt(10)
	v_mul_u32_u24_sdwa v113, v15, v101 dst_sel:DWORD dst_unused:UNUSED_PAD src0_sel:WORD_0 src1_sel:DWORD
	v_mul_u32_u24_sdwa v114, v15, v101 dst_sel:DWORD dst_unused:UNUSED_PAD src0_sel:WORD_1 src1_sel:DWORD
	v_mul_u32_u24_sdwa v119, v18, v101 dst_sel:DWORD dst_unused:UNUSED_PAD src0_sel:WORD_0 src1_sel:DWORD
	v_mul_u32_u24_sdwa v120, v18, v101 dst_sel:DWORD dst_unused:UNUSED_PAD src0_sel:WORD_1 src1_sel:DWORD
	s_waitcnt lgkmcnt(9)
	v_pk_fma_f16 v14, v23, v10, v21
	v_pk_fma_f16 v15, v24, v10, v19
	;; [unrolled: 1-line block ×4, first 2 shown]
	v_mul_u32_u24_sdwa v103, v13, v101 dst_sel:DWORD dst_unused:UNUSED_PAD src0_sel:WORD_0 src1_sel:DWORD
	v_mul_u32_u24_sdwa v104, v13, v101 dst_sel:DWORD dst_unused:UNUSED_PAD src0_sel:WORD_1 src1_sel:DWORD
	v_pk_fma_f16 v23, v25, v29, v14
	v_pk_fma_f16 v24, v26, v29, v15
	;; [unrolled: 1-line block ×4, first 2 shown]
	v_mul_u32_u24_sdwa v115, v16, v101 dst_sel:DWORD dst_unused:UNUSED_PAD src0_sel:WORD_0 src1_sel:DWORD
	s_waitcnt lgkmcnt(6)
	v_pk_fma_f16 v23, v68, v103, v23
	v_pk_fma_f16 v24, v69, v103, v24
	v_pk_fma_f16 v25, v68, v104, v25
	v_pk_fma_f16 v26, v69, v104, v26
	v_mul_u32_u24_sdwa v116, v16, v101 dst_sel:DWORD dst_unused:UNUSED_PAD src0_sel:WORD_1 src1_sel:DWORD
	v_pk_fma_f16 v23, v70, v105, v23
	v_pk_fma_f16 v24, v71, v105, v24
	;; [unrolled: 1-line block ×4, first 2 shown]
	v_mul_u32_u24_sdwa v117, v17, v101 dst_sel:DWORD dst_unused:UNUSED_PAD src0_sel:WORD_0 src1_sel:DWORD
	s_waitcnt lgkmcnt(5)
	v_pk_fma_f16 v23, v109, v113, v23
	v_pk_fma_f16 v24, v110, v113, v24
	;; [unrolled: 1-line block ×4, first 2 shown]
	v_mul_u32_u24_sdwa v118, v17, v101 dst_sel:DWORD dst_unused:UNUSED_PAD src0_sel:WORD_1 src1_sel:DWORD
	v_pk_fma_f16 v27, v111, v115, v23
	v_pk_fma_f16 v28, v112, v115, v24
	;; [unrolled: 1-line block ×4, first 2 shown]
	v_mul_u32_u24_sdwa v78, v46, v101 dst_sel:DWORD dst_unused:UNUSED_PAD src0_sel:WORD_0 src1_sel:DWORD
	v_mul_u32_u24_sdwa v77, v46, v101 dst_sel:DWORD dst_unused:UNUSED_PAD src0_sel:WORD_1 src1_sel:DWORD
	v_mul_u32_u24_sdwa v108, v47, v101 dst_sel:DWORD dst_unused:UNUSED_PAD src0_sel:WORD_0 src1_sel:DWORD
	v_mul_u32_u24_sdwa v107, v47, v101 dst_sel:DWORD dst_unused:UNUSED_PAD src0_sel:WORD_1 src1_sel:DWORD
	s_waitcnt lgkmcnt(4)
	v_pk_fma_f16 v46, v38, v117, v27
	v_pk_fma_f16 v47, v39, v117, v28
	;; [unrolled: 1-line block ×4, first 2 shown]
	v_mul_u32_u24_sdwa v121, v42, v101 dst_sel:DWORD dst_unused:UNUSED_PAD src0_sel:WORD_0 src1_sel:DWORD
	v_mul_u32_u24_sdwa v122, v42, v101 dst_sel:DWORD dst_unused:UNUSED_PAD src0_sel:WORD_1 src1_sel:DWORD
	v_mul_u32_u24_sdwa v105, v48, v101 dst_sel:DWORD dst_unused:UNUSED_PAD src0_sel:WORD_0 src1_sel:DWORD
	v_mul_u32_u24_sdwa v106, v48, v101 dst_sel:DWORD dst_unused:UNUSED_PAD src0_sel:WORD_1 src1_sel:DWORD
	;; [unrolled: 2-line block ×3, first 2 shown]
	v_pk_fma_f16 v46, v40, v119, v46
	v_pk_fma_f16 v47, v41, v119, v47
	;; [unrolled: 1-line block ×4, first 2 shown]
	v_mul_u32_u24_sdwa v123, v43, v101 dst_sel:DWORD dst_unused:UNUSED_PAD src0_sel:WORD_0 src1_sel:DWORD
	v_mul_u32_u24_sdwa v124, v43, v101 dst_sel:DWORD dst_unused:UNUSED_PAD src0_sel:WORD_1 src1_sel:DWORD
	v_mul_u32_u24_sdwa v125, v44, v101 dst_sel:DWORD dst_unused:UNUSED_PAD src0_sel:WORD_0 src1_sel:DWORD
	v_mul_u32_u24_sdwa v126, v44, v101 dst_sel:DWORD dst_unused:UNUSED_PAD src0_sel:WORD_1 src1_sel:DWORD
	;; [unrolled: 2-line block ×3, first 2 shown]
	ds_read2_b64 v[10:13], v22 offset1:32
	ds_read2_b64 v[14:17], v22 offset0:64 offset1:96
	ds_read2_b64 v[18:21], v22 offset0:128 offset1:160
	ds_read_b128 v[68:71], v94 offset:192
	ds_read_b128 v[42:45], v94 offset:208
	s_waitcnt lgkmcnt(8)
	v_pk_fma_f16 v109, v30, v121, v46
	v_pk_fma_f16 v110, v31, v121, v47
	;; [unrolled: 1-line block ×4, first 2 shown]
	ds_read2_b64 v[22:25], v22 offset0:192 offset1:224
	v_pk_fma_f16 v109, v32, v123, v109
	v_pk_fma_f16 v110, v33, v123, v110
	;; [unrolled: 1-line block ×4, first 2 shown]
	ds_read2_b64 v[26:29], v102 offset1:32
	s_waitcnt lgkmcnt(9)
	v_pk_fma_f16 v32, v34, v125, v109
	v_pk_fma_f16 v33, v35, v125, v110
	;; [unrolled: 1-line block ×4, first 2 shown]
	ds_read2_b64 v[38:41], v102 offset0:64 offset1:96
	ds_read2_b64 v[46:49], v102 offset0:128 offset1:160
	v_pk_fma_f16 v117, v36, v80, v30
	s_waitcnt lgkmcnt(5)
	v_mul_u32_u24_sdwa v111, v68, v101 dst_sel:DWORD dst_unused:UNUSED_PAD src0_sel:WORD_0 src1_sel:DWORD
	v_mul_u32_u24_sdwa v112, v68, v101 dst_sel:DWORD dst_unused:UNUSED_PAD src0_sel:WORD_1 src1_sel:DWORD
	v_mul_u32_u24_sdwa v113, v69, v101 dst_sel:DWORD dst_unused:UNUSED_PAD src0_sel:WORD_0 src1_sel:DWORD
	v_mul_u32_u24_sdwa v114, v69, v101 dst_sel:DWORD dst_unused:UNUSED_PAD src0_sel:WORD_1 src1_sel:DWORD
	v_pk_fma_f16 v68, v36, v127, v32
	v_pk_fma_f16 v69, v37, v127, v33
	;; [unrolled: 1-line block ×3, first 2 shown]
	v_mul_u32_u24_sdwa v115, v70, v101 dst_sel:DWORD dst_unused:UNUSED_PAD src0_sel:WORD_0 src1_sel:DWORD
	v_mul_u32_u24_sdwa v116, v70, v101 dst_sel:DWORD dst_unused:UNUSED_PAD src0_sel:WORD_1 src1_sel:DWORD
	v_pk_fma_f16 v118, v6, v78, v68
	v_pk_fma_f16 v78, v7, v78, v69
	;; [unrolled: 1-line block ×4, first 2 shown]
	v_mul_u32_u24_sdwa v109, v71, v101 dst_sel:DWORD dst_unused:UNUSED_PAD src0_sel:WORD_0 src1_sel:DWORD
	v_pk_fma_f16 v80, v8, v108, v118
	v_pk_fma_f16 v78, v9, v108, v78
	;; [unrolled: 1-line block ×4, first 2 shown]
	v_mul_u32_u24_sdwa v110, v71, v101 dst_sel:DWORD dst_unused:UNUSED_PAD src0_sel:WORD_1 src1_sel:DWORD
	v_pk_fma_f16 v80, v2, v105, v80
	s_waitcnt lgkmcnt(4)
	v_mul_u32_u24_sdwa v77, v42, v101 dst_sel:DWORD dst_unused:UNUSED_PAD src0_sel:WORD_0 src1_sel:DWORD
	v_pk_fma_f16 v2, v2, v106, v6
	v_pk_fma_f16 v6, v3, v105, v78
	;; [unrolled: 1-line block ×4, first 2 shown]
	v_mul_u32_u24_sdwa v42, v42, v101 dst_sel:DWORD dst_unused:UNUSED_PAD src0_sel:WORD_1 src1_sel:DWORD
	v_pk_fma_f16 v2, v4, v104, v2
	v_pk_fma_f16 v4, v5, v103, v6
	;; [unrolled: 1-line block ×4, first 2 shown]
	ds_read_b128 v[30:33], v94 offset:224
	ds_read_b128 v[34:37], v94 offset:240
	v_pk_fma_f16 v2, v10, v112, v2
	v_pk_fma_f16 v4, v11, v111, v4
	;; [unrolled: 1-line block ×4, first 2 shown]
	v_mul_u32_u24_sdwa v8, v43, v101 dst_sel:DWORD dst_unused:UNUSED_PAD src0_sel:WORD_0 src1_sel:DWORD
	v_pk_fma_f16 v2, v12, v114, v2
	v_pk_fma_f16 v4, v13, v113, v4
	;; [unrolled: 1-line block ×4, first 2 shown]
	v_mul_u32_u24_sdwa v9, v43, v101 dst_sel:DWORD dst_unused:UNUSED_PAD src0_sel:WORD_1 src1_sel:DWORD
	v_pk_fma_f16 v2, v14, v116, v2
	v_pk_fma_f16 v4, v15, v115, v4
	;; [unrolled: 1-line block ×4, first 2 shown]
	v_mul_u32_u24_sdwa v43, v44, v101 dst_sel:DWORD dst_unused:UNUSED_PAD src0_sel:WORD_0 src1_sel:DWORD
	v_pk_fma_f16 v2, v16, v110, v2
	v_pk_fma_f16 v4, v17, v109, v4
	;; [unrolled: 1-line block ×4, first 2 shown]
	v_mul_u32_u24_sdwa v44, v44, v101 dst_sel:DWORD dst_unused:UNUSED_PAD src0_sel:WORD_1 src1_sel:DWORD
	v_pk_fma_f16 v2, v18, v42, v2
	v_pk_fma_f16 v4, v19, v77, v4
	;; [unrolled: 1-line block ×4, first 2 shown]
	ds_read2_b64 v[68:71], v102 offset0:192 offset1:224
	v_pk_fma_f16 v2, v20, v9, v2
	v_pk_fma_f16 v4, v21, v8, v4
	;; [unrolled: 1-line block ×3, first 2 shown]
	v_mul_u32_u24_sdwa v102, v45, v101 dst_sel:DWORD dst_unused:UNUSED_PAD src0_sel:WORD_0 src1_sel:DWORD
	v_mul_u32_u24_sdwa v45, v45, v101 dst_sel:DWORD dst_unused:UNUSED_PAD src0_sel:WORD_1 src1_sel:DWORD
	s_waitcnt lgkmcnt(6)
	v_pk_fma_f16 v6, v22, v43, v6
	v_pk_fma_f16 v2, v22, v44, v2
	;; [unrolled: 1-line block ×4, first 2 shown]
	s_waitcnt lgkmcnt(2)
	v_mul_u32_u24_sdwa v7, v30, v101 dst_sel:DWORD dst_unused:UNUSED_PAD src0_sel:WORD_0 src1_sel:DWORD
	v_mul_u32_u24_sdwa v5, v30, v101 dst_sel:DWORD dst_unused:UNUSED_PAD src0_sel:WORD_1 src1_sel:DWORD
	v_pk_fma_f16 v6, v24, v102, v6
	v_pk_fma_f16 v2, v24, v45, v2
	v_pk_fma_f16 v4, v25, v102, v4
	v_pk_fma_f16 v3, v25, v45, v3
	v_mul_u32_u24_sdwa v10, v31, v101 dst_sel:DWORD dst_unused:UNUSED_PAD src0_sel:WORD_0 src1_sel:DWORD
	v_mul_u32_u24_sdwa v11, v31, v101 dst_sel:DWORD dst_unused:UNUSED_PAD src0_sel:WORD_1 src1_sel:DWORD
	v_pk_fma_f16 v6, v26, v7, v6
	v_pk_fma_f16 v2, v26, v5, v2
	v_pk_fma_f16 v4, v27, v7, v4
	v_pk_fma_f16 v3, v27, v5, v3
	;; [unrolled: 6-line block ×4, first 2 shown]
	s_waitcnt lgkmcnt(0)
	s_barrier
	buffer_gl0_inv
	s_load_dword s8, s[6:7], 0x4
	v_mul_u32_u24_sdwa v9, v34, v101 dst_sel:DWORD dst_unused:UNUSED_PAD src0_sel:WORD_0 src1_sel:DWORD
	v_mul_u32_u24_sdwa v15, v34, v101 dst_sel:DWORD dst_unused:UNUSED_PAD src0_sel:WORD_1 src1_sel:DWORD
	v_pk_fma_f16 v6, v40, v14, v6
	v_pk_fma_f16 v2, v40, v8, v2
	v_pk_fma_f16 v4, v41, v14, v4
	v_pk_fma_f16 v3, v41, v8, v3
	v_mul_u32_u24_sdwa v5, v35, v101 dst_sel:DWORD dst_unused:UNUSED_PAD src0_sel:WORD_0 src1_sel:DWORD
	v_mul_u32_u24_sdwa v7, v35, v101 dst_sel:DWORD dst_unused:UNUSED_PAD src0_sel:WORD_1 src1_sel:DWORD
	v_pk_fma_f16 v6, v46, v9, v6
	v_pk_fma_f16 v2, v46, v15, v2
	v_pk_fma_f16 v4, v47, v9, v4
	v_pk_fma_f16 v3, v47, v15, v3
	;; [unrolled: 6-line block ×4, first 2 shown]
	s_waitcnt lgkmcnt(0)
	s_lshl_b32 s8, s8, 6
	v_pk_fma_f16 v23, v70, v9, v6
	v_pk_fma_f16 v22, v70, v5, v2
	;; [unrolled: 1-line block ×4, first 2 shown]
	s_add_i32 s10, s8, s10
	s_cmp_lt_i32 s10, s12
	s_cbranch_scc0 .LBB62_22
; %bb.18:                               ;   in Loop: Header=BB62_8 Depth=1
	v_mov_b32_e32 v18, v50
	v_mov_b32_e32 v28, v51
	;; [unrolled: 1-line block ×4, first 2 shown]
	s_branch .LBB62_8
.LBB62_19:
	v_mov_b32_e32 v50, 0xfeffffff
	v_mov_b32_e32 v23, 0
	;; [unrolled: 1-line block ×7, first 2 shown]
	s_cmp_gt_i32 s48, s10
	s_cbranch_scc0 .LBB62_23
.LBB62_20:
                                        ; implicit-def: $vgpr2
                                        ; implicit-def: $vgpr16
                                        ; implicit-def: $vgpr12
                                        ; implicit-def: $vgpr11
                                        ; implicit-def: $vgpr13
                                        ; implicit-def: $vgpr14
                                        ; implicit-def: $vgpr15
	s_branch .LBB62_24
.LBB62_21:
	v_mov_b32_e32 v73, v2
	s_branch .LBB62_44
.LBB62_22:
	buffer_load_dword v53, off, s[0:3], 0 offset:16 ; 4-byte Folded Reload
	v_or_b32_e32 v52, 1, v85
	v_and_b32_e32 v38, 60, v72
	v_lshrrev_b32_e32 v39, 4, v0
	v_or_b32_e32 v40, 1, v84
	v_and_b32_e32 v19, 28, v72
	v_lshrrev_b32_e32 v3, 3, v0
	s_cmp_gt_i32 s48, s10
	s_cbranch_scc1 .LBB62_20
.LBB62_23:
	v_mbcnt_lo_u32_b32 v2, -1, 0
	v_mov_b32_e32 v16, 32
	v_xor_b32_e32 v12, 16, v2
	v_xor_b32_e32 v11, 8, v2
	;; [unrolled: 1-line block ×5, first 2 shown]
	s_cbranch_execnz .LBB62_21
.LBB62_24:
	v_lshl_add_u32 v17, v1, 2, v3
	s_mul_hi_i32 s7, s10, s23
	s_mul_i32 s6, s10, s23
	s_sub_i32 s16, s48, s10
	s_lshl_b64 s[6:7], s[6:7], 2
	v_mul_lo_u32 v2, s23, v17
	s_add_u32 s8, s15, s6
	v_lshlrev_b32_e32 v18, 2, v19
	s_addc_u32 s9, s35, s7
	v_cmp_gt_i32_e64 s7, s16, v17
	s_mov_b64 s[12:13], src_private_base
	v_mov_b32_e32 v6, 0
	buffer_store_dword v6, off, s[0:3], 0
	buffer_store_dword v6, off, s[0:3], 0 offset:4
	buffer_store_dword v6, off, s[0:3], 0 offset:8
	buffer_store_dword v6, off, s[0:3], 0 offset:12
	v_ashrrev_i32_e32 v3, 31, v2
	s_lshl_b32 s12, s23, 4
	v_add_nc_u32_e32 v5, 16, v17
	v_add_nc_u32_e32 v14, s12, v2
	s_cmp_lg_u64 s[46:47], 0
	v_lshlrev_b64 v[3:4], 2, v[2:3]
	v_ashrrev_i32_e32 v15, 31, v14
	v_add_co_u32 v3, vcc_lo, s8, v3
	v_add_co_ci_u32_e64 v4, null, s9, v4, vcc_lo
	v_add_co_u32 v12, vcc_lo, v3, v18
	v_add_co_ci_u32_e64 v13, null, 0, v4, vcc_lo
	v_cndmask_b32_e64 v3, 0, v12, s7
	v_cndmask_b32_e64 v4, s13, v13, s7
	flat_load_dwordx4 v[7:10], v[3:4]
	v_lshlrev_b64 v[2:3], 2, v[14:15]
	buffer_store_dword v6, off, s[0:3], 0
	buffer_store_dword v6, off, s[0:3], 0 offset:4
	buffer_store_dword v6, off, s[0:3], 0 offset:8
	;; [unrolled: 1-line block ×3, first 2 shown]
	v_add_nc_u32_e32 v14, s12, v14
	v_add_co_u32 v2, vcc_lo, s8, v2
	v_add_co_ci_u32_e64 v4, null, s9, v3, vcc_lo
	v_add_co_u32 v3, vcc_lo, v2, v18
	v_add_co_ci_u32_e64 v4, null, 0, v4, vcc_lo
	v_cmp_gt_i32_e32 vcc_lo, s16, v5
	v_mad_u32_u24 v2, 0x90, v17, v18
	v_cndmask_b32_e32 v16, s13, v4, vcc_lo
	v_cndmask_b32_e32 v15, 0, v3, vcc_lo
	s_waitcnt vmcnt(0) lgkmcnt(0)
	ds_write_b128 v2, v[7:10]
	flat_load_dwordx4 v[7:10], v[15:16]
	v_ashrrev_i32_e32 v15, 31, v14
	buffer_store_dword v6, off, s[0:3], 0
	buffer_store_dword v6, off, s[0:3], 0 offset:4
	buffer_store_dword v6, off, s[0:3], 0 offset:8
	;; [unrolled: 1-line block ×3, first 2 shown]
	v_lshlrev_b64 v[15:16], 2, v[14:15]
	v_add_nc_u32_e32 v14, s12, v14
	v_add_co_u32 v5, s6, s8, v15
	v_add_co_ci_u32_e64 v11, null, s9, v16, s6
	v_add_nc_u32_e32 v15, 32, v17
	v_add_co_u32 v5, s6, v5, v18
	v_add_co_ci_u32_e64 v11, null, 0, v11, s6
	v_cmp_gt_i32_e64 s6, s16, v15
	v_cndmask_b32_e64 v16, s13, v11, s6
	v_cndmask_b32_e64 v15, 0, v5, s6
	s_waitcnt vmcnt(0) lgkmcnt(0)
	ds_write_b128 v2, v[7:10] offset:2304
	flat_load_dwordx4 v[7:10], v[15:16]
	v_ashrrev_i32_e32 v15, 31, v14
	v_add_nc_u32_e32 v16, 48, v17
	buffer_store_dword v6, off, s[0:3], 0
	buffer_store_dword v6, off, s[0:3], 0 offset:4
	buffer_store_dword v6, off, s[0:3], 0 offset:8
	;; [unrolled: 1-line block ×3, first 2 shown]
	v_lshlrev_b64 v[14:15], 2, v[14:15]
	v_add_co_u32 v14, s8, s8, v14
	v_add_co_ci_u32_e64 v15, null, s9, v15, s8
	v_add_co_u32 v12, s9, 0x80, v12
	v_add_co_u32 v14, s8, v14, v18
	v_add_co_ci_u32_e64 v15, null, 0, v15, s8
	v_cmp_gt_i32_e64 s8, s16, v16
	v_add_co_ci_u32_e64 v13, null, 0, v13, s9
	v_cndmask_b32_e64 v12, 0, v12, s7
	v_cndmask_b32_e64 v17, s13, v15, s8
	;; [unrolled: 1-line block ×4, first 2 shown]
	v_add_co_u32 v3, s7, 0x80, v3
	v_add_co_ci_u32_e64 v4, null, 0, v4, s7
	v_cndmask_b32_e32 v3, 0, v3, vcc_lo
	v_cndmask_b32_e32 v4, s13, v4, vcc_lo
	s_waitcnt vmcnt(0) lgkmcnt(0)
	ds_write_b128 v2, v[7:10] offset:4608
	flat_load_dwordx4 v[7:10], v[16:17]
	s_waitcnt vmcnt(0) lgkmcnt(0)
	ds_write_b128 v2, v[7:10] offset:6912
	s_waitcnt lgkmcnt(0)
	s_waitcnt_vscnt null, 0x0
	s_barrier
	buffer_gl0_inv
	ds_read_b128 v[16:19], v83
	ds_read_b128 v[26:29], v82 offset:9216
	ds_read_b128 v[30:33], v82 offset:9472
	;; [unrolled: 1-line block ×3, first 2 shown]
	v_mov_b32_e32 v9, 0
	v_mov_b32_e32 v10, 0
	v_mov_b32_e32 v8, 0
	v_mov_b32_e32 v7, 0
	s_waitcnt lgkmcnt(2)
	;;#ASMSTART
	v_dot2_f32_f16 v9, v16, v26, v9
	;;#ASMEND
	;;#ASMSTART
	v_dot2_f32_f16 v9, v17, v27, v9
	;;#ASMEND
	;;#ASMSTART
	v_dot2_f32_f16 v9, v18, v28, v9
	;;#ASMEND
	;;#ASMSTART
	v_dot2_f32_f16 v9, v19, v29, v9
	;;#ASMEND
	s_waitcnt lgkmcnt(1)
	;;#ASMSTART
	v_dot2_f32_f16 v10, v16, v30, v10
	;;#ASMEND
	;;#ASMSTART
	v_dot2_f32_f16 v10, v17, v31, v10
	;;#ASMEND
	;;#ASMSTART
	v_dot2_f32_f16 v10, v18, v32, v10
	;;#ASMEND
	;;#ASMSTART
	v_dot2_f32_f16 v10, v19, v33, v10
	;;#ASMEND
	s_waitcnt lgkmcnt(0)
	;;#ASMSTART
	v_dot2_f32_f16 v8, v34, v26, v8
	;;#ASMEND
	;;#ASMSTART
	v_dot2_f32_f16 v8, v35, v27, v8
	;;#ASMEND
	;;#ASMSTART
	v_dot2_f32_f16 v8, v36, v28, v8
	;;#ASMEND
	;;#ASMSTART
	v_dot2_f32_f16 v8, v37, v29, v8
	;;#ASMEND
	;;#ASMSTART
	v_dot2_f32_f16 v7, v34, v30, v7
	;;#ASMEND
	;;#ASMSTART
	v_dot2_f32_f16 v7, v35, v31, v7
	;;#ASMEND
	;;#ASMSTART
	v_dot2_f32_f16 v7, v36, v32, v7
	;;#ASMEND
	;;#ASMSTART
	v_dot2_f32_f16 v7, v37, v33, v7
	;;#ASMEND
	ds_read_b128 v[16:19], v83 offset:16
	ds_read_b128 v[26:29], v82 offset:9232
	ds_read_b128 v[30:33], v82 offset:9488
	ds_read_b128 v[34:37], v83 offset:4624
	s_waitcnt lgkmcnt(2)
	;;#ASMSTART
	v_dot2_f32_f16 v9, v16, v26, v9
	;;#ASMEND
	;;#ASMSTART
	v_dot2_f32_f16 v9, v17, v27, v9
	;;#ASMEND
	;;#ASMSTART
	v_dot2_f32_f16 v9, v18, v28, v9
	;;#ASMEND
	;;#ASMSTART
	v_dot2_f32_f16 v9, v19, v29, v9
	;;#ASMEND
	s_waitcnt lgkmcnt(1)
	;;#ASMSTART
	v_dot2_f32_f16 v10, v16, v30, v10
	;;#ASMEND
	;;#ASMSTART
	v_dot2_f32_f16 v10, v17, v31, v10
	;;#ASMEND
	;;#ASMSTART
	v_dot2_f32_f16 v10, v18, v32, v10
	;;#ASMEND
	;;#ASMSTART
	v_dot2_f32_f16 v10, v19, v33, v10
	;;#ASMEND
	s_waitcnt lgkmcnt(0)
	;;#ASMSTART
	v_dot2_f32_f16 v8, v34, v26, v8
	;;#ASMEND
	;;#ASMSTART
	v_dot2_f32_f16 v8, v35, v27, v8
	;;#ASMEND
	;;#ASMSTART
	v_dot2_f32_f16 v8, v36, v28, v8
	;;#ASMEND
	;;#ASMSTART
	v_dot2_f32_f16 v8, v37, v29, v8
	;;#ASMEND
	;;#ASMSTART
	v_dot2_f32_f16 v7, v34, v30, v7
	;;#ASMEND
	;;#ASMSTART
	v_dot2_f32_f16 v7, v35, v31, v7
	;;#ASMEND
	;;#ASMSTART
	v_dot2_f32_f16 v7, v36, v32, v7
	;;#ASMEND
	;;#ASMSTART
	v_dot2_f32_f16 v7, v37, v33, v7
	;;#ASMEND
	ds_read_b128 v[16:19], v83 offset:32
	ds_read_b128 v[26:29], v82 offset:9248
	ds_read_b128 v[30:33], v82 offset:9504
	ds_read_b128 v[34:37], v83 offset:4640
	;; [unrolled: 55-line block ×7, first 2 shown]
	s_waitcnt lgkmcnt(2)
	;;#ASMSTART
	v_dot2_f32_f16 v9, v16, v26, v9
	;;#ASMEND
	;;#ASMSTART
	v_dot2_f32_f16 v9, v17, v27, v9
	;;#ASMEND
	;;#ASMSTART
	v_dot2_f32_f16 v9, v18, v28, v9
	;;#ASMEND
	;;#ASMSTART
	v_dot2_f32_f16 v9, v19, v29, v9
	;;#ASMEND
	s_waitcnt lgkmcnt(1)
	;;#ASMSTART
	v_dot2_f32_f16 v10, v16, v30, v10
	;;#ASMEND
	;;#ASMSTART
	v_dot2_f32_f16 v10, v17, v31, v10
	;;#ASMEND
	;;#ASMSTART
	v_dot2_f32_f16 v10, v18, v32, v10
	;;#ASMEND
	;;#ASMSTART
	v_dot2_f32_f16 v10, v19, v33, v10
	;;#ASMEND
	;; [unrolled: 13-line block ×3, first 2 shown]
	;;#ASMSTART
	v_dot2_f32_f16 v7, v34, v30, v7
	;;#ASMEND
	;;#ASMSTART
	v_dot2_f32_f16 v7, v35, v31, v7
	;;#ASMEND
	;; [unrolled: 3-line block ×4, first 2 shown]
	s_barrier
	buffer_gl0_inv
	buffer_store_dword v6, off, s[0:3], 0
	buffer_store_dword v6, off, s[0:3], 0 offset:4
	buffer_store_dword v6, off, s[0:3], 0 offset:8
	;; [unrolled: 1-line block ×3, first 2 shown]
	flat_load_dwordx4 v[16:19], v[12:13]
	buffer_store_dword v6, off, s[0:3], 0
	buffer_store_dword v6, off, s[0:3], 0 offset:4
	buffer_store_dword v6, off, s[0:3], 0 offset:8
	;; [unrolled: 1-line block ×3, first 2 shown]
	s_waitcnt vmcnt(0) lgkmcnt(0)
	ds_write_b128 v2, v[16:19]
	flat_load_dwordx4 v[16:19], v[3:4]
	v_add_co_u32 v3, vcc_lo, 0x80, v5
	v_add_co_ci_u32_e64 v4, null, 0, v11, vcc_lo
	buffer_store_dword v6, off, s[0:3], 0
	buffer_store_dword v6, off, s[0:3], 0 offset:4
	buffer_store_dword v6, off, s[0:3], 0 offset:8
	;; [unrolled: 1-line block ×3, first 2 shown]
	v_cndmask_b32_e64 v3, 0, v3, s6
	v_cndmask_b32_e64 v4, s13, v4, s6
	v_cmp_gt_i32_e64 s6, s16, v0
	s_waitcnt vmcnt(0) lgkmcnt(0)
	ds_write_b128 v2, v[16:19] offset:2304
	flat_load_dwordx4 v[16:19], v[3:4]
	v_add_co_u32 v3, vcc_lo, 0x80, v14
	v_add_co_ci_u32_e64 v4, null, 0, v15, vcc_lo
	buffer_store_dword v6, off, s[0:3], 0
	buffer_store_dword v6, off, s[0:3], 0 offset:4
	buffer_store_dword v6, off, s[0:3], 0 offset:8
	;; [unrolled: 1-line block ×3, first 2 shown]
	v_cndmask_b32_e64 v3, 0, v3, s8
	v_cndmask_b32_e64 v4, s13, v4, s8
	s_cselect_b32 s8, -1, 0
	s_waitcnt vmcnt(0) lgkmcnt(0)
	ds_write_b128 v2, v[16:19] offset:4608
	flat_load_dwordx4 v[11:14], v[3:4]
	s_waitcnt vmcnt(0) lgkmcnt(0)
	ds_write_b128 v2, v[11:14] offset:6912
	s_waitcnt lgkmcnt(0)
	s_waitcnt_vscnt null, 0x0
	s_barrier
	buffer_gl0_inv
	ds_read_b128 v[2:5], v83
	ds_read_b128 v[11:14], v82 offset:9344
	ds_read_b128 v[15:18], v82 offset:9600
	ds_read_b128 v[26:29], v83 offset:4608
	s_waitcnt lgkmcnt(2)
	;;#ASMSTART
	v_dot2_f32_f16 v9, v2, v11, v9
	;;#ASMEND
	;;#ASMSTART
	v_dot2_f32_f16 v9, v3, v12, v9
	;;#ASMEND
	;;#ASMSTART
	v_dot2_f32_f16 v9, v4, v13, v9
	;;#ASMEND
	;;#ASMSTART
	v_dot2_f32_f16 v9, v5, v14, v9
	;;#ASMEND
	s_waitcnt lgkmcnt(1)
	;;#ASMSTART
	v_dot2_f32_f16 v10, v2, v15, v10
	;;#ASMEND
	;;#ASMSTART
	v_dot2_f32_f16 v10, v3, v16, v10
	;;#ASMEND
	;;#ASMSTART
	v_dot2_f32_f16 v10, v4, v17, v10
	;;#ASMEND
	;;#ASMSTART
	v_dot2_f32_f16 v10, v5, v18, v10
	;;#ASMEND
	s_waitcnt lgkmcnt(0)
	;;#ASMSTART
	v_dot2_f32_f16 v8, v26, v11, v8
	;;#ASMEND
	;;#ASMSTART
	v_dot2_f32_f16 v8, v27, v12, v8
	;;#ASMEND
	;;#ASMSTART
	v_dot2_f32_f16 v8, v28, v13, v8
	;;#ASMEND
	;;#ASMSTART
	v_dot2_f32_f16 v8, v29, v14, v8
	;;#ASMEND
	;;#ASMSTART
	v_dot2_f32_f16 v7, v26, v15, v7
	;;#ASMEND
	;;#ASMSTART
	v_dot2_f32_f16 v7, v27, v16, v7
	;;#ASMEND
	;;#ASMSTART
	v_dot2_f32_f16 v7, v28, v17, v7
	;;#ASMEND
	;;#ASMSTART
	v_dot2_f32_f16 v7, v29, v18, v7
	;;#ASMEND
	ds_read_b128 v[2:5], v83 offset:16
	ds_read_b128 v[11:14], v82 offset:9360
	ds_read_b128 v[15:18], v82 offset:9616
	ds_read_b128 v[26:29], v83 offset:4624
	s_waitcnt lgkmcnt(2)
	;;#ASMSTART
	v_dot2_f32_f16 v9, v2, v11, v9
	;;#ASMEND
	;;#ASMSTART
	v_dot2_f32_f16 v9, v3, v12, v9
	;;#ASMEND
	;;#ASMSTART
	v_dot2_f32_f16 v9, v4, v13, v9
	;;#ASMEND
	;;#ASMSTART
	v_dot2_f32_f16 v9, v5, v14, v9
	;;#ASMEND
	s_waitcnt lgkmcnt(1)
	;;#ASMSTART
	v_dot2_f32_f16 v10, v2, v15, v10
	;;#ASMEND
	;;#ASMSTART
	v_dot2_f32_f16 v10, v3, v16, v10
	;;#ASMEND
	;;#ASMSTART
	v_dot2_f32_f16 v10, v4, v17, v10
	;;#ASMEND
	;;#ASMSTART
	v_dot2_f32_f16 v10, v5, v18, v10
	;;#ASMEND
	s_waitcnt lgkmcnt(0)
	;;#ASMSTART
	v_dot2_f32_f16 v8, v26, v11, v8
	;;#ASMEND
	;;#ASMSTART
	v_dot2_f32_f16 v8, v27, v12, v8
	;;#ASMEND
	;;#ASMSTART
	v_dot2_f32_f16 v8, v28, v13, v8
	;;#ASMEND
	;;#ASMSTART
	v_dot2_f32_f16 v8, v29, v14, v8
	;;#ASMEND
	;;#ASMSTART
	v_dot2_f32_f16 v7, v26, v15, v7
	;;#ASMEND
	;;#ASMSTART
	v_dot2_f32_f16 v7, v27, v16, v7
	;;#ASMEND
	;;#ASMSTART
	v_dot2_f32_f16 v7, v28, v17, v7
	;;#ASMEND
	;;#ASMSTART
	v_dot2_f32_f16 v7, v29, v18, v7
	;;#ASMEND
	ds_read_b128 v[2:5], v83 offset:32
	;; [unrolled: 55-line block ×7, first 2 shown]
	ds_read_b128 v[18:21], v82 offset:9456
	ds_read_b128 v[26:29], v82 offset:9712
	;; [unrolled: 1-line block ×3, first 2 shown]
	s_waitcnt lgkmcnt(2)
	;;#ASMSTART
	v_dot2_f32_f16 v9, v11, v18, v9
	;;#ASMEND
	;;#ASMSTART
	v_dot2_f32_f16 v9, v12, v19, v9
	;;#ASMEND
	;;#ASMSTART
	v_dot2_f32_f16 v9, v13, v20, v9
	;;#ASMEND
	;;#ASMSTART
	v_dot2_f32_f16 v9, v14, v21, v9
	;;#ASMEND
	s_waitcnt lgkmcnt(1)
	;;#ASMSTART
	v_dot2_f32_f16 v10, v11, v26, v10
	;;#ASMEND
	v_mad_u64_u32 v[4:5], null, v81, s22, s[10:11]
	;;#ASMSTART
	v_dot2_f32_f16 v10, v12, v27, v10
	;;#ASMEND
	;;#ASMSTART
	v_dot2_f32_f16 v10, v13, v28, v10
	;;#ASMEND
	v_mov_b32_e32 v2, v50
	;;#ASMSTART
	v_dot2_f32_f16 v10, v14, v29, v10
	;;#ASMEND
	s_waitcnt lgkmcnt(0)
	;;#ASMSTART
	v_dot2_f32_f16 v8, v30, v18, v8
	;;#ASMEND
	v_mov_b32_e32 v3, v51
	v_cndmask_b32_e64 v17, 0, 1, s8
	;;#ASMSTART
	v_dot2_f32_f16 v8, v31, v19, v8
	;;#ASMEND
	;;#ASMSTART
	v_dot2_f32_f16 v8, v32, v20, v8
	;;#ASMEND
	;; [unrolled: 3-line block ×7, first 2 shown]
	s_and_saveexec_b32 s7, s6
	s_cbranch_execz .LBB62_28
; %bb.25:
	s_andn2_b32 vcc_lo, exec_lo, s8
	s_cbranch_vccnz .LBB62_27
; %bb.26:
	v_add_nc_u32_e32 v2, v4, v0
	v_ashrrev_i32_e32 v3, 31, v2
	v_lshlrev_b64 v[2:3], 1, v[2:3]
	v_add_co_u32 v2, vcc_lo, s46, v2
	v_add_co_ci_u32_e64 v3, null, s47, v3, vcc_lo
	global_load_ushort v2, v[2:3], off
	s_waitcnt vmcnt(0)
	v_cvt_f32_f16_e32 v2, v2
	v_mul_f32_e32 v6, v79, v2
.LBB62_27:
	v_add_f32_e32 v9, v9, v6
	v_max_f32_e32 v2, v50, v50
	v_add_f32_e32 v3, 0x40051340, v9
	v_max_f32_e32 v2, v2, v3
	v_mov_b32_e32 v3, v51
.LBB62_28:
	s_or_b32 exec_lo, exec_lo, s7
	v_add_nc_u32_e32 v20, 32, v0
	v_cmp_gt_i32_e64 s7, s16, v20
	s_and_saveexec_b32 s8, s7
	s_cbranch_execz .LBB62_33
; %bb.29:
	v_cmp_ne_u32_e32 vcc_lo, 1, v17
	s_cbranch_vccnz .LBB62_31
; %bb.30:
	v_ashrrev_i32_e32 v5, 31, v4
	v_add_co_u32 v4, vcc_lo, v4, v0
	v_add_co_ci_u32_e64 v5, null, 0, v5, vcc_lo
	v_lshlrev_b64 v[4:5], 1, v[4:5]
	v_add_co_u32 v4, vcc_lo, s46, v4
	v_add_co_ci_u32_e64 v5, null, s47, v5, vcc_lo
	global_load_ushort v4, v[4:5], off offset:64
	s_waitcnt vmcnt(0)
	v_cvt_f32_f16_e32 v4, v4
	v_mul_f32_e32 v4, v79, v4
	s_branch .LBB62_32
.LBB62_31:
	v_mov_b32_e32 v4, 0
.LBB62_32:
	v_add_f32_e32 v8, v8, v4
	v_max_f32_e32 v2, v2, v2
	v_add_f32_e32 v4, 0x40051340, v8
	v_max_f32_e32 v2, v2, v4
.LBB62_33:
	s_or_b32 exec_lo, exec_lo, s8
	v_xor_b32_e32 v12, 16, v73
	v_xor_b32_e32 v11, 8, v73
	v_max_f32_e32 v13, v2, v2
	v_mul_hi_u32 v26, s28, v40
	v_cmp_gt_i32_e32 vcc_lo, 32, v12
	v_cndmask_b32_e32 v4, v73, v12, vcc_lo
	v_cmp_gt_i32_e32 vcc_lo, 32, v11
	v_lshlrev_b32_e32 v6, 2, v4
	v_cndmask_b32_e32 v5, v73, v11, vcc_lo
	ds_bpermute_b32 v4, v6, v2
	v_lshlrev_b32_e32 v2, 2, v5
	s_waitcnt lgkmcnt(0)
	v_max_f32_e32 v4, v4, v4
	v_max_f32_e32 v4, v13, v4
	v_xor_b32_e32 v13, 4, v73
	ds_bpermute_b32 v5, v2, v4
	v_cmp_gt_i32_e32 vcc_lo, 32, v13
	v_cndmask_b32_e32 v14, v73, v13, vcc_lo
	v_lshlrev_b32_e32 v18, 2, v14
	v_xor_b32_e32 v14, 2, v73
	v_cmp_gt_i32_e32 vcc_lo, 32, v14
	s_waitcnt lgkmcnt(0)
	v_max_f32_e32 v5, v5, v5
	v_cndmask_b32_e32 v15, v73, v14, vcc_lo
	v_max_f32_e32 v4, v4, v5
	v_lshlrev_b32_e32 v19, 2, v15
	v_xor_b32_e32 v15, 1, v73
	ds_bpermute_b32 v5, v18, v4
	v_cmp_gt_i32_e32 vcc_lo, 32, v15
	v_cndmask_b32_e32 v16, v73, v15, vcc_lo
	v_lshlrev_b32_e32 v21, 2, v16
	v_mov_b32_e32 v16, 32
	s_waitcnt lgkmcnt(0)
	v_max_f32_e32 v5, v5, v5
	v_max_f32_e32 v4, v4, v5
	ds_bpermute_b32 v5, v19, v4
	s_waitcnt lgkmcnt(0)
	v_max_f32_e32 v5, v5, v5
	v_max_f32_e32 v27, v4, v5
	v_add_nc_u32_e32 v4, v40, v26
	ds_bpermute_b32 v5, v21, v27
	v_lshrrev_b32_e32 v4, s29, v4
	v_mul_lo_u32 v4, v4, s30
	v_sub_nc_u32_e32 v4, v40, v4
	s_waitcnt lgkmcnt(0)
	v_max_f32_e32 v26, v5, v5
	v_mad_u64_u32 v[4:5], null, v4, s22, s[10:11]
	v_max_f32_e32 v5, v27, v26
	s_and_saveexec_b32 s8, s6
	s_cbranch_execz .LBB62_38
; %bb.34:
	v_cmp_ne_u32_e32 vcc_lo, 1, v17
	s_cbranch_vccnz .LBB62_36
; %bb.35:
	v_add_nc_u32_e32 v26, v4, v0
	v_ashrrev_i32_e32 v27, 31, v26
	v_lshlrev_b64 v[26:27], 1, v[26:27]
	v_add_co_u32 v26, vcc_lo, s46, v26
	v_add_co_ci_u32_e64 v27, null, s47, v27, vcc_lo
	global_load_ushort v26, v[26:27], off
	s_waitcnt vmcnt(0)
	v_cvt_f32_f16_e32 v26, v26
	v_mul_f32_e32 v26, v79, v26
	s_branch .LBB62_37
.LBB62_36:
	v_mov_b32_e32 v26, 0
.LBB62_37:
	v_add_f32_e32 v10, v10, v26
	v_max_f32_e32 v3, v3, v3
	v_add_f32_e32 v26, 0x40051340, v10
	v_max_f32_e32 v3, v3, v26
.LBB62_38:
	s_or_b32 exec_lo, exec_lo, s8
	s_and_saveexec_b32 s6, s7
	s_cbranch_execz .LBB62_43
; %bb.39:
	v_cmp_ne_u32_e32 vcc_lo, 1, v17
	s_cbranch_vccnz .LBB62_41
; %bb.40:
	v_ashrrev_i32_e32 v17, 31, v4
	v_add_co_u32 v26, vcc_lo, v4, v0
	v_add_co_ci_u32_e64 v27, null, 0, v17, vcc_lo
	v_lshlrev_b64 v[26:27], 1, v[26:27]
	v_add_co_u32 v26, vcc_lo, s46, v26
	v_add_co_ci_u32_e64 v27, null, s47, v27, vcc_lo
	global_load_ushort v4, v[26:27], off offset:64
	s_waitcnt vmcnt(0)
	v_cvt_f32_f16_e32 v4, v4
	v_mul_f32_e32 v4, v79, v4
	s_branch .LBB62_42
.LBB62_41:
	v_mov_b32_e32 v4, 0
.LBB62_42:
	v_add_f32_e32 v7, v7, v4
	v_max_f32_e32 v3, v3, v3
	v_add_f32_e32 v4, 0x40051340, v7
	v_max_f32_e32 v3, v3, v4
.LBB62_43:
	s_or_b32 exec_lo, exec_lo, s6
	ds_bpermute_b32 v4, v6, v3
	v_max_f32_e32 v3, v3, v3
	s_waitcnt lgkmcnt(0)
	s_barrier
	buffer_gl0_inv
	v_add_nc_u32_e32 v29, v39, v85
	s_mov_b64 s[12:13], src_private_base
	s_lshl_b32 s12, s19, 3
	v_lshlrev_b32_e32 v28, 2, v38
	v_mov_b32_e32 v30, 0
	v_add_nc_u32_e32 v31, 8, v29
	v_add_nc_u32_e32 v33, 16, v29
	v_lshl_or_b32 v32, v29, 8, v28
	v_lshl_or_b32 v34, v31, 8, v28
	v_max_f32_e32 v4, v4, v4
	v_max_f32_e32 v3, v3, v4
	ds_bpermute_b32 v2, v2, v3
	s_waitcnt lgkmcnt(0)
	v_max_f32_e32 v2, v2, v2
	v_max_f32_e32 v2, v3, v2
	ds_bpermute_b32 v3, v18, v2
	s_waitcnt lgkmcnt(0)
	v_max_f32_e32 v3, v3, v3
	v_max_f32_e32 v2, v2, v3
	ds_bpermute_b32 v3, v19, v2
	v_lshlrev_b32_e32 v19, 8, v1
	v_add_nc_u32_e32 v1, 0x2c00, v19
	s_waitcnt lgkmcnt(0)
	v_max_f32_e32 v3, v3, v3
	v_max_f32_e32 v2, v2, v3
	ds_bpermute_b32 v3, v21, v2
	s_waitcnt lgkmcnt(0)
	v_max_f32_e32 v3, v3, v3
	v_max_f32_e32 v6, v2, v3
	v_sub_f32_e32 v2, v9, v5
	v_sub_f32_e32 v46, v51, v6
	v_mul_f32_e32 v3, 0x3fb8aa3b, v2
	v_cmp_ngt_f32_e32 vcc_lo, 0xc2ce8ed0, v2
	v_cmp_nlt_f32_e64 s6, 0x42b17218, v2
	v_fma_f32 v4, 0x3fb8aa3b, v2, -v3
	v_fmac_f32_e32 v4, 0x32a5705f, v2
	v_rndne_f32_e32 v2, v3
	v_sub_f32_e32 v3, v3, v2
	v_cvt_i32_f32_e32 v2, v2
	v_add_f32_e32 v3, v3, v4
	v_sub_f32_e32 v4, v10, v6
	v_exp_f32_e32 v3, v3
	v_mul_f32_e32 v9, 0x3fb8aa3b, v4
	v_cmp_ngt_f32_e64 s7, 0xc2ce8ed0, v4
	v_cmp_nlt_f32_e64 s8, 0x42b17218, v4
	v_fma_f32 v10, 0x3fb8aa3b, v4, -v9
	v_rndne_f32_e32 v17, v9
	v_ldexp_f32 v2, v3, v2
	v_fmac_f32_e32 v10, 0x32a5705f, v4
	v_sub_f32_e32 v9, v9, v17
	v_cndmask_b32_e32 v2, 0, v2, vcc_lo
	v_cmp_gt_u32_e32 vcc_lo, s16, v0
	v_add_f32_e32 v9, v9, v10
	v_cndmask_b32_e64 v2, 0x7f800000, v2, s6
	v_exp_f32_e32 v3, v9
	v_cvt_i32_f32_e32 v9, v17
	v_cndmask_b32_e32 v18, 0, v2, vcc_lo
	v_cvt_f16_f32_e32 v2, v18
	v_ldexp_f32 v3, v3, v9
	v_cndmask_b32_e64 v3, 0, v3, s7
	v_cndmask_b32_e64 v3, 0x7f800000, v3, s8
	v_cndmask_b32_e32 v17, 0, v3, vcc_lo
	v_cmp_gt_u32_e32 vcc_lo, s16, v20
	v_cvt_f16_f32_e32 v3, v17
	v_pack_b32_f16 v2, v2, v3
	v_add_nc_u32_e32 v3, v1, v72
	v_lshl_add_u32 v1, v20, 2, v1
	ds_write_b32 v3, v2
	v_sub_f32_e32 v2, v8, v5
	v_mul_f32_e32 v3, 0x3fb8aa3b, v2
	v_cmp_ngt_f32_e64 s6, 0xc2ce8ed0, v2
	v_cmp_nlt_f32_e64 s7, 0x42b17218, v2
	v_fma_f32 v4, 0x3fb8aa3b, v2, -v3
	v_fmac_f32_e32 v4, 0x32a5705f, v2
	v_rndne_f32_e32 v2, v3
	v_sub_f32_e32 v3, v3, v2
	v_cvt_i32_f32_e32 v2, v2
	v_add_f32_e32 v3, v3, v4
	v_sub_f32_e32 v4, v7, v6
	v_exp_f32_e32 v3, v3
	v_mul_f32_e32 v7, 0x3fb8aa3b, v4
	v_cmp_ngt_f32_e64 s8, 0xc2ce8ed0, v4
	v_cmp_nlt_f32_e64 s9, 0x42b17218, v4
	v_fma_f32 v8, 0x3fb8aa3b, v4, -v7
	v_rndne_f32_e32 v9, v7
	v_ldexp_f32 v2, v3, v2
	v_fmac_f32_e32 v8, 0x32a5705f, v4
	v_sub_f32_e32 v7, v7, v9
	v_cndmask_b32_e64 v2, 0, v2, s6
	s_mul_i32 s6, s10, s19
	v_add_f32_e32 v7, v7, v8
	v_cndmask_b32_e64 v2, 0x7f800000, v2, s7
	s_mul_hi_i32 s7, s10, s19
	v_exp_f32_e32 v3, v7
	v_cvt_i32_f32_e32 v7, v9
	v_mul_lo_u32 v9, s19, v29
	v_cndmask_b32_e32 v21, 0, v2, vcc_lo
	s_lshl_b64 s[6:7], s[6:7], 2
	v_cvt_f16_f32_e32 v2, v21
	v_add_f32_e32 v18, v18, v21
	v_ldexp_f32 v3, v3, v7
	v_ashrrev_i32_e32 v10, 31, v9
	v_cndmask_b32_e64 v3, 0, v3, s8
	v_lshlrev_b64 v[7:8], 2, v[9:10]
	v_cndmask_b32_e64 v3, 0x7f800000, v3, s9
	s_add_u32 s9, s14, s6
	s_addc_u32 s8, s11, s7
	v_cndmask_b32_e32 v20, 0, v3, vcc_lo
	v_cmp_gt_i32_e32 vcc_lo, s16, v29
	v_cvt_f16_f32_e32 v3, v20
	v_add_f32_e32 v17, v17, v20
	v_pack_b32_f16 v2, v2, v3
	ds_write_b32 v1, v2
	v_add_co_u32 v1, s6, s9, v7
	v_add_co_ci_u32_e64 v2, null, s8, v8, s6
	buffer_store_dword v30, off, s[0:3], 0
	buffer_store_dword v30, off, s[0:3], 0 offset:4
	buffer_store_dword v30, off, s[0:3], 0 offset:8
	;; [unrolled: 1-line block ×3, first 2 shown]
	v_add_co_u32 v1, s7, v1, v28
	v_add_co_ci_u32_e64 v2, null, 0, v2, s7
	v_cndmask_b32_e32 v1, 0, v1, vcc_lo
	v_cndmask_b32_e32 v2, s13, v2, vcc_lo
	v_cmp_gt_i32_e32 vcc_lo, s16, v31
	flat_load_dwordx4 v[1:4], v[1:2]
	s_waitcnt vmcnt(0) lgkmcnt(0)
	ds_write_b128 v32, v[1:4]
	v_add_nc_u32_e32 v3, s12, v9
	buffer_store_dword v30, off, s[0:3], 0
	buffer_store_dword v30, off, s[0:3], 0 offset:4
	buffer_store_dword v30, off, s[0:3], 0 offset:8
	;; [unrolled: 1-line block ×3, first 2 shown]
	v_ashrrev_i32_e32 v4, 31, v3
	v_lshlrev_b64 v[1:2], 2, v[3:4]
	v_add_nc_u32_e32 v3, s12, v3
	v_add_co_u32 v4, s6, s9, v1
	v_add_co_ci_u32_e64 v9, null, s8, v2, s6
	v_add_co_u32 v4, s7, v4, v28
	v_add_co_ci_u32_e64 v10, null, 0, v9, s7
	v_cndmask_b32_e32 v9, 0, v4, vcc_lo
	v_ashrrev_i32_e32 v4, 31, v3
	v_cndmask_b32_e32 v10, s13, v10, vcc_lo
	v_cmp_gt_i32_e32 vcc_lo, s16, v33
	flat_load_dwordx4 v[35:38], v[9:10]
	v_lshlrev_b64 v[9:10], 2, v[3:4]
	v_add_nc_u32_e32 v3, s12, v3
	v_add_co_u32 v4, s6, s9, v9
	v_add_co_ci_u32_e64 v26, null, s8, v10, s6
	v_add_co_u32 v4, s7, v4, v28
	v_add_co_ci_u32_e64 v27, null, 0, v26, s7
	v_cndmask_b32_e32 v26, 0, v4, vcc_lo
	v_ashrrev_i32_e32 v4, 31, v3
	v_cndmask_b32_e32 v27, s13, v27, vcc_lo
	v_lshlrev_b64 v[3:4], 2, v[3:4]
	s_waitcnt vmcnt(0) lgkmcnt(0)
	ds_write_b128 v34, v[35:38]
	buffer_store_dword v30, off, s[0:3], 0
	buffer_store_dword v30, off, s[0:3], 0 offset:4
	buffer_store_dword v30, off, s[0:3], 0 offset:8
	;; [unrolled: 1-line block ×3, first 2 shown]
	flat_load_dwordx4 v[38:41], v[26:27]
	v_add_co_u32 v26, s6, s9, v3
	v_add_nc_u32_e32 v35, 24, v29
	v_add_co_ci_u32_e64 v27, null, s8, v4, s6
	v_add_co_u32 v26, s7, v26, v28
	v_cmp_gt_i32_e32 vcc_lo, s16, v35
	v_add_co_ci_u32_e64 v27, null, 0, v27, s7
	v_lshl_or_b32 v37, v33, 8, v28
	v_lshl_or_b32 v36, v35, 8, v28
	v_cndmask_b32_e32 v26, 0, v26, vcc_lo
	v_cndmask_b32_e32 v27, s13, v27, vcc_lo
	s_waitcnt vmcnt(0) lgkmcnt(0)
	ds_write_b128 v37, v[38:41]
	buffer_store_dword v30, off, s[0:3], 0
	buffer_store_dword v30, off, s[0:3], 0 offset:4
	buffer_store_dword v30, off, s[0:3], 0 offset:8
	buffer_store_dword v30, off, s[0:3], 0 offset:12
	flat_load_dwordx4 v[38:41], v[26:27]
	v_sub_f32_e32 v26, v50, v5
	v_mul_f32_e32 v27, 0x3fb8aa3b, v26
	v_cmp_ngt_f32_e32 vcc_lo, 0xc2ce8ed0, v26
	v_cmp_nlt_f32_e64 s6, 0x42b17218, v26
	s_waitcnt vmcnt(0) lgkmcnt(0)
	ds_write_b128 v36, v[38:41]
	v_fma_f32 v38, 0x3fb8aa3b, v26, -v27
	v_rndne_f32_e32 v39, v27
	s_waitcnt lgkmcnt(0)
	s_waitcnt_vscnt null, 0x0
	s_barrier
	buffer_gl0_inv
	v_fmac_f32_e32 v38, 0x32a5705f, v26
	v_sub_f32_e32 v27, v27, v39
	ds_read2_b64 v[42:45], v74 offset1:32
	v_add_f32_e32 v27, v27, v38
	v_exp_f32_e32 v26, v27
	v_cvt_i32_f32_e32 v27, v39
	v_ldexp_f32 v26, v26, v27
	v_mul_f32_e32 v27, 0x3fb8aa3b, v46
	v_cndmask_b32_e32 v26, 0, v26, vcc_lo
	v_fma_f32 v38, 0x3fb8aa3b, v46, -v27
	v_rndne_f32_e32 v47, v27
	v_cmp_ngt_f32_e32 vcc_lo, 0xc2ce8ed0, v46
	v_cndmask_b32_e64 v26, 0x7f800000, v26, s6
	v_fmac_f32_e32 v38, 0x32a5705f, v46
	v_sub_f32_e32 v27, v27, v47
	v_cvt_i32_f32_e32 v47, v47
	v_cmp_nlt_f32_e64 s6, 0x42b17218, v46
	v_fmac_f32_e32 v18, v76, v26
	v_add_f32_e32 v48, v27, v38
	v_mov_b32_e32 v27, 0x10001
	v_cvt_f16_f32_e32 v38, v26
	v_mov_b32_e32 v76, v18
	v_mul_u32_u24_sdwa v49, v38, v27 dst_sel:DWORD dst_unused:UNUSED_PAD src0_sel:WORD_0 src1_sel:DWORD
	ds_read_b128 v[38:41], v19 offset:11264
	v_pk_mul_f16 v25, v25, v49
	s_waitcnt lgkmcnt(0)
	v_mul_u32_u24_sdwa v50, v38, v27 dst_sel:DWORD dst_unused:UNUSED_PAD src0_sel:WORD_0 src1_sel:DWORD
	v_mul_u32_u24_sdwa v38, v38, v27 dst_sel:DWORD dst_unused:UNUSED_PAD src0_sel:WORD_1 src1_sel:DWORD
	v_pk_mul_f16 v51, v42, v50
	v_pk_mul_f16 v42, v42, v38
	v_pk_fma_f16 v25, v43, v50, v25
	v_pk_fma_f16 v51, v23, v49, v51
	v_exp_f32_e32 v23, v48
	v_ldexp_f32 v23, v23, v47
	v_cndmask_b32_e32 v23, 0, v23, vcc_lo
	v_cndmask_b32_e64 v23, 0x7f800000, v23, s6
	s_or_b32 s6, s10, 32
	s_mul_hi_i32 s7, s6, s19
	s_mul_i32 s6, s6, s19
	v_cvt_f16_f32_e32 v46, v23
	s_lshl_b64 s[6:7], s[6:7], 2
	v_fmac_f32_e32 v17, v75, v23
	s_add_u32 s8, s14, s6
	s_addc_u32 s7, s11, s7
	v_mul_u32_u24_sdwa v46, v46, v27 dst_sel:DWORD dst_unused:UNUSED_PAD src0_sel:WORD_0 src1_sel:DWORD
	v_add_co_u32 v7, vcc_lo, s8, v7
	v_add_co_ci_u32_e64 v8, null, s7, v8, vcc_lo
	v_pk_mul_f16 v24, v24, v46
	v_pk_fma_f16 v22, v22, v46, v42
	v_mul_u32_u24_sdwa v46, v41, v27 dst_sel:DWORD dst_unused:UNUSED_PAD src0_sel:WORD_1 src1_sel:DWORD
	s_sub_i32 s9, s16, 32
	v_add_co_u32 v7, s6, v7, v28
	v_pk_fma_f16 v24, v43, v38, v24
	v_mul_u32_u24_sdwa v38, v39, v27 dst_sel:DWORD dst_unused:UNUSED_PAD src0_sel:WORD_0 src1_sel:DWORD
	v_mul_u32_u24_sdwa v43, v40, v27 dst_sel:DWORD dst_unused:UNUSED_PAD src0_sel:WORD_0 src1_sel:DWORD
	v_cmp_gt_i32_e32 vcc_lo, s9, v29
	v_add_co_ci_u32_e64 v8, null, 0, v8, s6
	v_pk_fma_f16 v25, v45, v38, v25
	v_pk_fma_f16 v42, v44, v38, v51
	v_mul_u32_u24_sdwa v38, v39, v27 dst_sel:DWORD dst_unused:UNUSED_PAD src0_sel:WORD_1 src1_sel:DWORD
	v_cndmask_b32_e32 v7, 0, v7, vcc_lo
	v_cndmask_b32_e32 v8, s13, v8, vcc_lo
	v_add_co_u32 v1, vcc_lo, s8, v1
	v_pk_fma_f16 v24, v45, v38, v24
	v_pk_fma_f16 v22, v44, v38, v22
	v_mul_u32_u24_sdwa v44, v40, v27 dst_sel:DWORD dst_unused:UNUSED_PAD src0_sel:WORD_1 src1_sel:DWORD
	v_mul_u32_u24_sdwa v45, v41, v27 dst_sel:DWORD dst_unused:UNUSED_PAD src0_sel:WORD_0 src1_sel:DWORD
	ds_read2_b64 v[38:41], v74 offset0:64 offset1:96
	v_add_co_ci_u32_e64 v2, null, s7, v2, vcc_lo
	v_add_co_u32 v1, s6, v1, v28
	v_cmp_gt_i32_e32 vcc_lo, s9, v31
	v_add_co_ci_u32_e64 v2, null, 0, v2, s6
	v_mov_b32_e32 v75, v17
	v_cndmask_b32_e32 v1, 0, v1, vcc_lo
	v_cndmask_b32_e32 v2, s13, v2, vcc_lo
	s_waitcnt lgkmcnt(0)
	v_pk_fma_f16 v25, v39, v43, v25
	v_pk_fma_f16 v42, v38, v43, v42
	;; [unrolled: 1-line block ×8, first 2 shown]
	ds_read_b128 v[38:41], v19 offset:11280
	ds_read2_b64 v[42:45], v74 offset0:128 offset1:160
	s_waitcnt lgkmcnt(1)
	v_mul_u32_u24_sdwa v46, v38, v27 dst_sel:DWORD dst_unused:UNUSED_PAD src0_sel:WORD_0 src1_sel:DWORD
	v_mul_u32_u24_sdwa v38, v38, v27 dst_sel:DWORD dst_unused:UNUSED_PAD src0_sel:WORD_1 src1_sel:DWORD
	s_waitcnt lgkmcnt(0)
	v_pk_fma_f16 v25, v43, v46, v25
	v_pk_fma_f16 v46, v42, v46, v47
	;; [unrolled: 1-line block ×4, first 2 shown]
	v_mul_u32_u24_sdwa v38, v39, v27 dst_sel:DWORD dst_unused:UNUSED_PAD src0_sel:WORD_0 src1_sel:DWORD
	v_mul_u32_u24_sdwa v43, v40, v27 dst_sel:DWORD dst_unused:UNUSED_PAD src0_sel:WORD_0 src1_sel:DWORD
	v_pk_fma_f16 v25, v45, v38, v25
	v_pk_fma_f16 v42, v44, v38, v46
	v_mul_u32_u24_sdwa v38, v39, v27 dst_sel:DWORD dst_unused:UNUSED_PAD src0_sel:WORD_1 src1_sel:DWORD
	v_mul_u32_u24_sdwa v46, v41, v27 dst_sel:DWORD dst_unused:UNUSED_PAD src0_sel:WORD_1 src1_sel:DWORD
	v_pk_fma_f16 v24, v45, v38, v24
	v_pk_fma_f16 v22, v44, v38, v22
	v_mul_u32_u24_sdwa v44, v40, v27 dst_sel:DWORD dst_unused:UNUSED_PAD src0_sel:WORD_1 src1_sel:DWORD
	v_mul_u32_u24_sdwa v45, v41, v27 dst_sel:DWORD dst_unused:UNUSED_PAD src0_sel:WORD_0 src1_sel:DWORD
	ds_read2_b64 v[38:41], v74 offset0:192 offset1:224
	s_waitcnt lgkmcnt(0)
	v_pk_fma_f16 v25, v39, v43, v25
	v_pk_fma_f16 v42, v38, v43, v42
	;; [unrolled: 1-line block ×8, first 2 shown]
	v_add_nc_u32_e32 v22, 0x800, v74
	ds_read_b128 v[38:41], v19 offset:11296
	ds_read2_b64 v[42:45], v22 offset1:32
	s_waitcnt lgkmcnt(1)
	v_mul_u32_u24_sdwa v48, v38, v27 dst_sel:DWORD dst_unused:UNUSED_PAD src0_sel:WORD_0 src1_sel:DWORD
	v_mul_u32_u24_sdwa v38, v38, v27 dst_sel:DWORD dst_unused:UNUSED_PAD src0_sel:WORD_1 src1_sel:DWORD
	s_waitcnt lgkmcnt(0)
	v_pk_fma_f16 v25, v43, v48, v25
	v_pk_fma_f16 v47, v42, v48, v47
	;; [unrolled: 1-line block ×4, first 2 shown]
	v_mul_u32_u24_sdwa v42, v39, v27 dst_sel:DWORD dst_unused:UNUSED_PAD src0_sel:WORD_0 src1_sel:DWORD
	v_mul_u32_u24_sdwa v39, v39, v27 dst_sel:DWORD dst_unused:UNUSED_PAD src0_sel:WORD_1 src1_sel:DWORD
	v_mul_u32_u24_sdwa v46, v41, v27 dst_sel:DWORD dst_unused:UNUSED_PAD src0_sel:WORD_0 src1_sel:DWORD
	v_pk_fma_f16 v25, v45, v42, v25
	v_pk_fma_f16 v42, v44, v42, v47
	;; [unrolled: 1-line block ×4, first 2 shown]
	v_mul_u32_u24_sdwa v44, v40, v27 dst_sel:DWORD dst_unused:UNUSED_PAD src0_sel:WORD_0 src1_sel:DWORD
	v_mul_u32_u24_sdwa v45, v40, v27 dst_sel:DWORD dst_unused:UNUSED_PAD src0_sel:WORD_1 src1_sel:DWORD
	v_mul_u32_u24_sdwa v47, v41, v27 dst_sel:DWORD dst_unused:UNUSED_PAD src0_sel:WORD_1 src1_sel:DWORD
	ds_read2_b64 v[38:41], v22 offset0:64 offset1:96
	s_waitcnt lgkmcnt(0)
	v_pk_fma_f16 v25, v39, v44, v25
	v_pk_fma_f16 v42, v38, v44, v42
	;; [unrolled: 1-line block ×8, first 2 shown]
	ds_read_b128 v[38:41], v19 offset:11312
	ds_read2_b64 v[42:45], v22 offset0:128 offset1:160
	s_waitcnt lgkmcnt(1)
	v_mul_u32_u24_sdwa v48, v38, v27 dst_sel:DWORD dst_unused:UNUSED_PAD src0_sel:WORD_0 src1_sel:DWORD
	v_mul_u32_u24_sdwa v38, v38, v27 dst_sel:DWORD dst_unused:UNUSED_PAD src0_sel:WORD_1 src1_sel:DWORD
	s_waitcnt lgkmcnt(0)
	v_pk_fma_f16 v25, v43, v48, v25
	v_pk_fma_f16 v46, v42, v48, v46
	;; [unrolled: 1-line block ×4, first 2 shown]
	v_mul_u32_u24_sdwa v42, v39, v27 dst_sel:DWORD dst_unused:UNUSED_PAD src0_sel:WORD_0 src1_sel:DWORD
	v_mul_u32_u24_sdwa v39, v39, v27 dst_sel:DWORD dst_unused:UNUSED_PAD src0_sel:WORD_1 src1_sel:DWORD
	v_mul_u32_u24_sdwa v47, v41, v27 dst_sel:DWORD dst_unused:UNUSED_PAD src0_sel:WORD_1 src1_sel:DWORD
	v_pk_fma_f16 v25, v45, v42, v25
	v_pk_fma_f16 v42, v44, v42, v46
	;; [unrolled: 1-line block ×4, first 2 shown]
	v_mul_u32_u24_sdwa v44, v40, v27 dst_sel:DWORD dst_unused:UNUSED_PAD src0_sel:WORD_0 src1_sel:DWORD
	v_mul_u32_u24_sdwa v45, v40, v27 dst_sel:DWORD dst_unused:UNUSED_PAD src0_sel:WORD_1 src1_sel:DWORD
	v_mul_u32_u24_sdwa v46, v41, v27 dst_sel:DWORD dst_unused:UNUSED_PAD src0_sel:WORD_0 src1_sel:DWORD
	ds_read2_b64 v[38:41], v22 offset0:192 offset1:224
	s_waitcnt lgkmcnt(0)
	v_pk_fma_f16 v25, v39, v44, v25
	v_pk_fma_f16 v42, v38, v44, v42
	;; [unrolled: 1-line block ×8, first 2 shown]
	v_add_nc_u32_e32 v25, 0x1000, v74
	ds_read_b128 v[38:41], v19 offset:11328
	ds_read2_b64 v[42:45], v25 offset1:32
	s_waitcnt lgkmcnt(1)
	v_mul_u32_u24_sdwa v49, v38, v27 dst_sel:DWORD dst_unused:UNUSED_PAD src0_sel:WORD_0 src1_sel:DWORD
	v_mul_u32_u24_sdwa v38, v38, v27 dst_sel:DWORD dst_unused:UNUSED_PAD src0_sel:WORD_1 src1_sel:DWORD
	s_waitcnt lgkmcnt(0)
	v_pk_fma_f16 v48, v43, v49, v48
	v_pk_fma_f16 v46, v42, v49, v46
	v_pk_fma_f16 v24, v43, v38, v24
	v_pk_fma_f16 v38, v42, v38, v47
	v_mul_u32_u24_sdwa v42, v39, v27 dst_sel:DWORD dst_unused:UNUSED_PAD src0_sel:WORD_0 src1_sel:DWORD
	v_mul_u32_u24_sdwa v39, v39, v27 dst_sel:DWORD dst_unused:UNUSED_PAD src0_sel:WORD_1 src1_sel:DWORD
	v_mul_u32_u24_sdwa v47, v41, v27 dst_sel:DWORD dst_unused:UNUSED_PAD src0_sel:WORD_0 src1_sel:DWORD
	v_pk_fma_f16 v43, v45, v42, v48
	v_pk_fma_f16 v42, v44, v42, v46
	;; [unrolled: 1-line block ×4, first 2 shown]
	v_mul_u32_u24_sdwa v45, v40, v27 dst_sel:DWORD dst_unused:UNUSED_PAD src0_sel:WORD_0 src1_sel:DWORD
	v_mul_u32_u24_sdwa v46, v40, v27 dst_sel:DWORD dst_unused:UNUSED_PAD src0_sel:WORD_1 src1_sel:DWORD
	v_mul_u32_u24_sdwa v48, v41, v27 dst_sel:DWORD dst_unused:UNUSED_PAD src0_sel:WORD_1 src1_sel:DWORD
	ds_read2_b64 v[38:41], v25 offset0:64 offset1:96
	s_waitcnt lgkmcnt(0)
	v_pk_fma_f16 v43, v39, v45, v43
	v_pk_fma_f16 v42, v38, v45, v42
	;; [unrolled: 1-line block ×8, first 2 shown]
	ds_read_b128 v[38:41], v19 offset:11344
	ds_read2_b64 v[42:45], v25 offset0:128 offset1:160
	s_waitcnt lgkmcnt(1)
	v_mul_u32_u24_sdwa v49, v38, v27 dst_sel:DWORD dst_unused:UNUSED_PAD src0_sel:WORD_0 src1_sel:DWORD
	v_mul_u32_u24_sdwa v38, v38, v27 dst_sel:DWORD dst_unused:UNUSED_PAD src0_sel:WORD_1 src1_sel:DWORD
	s_waitcnt lgkmcnt(0)
	v_pk_fma_f16 v46, v43, v49, v46
	v_pk_fma_f16 v47, v42, v49, v47
	;; [unrolled: 1-line block ×4, first 2 shown]
	v_mul_u32_u24_sdwa v42, v39, v27 dst_sel:DWORD dst_unused:UNUSED_PAD src0_sel:WORD_0 src1_sel:DWORD
	v_mul_u32_u24_sdwa v39, v39, v27 dst_sel:DWORD dst_unused:UNUSED_PAD src0_sel:WORD_1 src1_sel:DWORD
	v_mul_u32_u24_sdwa v48, v41, v27 dst_sel:DWORD dst_unused:UNUSED_PAD src0_sel:WORD_1 src1_sel:DWORD
	v_pk_fma_f16 v43, v45, v42, v46
	v_pk_fma_f16 v42, v44, v42, v47
	;; [unrolled: 1-line block ×4, first 2 shown]
	v_mul_u32_u24_sdwa v45, v40, v27 dst_sel:DWORD dst_unused:UNUSED_PAD src0_sel:WORD_0 src1_sel:DWORD
	v_mul_u32_u24_sdwa v46, v40, v27 dst_sel:DWORD dst_unused:UNUSED_PAD src0_sel:WORD_1 src1_sel:DWORD
	v_mul_u32_u24_sdwa v47, v41, v27 dst_sel:DWORD dst_unused:UNUSED_PAD src0_sel:WORD_0 src1_sel:DWORD
	ds_read2_b64 v[38:41], v25 offset0:192 offset1:224
	s_waitcnt lgkmcnt(0)
	v_pk_fma_f16 v43, v39, v45, v43
	v_pk_fma_f16 v42, v38, v45, v42
	;; [unrolled: 1-line block ×8, first 2 shown]
	v_add_nc_u32_e32 v24, 0x1800, v74
	ds_read_b128 v[38:41], v19 offset:11360
	ds_read2_b64 v[42:45], v24 offset1:32
	s_waitcnt lgkmcnt(1)
	v_mul_u32_u24_sdwa v50, v38, v27 dst_sel:DWORD dst_unused:UNUSED_PAD src0_sel:WORD_0 src1_sel:DWORD
	v_mul_u32_u24_sdwa v38, v38, v27 dst_sel:DWORD dst_unused:UNUSED_PAD src0_sel:WORD_1 src1_sel:DWORD
	s_waitcnt lgkmcnt(0)
	v_pk_fma_f16 v46, v43, v50, v46
	v_pk_fma_f16 v47, v42, v50, v47
	;; [unrolled: 1-line block ×4, first 2 shown]
	v_mul_u32_u24_sdwa v42, v39, v27 dst_sel:DWORD dst_unused:UNUSED_PAD src0_sel:WORD_0 src1_sel:DWORD
	v_mul_u32_u24_sdwa v39, v39, v27 dst_sel:DWORD dst_unused:UNUSED_PAD src0_sel:WORD_1 src1_sel:DWORD
	v_mul_u32_u24_sdwa v48, v41, v27 dst_sel:DWORD dst_unused:UNUSED_PAD src0_sel:WORD_0 src1_sel:DWORD
	v_mul_u32_u24_sdwa v49, v41, v27 dst_sel:DWORD dst_unused:UNUSED_PAD src0_sel:WORD_1 src1_sel:DWORD
	v_pk_fma_f16 v46, v45, v42, v46
	v_pk_fma_f16 v42, v44, v42, v47
	;; [unrolled: 1-line block ×4, first 2 shown]
	v_mul_u32_u24_sdwa v45, v40, v27 dst_sel:DWORD dst_unused:UNUSED_PAD src0_sel:WORD_0 src1_sel:DWORD
	v_mul_u32_u24_sdwa v47, v40, v27 dst_sel:DWORD dst_unused:UNUSED_PAD src0_sel:WORD_1 src1_sel:DWORD
	ds_read2_b64 v[38:41], v24 offset0:64 offset1:96
	s_waitcnt lgkmcnt(0)
	v_pk_fma_f16 v46, v39, v45, v46
	v_pk_fma_f16 v42, v38, v45, v42
	v_pk_fma_f16 v39, v39, v47, v43
	v_pk_fma_f16 v38, v38, v47, v44
	v_pk_fma_f16 v46, v41, v48, v46
	v_pk_fma_f16 v47, v40, v48, v42
	v_pk_fma_f16 v48, v41, v49, v39
	v_pk_fma_f16 v49, v40, v49, v38
	ds_read_b128 v[38:41], v19 offset:11376
	ds_read2_b64 v[42:45], v24 offset0:128 offset1:160
	s_waitcnt lgkmcnt(1)
	v_mul_u32_u24_sdwa v50, v38, v27 dst_sel:DWORD dst_unused:UNUSED_PAD src0_sel:WORD_0 src1_sel:DWORD
	v_mul_u32_u24_sdwa v38, v38, v27 dst_sel:DWORD dst_unused:UNUSED_PAD src0_sel:WORD_1 src1_sel:DWORD
	s_waitcnt lgkmcnt(0)
	v_pk_fma_f16 v46, v43, v50, v46
	v_pk_fma_f16 v47, v42, v50, v47
	;; [unrolled: 1-line block ×4, first 2 shown]
	v_mul_u32_u24_sdwa v42, v39, v27 dst_sel:DWORD dst_unused:UNUSED_PAD src0_sel:WORD_0 src1_sel:DWORD
	v_mul_u32_u24_sdwa v39, v39, v27 dst_sel:DWORD dst_unused:UNUSED_PAD src0_sel:WORD_1 src1_sel:DWORD
	v_mul_u32_u24_sdwa v48, v41, v27 dst_sel:DWORD dst_unused:UNUSED_PAD src0_sel:WORD_0 src1_sel:DWORD
	v_mul_u32_u24_sdwa v49, v41, v27 dst_sel:DWORD dst_unused:UNUSED_PAD src0_sel:WORD_1 src1_sel:DWORD
	v_mov_b32_e32 v51, v6
	v_pk_fma_f16 v46, v45, v42, v46
	v_pk_fma_f16 v47, v44, v42, v47
	;; [unrolled: 1-line block ×4, first 2 shown]
	v_mul_u32_u24_sdwa v39, v40, v27 dst_sel:DWORD dst_unused:UNUSED_PAD src0_sel:WORD_0 src1_sel:DWORD
	v_mul_u32_u24_sdwa v44, v40, v27 dst_sel:DWORD dst_unused:UNUSED_PAD src0_sel:WORD_1 src1_sel:DWORD
	ds_read2_b64 v[40:43], v24 offset0:192 offset1:224
	s_waitcnt lgkmcnt(0)
	s_barrier
	buffer_gl0_inv
	buffer_store_dword v30, off, s[0:3], 0
	buffer_store_dword v30, off, s[0:3], 0 offset:4
	buffer_store_dword v30, off, s[0:3], 0 offset:8
	;; [unrolled: 1-line block ×3, first 2 shown]
	v_mov_b32_e32 v50, v5
	v_pk_fma_f16 v46, v41, v39, v46
	v_pk_fma_f16 v47, v40, v39, v47
	;; [unrolled: 1-line block ×8, first 2 shown]
	flat_load_dwordx4 v[42:45], v[7:8]
	s_waitcnt vmcnt(0) lgkmcnt(0)
	ds_write_b128 v32, v[42:45]
	buffer_store_dword v30, off, s[0:3], 0
	buffer_store_dword v30, off, s[0:3], 0 offset:4
	buffer_store_dword v30, off, s[0:3], 0 offset:8
	;; [unrolled: 1-line block ×3, first 2 shown]
	flat_load_dwordx4 v[42:45], v[1:2]
	v_add_co_u32 v1, vcc_lo, s8, v9
	v_add_co_ci_u32_e64 v2, null, s7, v10, vcc_lo
	v_cmp_gt_i32_e32 vcc_lo, s9, v33
	v_add_co_u32 v1, s6, v1, v28
	v_add_co_ci_u32_e64 v2, null, 0, v2, s6
	v_cndmask_b32_e32 v1, 0, v1, vcc_lo
	v_cndmask_b32_e32 v2, s13, v2, vcc_lo
	s_waitcnt vmcnt(0) lgkmcnt(0)
	ds_write_b128 v34, v[42:45]
	buffer_store_dword v30, off, s[0:3], 0
	buffer_store_dword v30, off, s[0:3], 0 offset:4
	buffer_store_dword v30, off, s[0:3], 0 offset:8
	;; [unrolled: 1-line block ×3, first 2 shown]
	flat_load_dwordx4 v[7:10], v[1:2]
	v_add_co_u32 v1, vcc_lo, s8, v3
	v_add_co_ci_u32_e64 v2, null, s7, v4, vcc_lo
	v_cmp_gt_i32_e32 vcc_lo, s9, v35
	v_add_co_u32 v1, s6, v1, v28
	v_add_co_ci_u32_e64 v2, null, 0, v2, s6
	v_cndmask_b32_e32 v1, 0, v1, vcc_lo
	v_cndmask_b32_e32 v2, s13, v2, vcc_lo
	s_waitcnt vmcnt(0) lgkmcnt(0)
	ds_write_b128 v37, v[7:10]
	buffer_store_dword v30, off, s[0:3], 0
	buffer_store_dword v30, off, s[0:3], 0 offset:4
	buffer_store_dword v30, off, s[0:3], 0 offset:8
	;; [unrolled: 1-line block ×3, first 2 shown]
	flat_load_dwordx4 v[1:4], v[1:2]
	s_waitcnt vmcnt(0) lgkmcnt(0)
	ds_write_b128 v36, v[1:4]
	s_waitcnt lgkmcnt(0)
	s_waitcnt_vscnt null, 0x0
	s_barrier
	buffer_gl0_inv
	ds_read_b128 v[1:4], v19 offset:11392
	ds_read2_b64 v[7:10], v74 offset1:32
	s_waitcnt lgkmcnt(1)
	v_mul_u32_u24_sdwa v28, v1, v27 dst_sel:DWORD dst_unused:UNUSED_PAD src0_sel:WORD_0 src1_sel:DWORD
	v_mul_u32_u24_sdwa v1, v1, v27 dst_sel:DWORD dst_unused:UNUSED_PAD src0_sel:WORD_1 src1_sel:DWORD
	v_mul_u32_u24_sdwa v30, v4, v27 dst_sel:DWORD dst_unused:UNUSED_PAD src0_sel:WORD_0 src1_sel:DWORD
	v_mul_u32_u24_sdwa v31, v4, v27 dst_sel:DWORD dst_unused:UNUSED_PAD src0_sel:WORD_1 src1_sel:DWORD
	s_waitcnt lgkmcnt(0)
	v_pk_fma_f16 v29, v7, v28, v41
	v_pk_fma_f16 v28, v8, v28, v39
	v_pk_fma_f16 v7, v7, v1, v40
	v_pk_fma_f16 v1, v8, v1, v38
	v_mul_u32_u24_sdwa v8, v2, v27 dst_sel:DWORD dst_unused:UNUSED_PAD src0_sel:WORD_0 src1_sel:DWORD
	v_mul_u32_u24_sdwa v2, v2, v27 dst_sel:DWORD dst_unused:UNUSED_PAD src0_sel:WORD_1 src1_sel:DWORD
	v_pk_fma_f16 v29, v9, v8, v29
	v_pk_fma_f16 v8, v10, v8, v28
	v_pk_fma_f16 v7, v9, v2, v7
	v_pk_fma_f16 v9, v10, v2, v1
	v_mul_u32_u24_sdwa v10, v3, v27 dst_sel:DWORD dst_unused:UNUSED_PAD src0_sel:WORD_0 src1_sel:DWORD
	v_mul_u32_u24_sdwa v28, v3, v27 dst_sel:DWORD dst_unused:UNUSED_PAD src0_sel:WORD_1 src1_sel:DWORD
	ds_read2_b64 v[1:4], v74 offset0:64 offset1:96
	s_waitcnt lgkmcnt(0)
	v_pk_fma_f16 v29, v1, v10, v29
	v_pk_fma_f16 v8, v2, v10, v8
	v_pk_fma_f16 v1, v1, v28, v7
	v_pk_fma_f16 v2, v2, v28, v9
	v_pk_fma_f16 v28, v3, v30, v29
	v_pk_fma_f16 v29, v4, v30, v8
	v_pk_fma_f16 v30, v3, v31, v1
	v_pk_fma_f16 v31, v4, v31, v2
	ds_read_b128 v[1:4], v19 offset:11408
	ds_read2_b64 v[7:10], v74 offset0:128 offset1:160
	s_waitcnt lgkmcnt(1)
	v_mul_u32_u24_sdwa v32, v1, v27 dst_sel:DWORD dst_unused:UNUSED_PAD src0_sel:WORD_0 src1_sel:DWORD
	v_mul_u32_u24_sdwa v1, v1, v27 dst_sel:DWORD dst_unused:UNUSED_PAD src0_sel:WORD_1 src1_sel:DWORD
	s_waitcnt lgkmcnt(0)
	v_pk_fma_f16 v28, v7, v32, v28
	v_pk_fma_f16 v29, v8, v32, v29
	v_pk_fma_f16 v7, v7, v1, v30
	v_pk_fma_f16 v1, v8, v1, v31
	v_mul_u32_u24_sdwa v8, v2, v27 dst_sel:DWORD dst_unused:UNUSED_PAD src0_sel:WORD_0 src1_sel:DWORD
	v_mul_u32_u24_sdwa v2, v2, v27 dst_sel:DWORD dst_unused:UNUSED_PAD src0_sel:WORD_1 src1_sel:DWORD
	v_mul_u32_u24_sdwa v30, v4, v27 dst_sel:DWORD dst_unused:UNUSED_PAD src0_sel:WORD_0 src1_sel:DWORD
	v_mul_u32_u24_sdwa v31, v4, v27 dst_sel:DWORD dst_unused:UNUSED_PAD src0_sel:WORD_1 src1_sel:DWORD
	v_pk_fma_f16 v28, v9, v8, v28
	v_pk_fma_f16 v8, v10, v8, v29
	v_pk_fma_f16 v7, v9, v2, v7
	v_pk_fma_f16 v9, v10, v2, v1
	v_mul_u32_u24_sdwa v10, v3, v27 dst_sel:DWORD dst_unused:UNUSED_PAD src0_sel:WORD_0 src1_sel:DWORD
	v_mul_u32_u24_sdwa v29, v3, v27 dst_sel:DWORD dst_unused:UNUSED_PAD src0_sel:WORD_1 src1_sel:DWORD
	ds_read2_b64 v[1:4], v74 offset0:192 offset1:224
	s_waitcnt lgkmcnt(0)
	v_pk_fma_f16 v28, v1, v10, v28
	v_pk_fma_f16 v8, v2, v10, v8
	v_pk_fma_f16 v1, v1, v29, v7
	v_pk_fma_f16 v2, v2, v29, v9
	v_pk_fma_f16 v28, v3, v30, v28
	v_pk_fma_f16 v29, v4, v30, v8
	v_pk_fma_f16 v30, v3, v31, v1
	v_pk_fma_f16 v31, v4, v31, v2
	ds_read_b128 v[1:4], v19 offset:11424
	ds_read2_b64 v[7:10], v22 offset1:32
	s_waitcnt lgkmcnt(1)
	v_mul_u32_u24_sdwa v32, v1, v27 dst_sel:DWORD dst_unused:UNUSED_PAD src0_sel:WORD_0 src1_sel:DWORD
	v_mul_u32_u24_sdwa v1, v1, v27 dst_sel:DWORD dst_unused:UNUSED_PAD src0_sel:WORD_1 src1_sel:DWORD
	s_waitcnt lgkmcnt(0)
	v_pk_fma_f16 v28, v7, v32, v28
	v_pk_fma_f16 v29, v8, v32, v29
	v_pk_fma_f16 v7, v7, v1, v30
	v_pk_fma_f16 v1, v8, v1, v31
	v_mul_u32_u24_sdwa v8, v2, v27 dst_sel:DWORD dst_unused:UNUSED_PAD src0_sel:WORD_0 src1_sel:DWORD
	v_mul_u32_u24_sdwa v2, v2, v27 dst_sel:DWORD dst_unused:UNUSED_PAD src0_sel:WORD_1 src1_sel:DWORD
	v_mul_u32_u24_sdwa v30, v4, v27 dst_sel:DWORD dst_unused:UNUSED_PAD src0_sel:WORD_0 src1_sel:DWORD
	v_mul_u32_u24_sdwa v31, v4, v27 dst_sel:DWORD dst_unused:UNUSED_PAD src0_sel:WORD_1 src1_sel:DWORD
	v_pk_fma_f16 v28, v9, v8, v28
	v_pk_fma_f16 v8, v10, v8, v29
	v_pk_fma_f16 v7, v9, v2, v7
	v_pk_fma_f16 v9, v10, v2, v1
	v_mul_u32_u24_sdwa v10, v3, v27 dst_sel:DWORD dst_unused:UNUSED_PAD src0_sel:WORD_0 src1_sel:DWORD
	v_mul_u32_u24_sdwa v29, v3, v27 dst_sel:DWORD dst_unused:UNUSED_PAD src0_sel:WORD_1 src1_sel:DWORD
	ds_read2_b64 v[1:4], v22 offset0:64 offset1:96
	s_waitcnt lgkmcnt(0)
	v_pk_fma_f16 v28, v1, v10, v28
	v_pk_fma_f16 v8, v2, v10, v8
	v_pk_fma_f16 v1, v1, v29, v7
	v_pk_fma_f16 v2, v2, v29, v9
	v_pk_fma_f16 v28, v3, v30, v28
	v_pk_fma_f16 v29, v4, v30, v8
	v_pk_fma_f16 v30, v3, v31, v1
	v_pk_fma_f16 v31, v4, v31, v2
	ds_read_b128 v[1:4], v19 offset:11440
	ds_read2_b64 v[7:10], v22 offset0:128 offset1:160
	s_waitcnt lgkmcnt(1)
	v_mul_u32_u24_sdwa v32, v1, v27 dst_sel:DWORD dst_unused:UNUSED_PAD src0_sel:WORD_0 src1_sel:DWORD
	v_mul_u32_u24_sdwa v1, v1, v27 dst_sel:DWORD dst_unused:UNUSED_PAD src0_sel:WORD_1 src1_sel:DWORD
	s_waitcnt lgkmcnt(0)
	v_pk_fma_f16 v28, v7, v32, v28
	v_pk_fma_f16 v29, v8, v32, v29
	v_pk_fma_f16 v7, v7, v1, v30
	v_pk_fma_f16 v1, v8, v1, v31
	v_mul_u32_u24_sdwa v8, v2, v27 dst_sel:DWORD dst_unused:UNUSED_PAD src0_sel:WORD_0 src1_sel:DWORD
	v_mul_u32_u24_sdwa v2, v2, v27 dst_sel:DWORD dst_unused:UNUSED_PAD src0_sel:WORD_1 src1_sel:DWORD
	v_mul_u32_u24_sdwa v30, v4, v27 dst_sel:DWORD dst_unused:UNUSED_PAD src0_sel:WORD_0 src1_sel:DWORD
	v_mul_u32_u24_sdwa v31, v4, v27 dst_sel:DWORD dst_unused:UNUSED_PAD src0_sel:WORD_1 src1_sel:DWORD
	v_pk_fma_f16 v28, v9, v8, v28
	v_pk_fma_f16 v8, v10, v8, v29
	v_pk_fma_f16 v7, v9, v2, v7
	v_pk_fma_f16 v9, v10, v2, v1
	v_mul_u32_u24_sdwa v10, v3, v27 dst_sel:DWORD dst_unused:UNUSED_PAD src0_sel:WORD_0 src1_sel:DWORD
	v_mul_u32_u24_sdwa v29, v3, v27 dst_sel:DWORD dst_unused:UNUSED_PAD src0_sel:WORD_1 src1_sel:DWORD
	ds_read2_b64 v[1:4], v22 offset0:192 offset1:224
	s_waitcnt lgkmcnt(0)
	v_pk_fma_f16 v22, v1, v10, v28
	v_pk_fma_f16 v8, v2, v10, v8
	v_pk_fma_f16 v1, v1, v29, v7
	v_pk_fma_f16 v2, v2, v29, v9
	v_pk_fma_f16 v22, v3, v30, v22
	v_pk_fma_f16 v28, v4, v30, v8
	v_pk_fma_f16 v29, v3, v31, v1
	v_pk_fma_f16 v30, v4, v31, v2
	ds_read_b128 v[1:4], v19 offset:11456
	ds_read2_b64 v[7:10], v25 offset1:32
	s_waitcnt lgkmcnt(1)
	v_mul_u32_u24_sdwa v31, v1, v27 dst_sel:DWORD dst_unused:UNUSED_PAD src0_sel:WORD_0 src1_sel:DWORD
	v_mul_u32_u24_sdwa v1, v1, v27 dst_sel:DWORD dst_unused:UNUSED_PAD src0_sel:WORD_1 src1_sel:DWORD
	s_waitcnt lgkmcnt(0)
	v_pk_fma_f16 v22, v7, v31, v22
	v_pk_fma_f16 v28, v8, v31, v28
	v_pk_fma_f16 v7, v7, v1, v29
	v_pk_fma_f16 v1, v8, v1, v30
	v_mul_u32_u24_sdwa v8, v2, v27 dst_sel:DWORD dst_unused:UNUSED_PAD src0_sel:WORD_0 src1_sel:DWORD
	v_mul_u32_u24_sdwa v2, v2, v27 dst_sel:DWORD dst_unused:UNUSED_PAD src0_sel:WORD_1 src1_sel:DWORD
	;; [unrolled: 60-line block ×3, first 2 shown]
	v_mul_u32_u24_sdwa v28, v4, v27 dst_sel:DWORD dst_unused:UNUSED_PAD src0_sel:WORD_0 src1_sel:DWORD
	v_mul_u32_u24_sdwa v29, v4, v27 dst_sel:DWORD dst_unused:UNUSED_PAD src0_sel:WORD_1 src1_sel:DWORD
	v_pk_fma_f16 v22, v9, v8, v22
	v_pk_fma_f16 v8, v10, v8, v25
	;; [unrolled: 1-line block ×4, first 2 shown]
	v_mul_u32_u24_sdwa v10, v3, v27 dst_sel:DWORD dst_unused:UNUSED_PAD src0_sel:WORD_0 src1_sel:DWORD
	v_mul_u32_u24_sdwa v25, v3, v27 dst_sel:DWORD dst_unused:UNUSED_PAD src0_sel:WORD_1 src1_sel:DWORD
	ds_read2_b64 v[1:4], v24 offset0:64 offset1:96
	s_waitcnt lgkmcnt(0)
	v_pk_fma_f16 v22, v1, v10, v22
	v_pk_fma_f16 v8, v2, v10, v8
	v_pk_fma_f16 v1, v1, v25, v7
	v_pk_fma_f16 v2, v2, v25, v9
	v_pk_fma_f16 v22, v3, v28, v22
	v_pk_fma_f16 v25, v4, v28, v8
	v_pk_fma_f16 v28, v3, v29, v1
	v_pk_fma_f16 v29, v4, v29, v2
	ds_read_b128 v[1:4], v19 offset:11504
	ds_read2_b64 v[7:10], v24 offset0:128 offset1:160
	s_waitcnt lgkmcnt(1)
	v_mul_u32_u24_sdwa v19, v1, v27 dst_sel:DWORD dst_unused:UNUSED_PAD src0_sel:WORD_0 src1_sel:DWORD
	v_mul_u32_u24_sdwa v1, v1, v27 dst_sel:DWORD dst_unused:UNUSED_PAD src0_sel:WORD_1 src1_sel:DWORD
	s_waitcnt lgkmcnt(0)
	v_pk_fma_f16 v22, v7, v19, v22
	v_pk_fma_f16 v19, v8, v19, v25
	;; [unrolled: 1-line block ×4, first 2 shown]
	v_mul_u32_u24_sdwa v7, v2, v27 dst_sel:DWORD dst_unused:UNUSED_PAD src0_sel:WORD_0 src1_sel:DWORD
	v_mul_u32_u24_sdwa v2, v2, v27 dst_sel:DWORD dst_unused:UNUSED_PAD src0_sel:WORD_1 src1_sel:DWORD
	v_mul_u32_u24_sdwa v28, v3, v27 dst_sel:DWORD dst_unused:UNUSED_PAD src0_sel:WORD_1 src1_sel:DWORD
	v_pk_fma_f16 v8, v9, v7, v22
	v_pk_fma_f16 v7, v10, v7, v19
	;; [unrolled: 1-line block ×4, first 2 shown]
	v_mul_u32_u24_sdwa v25, v3, v27 dst_sel:DWORD dst_unused:UNUSED_PAD src0_sel:WORD_0 src1_sel:DWORD
	v_mul_u32_u24_sdwa v9, v4, v27 dst_sel:DWORD dst_unused:UNUSED_PAD src0_sel:WORD_0 src1_sel:DWORD
	v_mul_u32_u24_sdwa v10, v4, v27 dst_sel:DWORD dst_unused:UNUSED_PAD src0_sel:WORD_1 src1_sel:DWORD
	ds_read2_b64 v[1:4], v24 offset0:192 offset1:224
	s_waitcnt lgkmcnt(0)
	s_barrier
	buffer_gl0_inv
	v_pk_fma_f16 v8, v1, v25, v8
	v_pk_fma_f16 v1, v1, v28, v22
	;; [unrolled: 1-line block ×8, first 2 shown]
.LBB62_44:
	v_cmp_lt_i32_e32 vcc_lo, v12, v16
	s_cmp_eq_u64 s[20:21], 0
	s_cselect_b32 s6, -1, 0
	s_cmp_lg_u32 s34, 0
	v_cndmask_b32_e32 v1, v73, v12, vcc_lo
	v_cmp_lt_i32_e32 vcc_lo, v11, v16
	s_cselect_b32 s7, -1, 0
	s_or_b32 s6, s7, s6
	v_lshlrev_b32_e32 v1, 2, v1
	v_cndmask_b32_e32 v3, v73, v11, vcc_lo
	v_cmp_lt_i32_e32 vcc_lo, v13, v16
	ds_bpermute_b32 v2, v1, v76
	ds_bpermute_b32 v1, v1, v75
	v_lshlrev_b32_e32 v3, 2, v3
	v_cndmask_b32_e32 v5, v73, v13, vcc_lo
	v_cmp_lt_i32_e32 vcc_lo, v14, v16
	v_lshlrev_b32_e32 v5, 2, v5
	s_waitcnt lgkmcnt(1)
	v_add_f32_e32 v2, v76, v2
	s_waitcnt lgkmcnt(0)
	v_add_f32_e32 v1, v75, v1
	ds_bpermute_b32 v4, v3, v2
	ds_bpermute_b32 v3, v3, v1
	s_waitcnt lgkmcnt(1)
	v_add_f32_e32 v2, v2, v4
	s_waitcnt lgkmcnt(0)
	v_add_f32_e32 v1, v1, v3
	ds_bpermute_b32 v3, v5, v2
	ds_bpermute_b32 v4, v5, v1
	v_cndmask_b32_e32 v5, v73, v14, vcc_lo
	v_cmp_lt_i32_e32 vcc_lo, v15, v16
	v_lshlrev_b32_e32 v5, 2, v5
	s_waitcnt lgkmcnt(1)
	v_add_f32_e32 v2, v2, v3
	s_waitcnt lgkmcnt(0)
	v_add_f32_e32 v1, v1, v4
	ds_bpermute_b32 v3, v5, v2
	ds_bpermute_b32 v4, v5, v1
	v_cndmask_b32_e32 v5, v73, v15, vcc_lo
	s_and_b32 vcc_lo, exec_lo, s6
	v_lshlrev_b32_e32 v5, 2, v5
	s_waitcnt lgkmcnt(1)
	v_add_f32_e32 v2, v2, v3
	s_waitcnt lgkmcnt(0)
	v_add_f32_e32 v3, v1, v4
	ds_bpermute_b32 v1, v5, v2
	ds_bpermute_b32 v4, v5, v3
	s_waitcnt lgkmcnt(1)
	v_add_f32_e32 v1, v2, v1
	s_waitcnt lgkmcnt(0)
	v_add_f32_e32 v2, v3, v4
	s_cbranch_vccnz .LBB62_47
; %bb.45:
	s_lshl_b64 s[6:7], s[44:45], 2
	v_mov_b32_e32 v3, 0
	s_add_u32 s6, s20, s6
	s_addc_u32 s7, s21, s7
	v_max_f32_e32 v4, v50, v50
	v_max_f32_e32 v7, v51, v51
	global_load_dword v3, v3, s[6:7]
	s_waitcnt vmcnt(0)
	v_max_f32_e32 v6, v3, v3
	v_max_f32_e32 v5, v4, v6
	;; [unrolled: 1-line block ×3, first 2 shown]
	v_sub_f32_e32 v4, v50, v5
	v_sub_f32_e32 v7, v3, v5
	;; [unrolled: 1-line block ×4, first 2 shown]
	v_mov_b32_e32 v51, v6
	v_mul_f32_e32 v3, 0x3fb8aa3b, v4
	v_mul_f32_e32 v10, 0x3fb8aa3b, v7
	;; [unrolled: 1-line block ×4, first 2 shown]
	v_cmp_ngt_f32_e32 vcc_lo, 0xc2ce8ed0, v4
	v_fma_f32 v13, 0x3fb8aa3b, v4, -v3
	v_rndne_f32_e32 v14, v3
	v_fma_f32 v15, 0x3fb8aa3b, v7, -v10
	v_rndne_f32_e32 v16, v10
	v_fma_f32 v17, 0x3fb8aa3b, v8, -v11
	v_fmac_f32_e32 v13, 0x32a5705f, v4
	v_sub_f32_e32 v3, v3, v14
	v_rndne_f32_e32 v18, v11
	v_fmac_f32_e32 v15, 0x32a5705f, v7
	v_sub_f32_e32 v10, v10, v16
	v_fma_f32 v19, 0x3fb8aa3b, v9, -v12
	v_add_f32_e32 v3, v3, v13
	v_rndne_f32_e32 v20, v12
	v_fmac_f32_e32 v17, 0x32a5705f, v8
	v_sub_f32_e32 v11, v11, v18
	v_add_f32_e32 v10, v10, v15
	v_exp_f32_e32 v3, v3
	v_fmac_f32_e32 v19, 0x32a5705f, v9
	v_sub_f32_e32 v12, v12, v20
	v_add_f32_e32 v11, v11, v17
	v_exp_f32_e32 v10, v10
	v_cvt_i32_f32_e32 v13, v14
	v_cvt_i32_f32_e32 v14, v16
	v_add_f32_e32 v12, v12, v19
	v_exp_f32_e32 v11, v11
	v_cvt_i32_f32_e32 v15, v18
	v_ldexp_f32 v3, v3, v13
	v_cvt_i32_f32_e32 v16, v20
	v_exp_f32_e32 v12, v12
	v_mov_b32_e32 v17, 0x10001
	v_ldexp_f32 v10, v10, v14
	v_cndmask_b32_e32 v3, 0, v3, vcc_lo
	v_cmp_ngt_f32_e32 vcc_lo, 0xc2ce8ed0, v7
	v_mov_b32_e32 v50, v5
	v_ldexp_f32 v11, v11, v15
	v_cndmask_b32_e32 v10, 0, v10, vcc_lo
	v_cmp_ngt_f32_e32 vcc_lo, 0xc2ce8ed0, v8
	v_ldexp_f32 v12, v12, v16
	v_cndmask_b32_e32 v11, 0, v11, vcc_lo
	v_cmp_ngt_f32_e32 vcc_lo, 0xc2ce8ed0, v9
	v_cndmask_b32_e32 v12, 0, v12, vcc_lo
	v_cmp_nlt_f32_e32 vcc_lo, 0x42b17218, v4
	v_cndmask_b32_e32 v13, 0x7f800000, v3, vcc_lo
	v_cmp_nlt_f32_e32 vcc_lo, 0x42b17218, v7
	;; [unrolled: 2-line block ×3, first 2 shown]
	v_cvt_f16_f32_e32 v8, v13
	v_fmac_f32_e32 v3, v1, v13
	v_cndmask_b32_e32 v7, 0x7f800000, v11, vcc_lo
	v_cmp_nlt_f32_e32 vcc_lo, 0x42b17218, v9
	v_cvt_f16_f32_e32 v9, v7
	v_cndmask_b32_e32 v4, 0x7f800000, v12, vcc_lo
	v_fmac_f32_e32 v4, v2, v7
	v_mul_u32_u24_sdwa v7, v8, v17 dst_sel:DWORD dst_unused:UNUSED_PAD src0_sel:WORD_0 src1_sel:DWORD
	v_mul_u32_u24_sdwa v8, v9, v17 dst_sel:DWORD dst_unused:UNUSED_PAD src0_sel:WORD_0 src1_sel:DWORD
	v_mov_b32_e32 v1, v3
	v_mov_b32_e32 v2, v4
	v_pk_mul_f16 v23, v23, v7
	v_pk_mul_f16 v25, v25, v7
	v_pk_mul_f16 v22, v22, v8
	v_pk_mul_f16 v24, v24, v8
	s_mov_b32 s6, exec_lo
	v_cmpx_gt_i32_e64 s30, v84
	s_cbranch_execnz .LBB62_48
.LBB62_46:
	s_endpgm
.LBB62_47:
	v_mov_b32_e32 v3, v1
	v_mov_b32_e32 v4, v2
	s_mov_b32 s6, exec_lo
	v_cmpx_gt_i32_e64 s30, v84
	s_cbranch_execz .LBB62_46
.LBB62_48:
	s_load_dword s5, s[4:5], 0xd4
	v_mov_b32_e32 v7, 1.0
	s_waitcnt lgkmcnt(0)
	s_cmp_lg_u32 s5, 1
	s_cselect_b32 s8, -1, 0
	s_cmp_eq_u32 s5, 1
	s_cselect_b32 s6, -1, 0
	s_and_b32 vcc_lo, exec_lo, s8
	s_cbranch_vccnz .LBB62_50
; %bb.49:
	v_div_scale_f32 v5, null, v3, v3, 1.0
	v_rcp_f32_e32 v6, v5
	v_fma_f32 v7, -v5, v6, 1.0
	v_fmac_f32_e32 v6, v7, v6
	v_div_scale_f32 v7, vcc_lo, 1.0, v3, 1.0
	v_mul_f32_e32 v8, v7, v6
	v_fma_f32 v9, -v5, v8, v7
	v_fmac_f32_e32 v8, v9, v6
	v_fma_f32 v5, -v5, v8, v7
	v_div_fmas_f32 v5, v5, v6, v8
	v_div_fixup_f32 v7, v5, v3, 1.0
.LBB62_50:
	s_mul_i32 s7, s33, s30
	v_mov_b32_e32 v9, 0
	s_add_i32 s7, s7, s18
	v_cmp_eq_u32_e32 vcc_lo, 0, v0
	v_add_nc_u32_e32 v3, s7, v85
	v_cvt_f32_f16_e32 v0, v23
	v_cvt_f32_f16_sdwa v11, v25 dst_sel:DWORD dst_unused:UNUSED_PAD src0_sel:WORD_1
	v_mad_u64_u32 v[5:6], null, v3, s31, s[44:45]
	v_cvt_f32_f16_sdwa v3, v23 dst_sel:DWORD dst_unused:UNUSED_PAD src0_sel:WORD_1
	v_mul_f32_e32 v11, v7, v11
	v_mad_u64_u32 v[5:6], null, s5, v5, s[34:35]
	v_cvt_f32_f16_e32 v6, v25
	v_mul_f32_e32 v10, v7, v6
	v_lshl_add_u32 v8, v5, 7, v72
	v_lshlrev_b64 v[12:13], 2, v[8:9]
	v_mul_f32_e32 v8, v7, v0
	v_mul_f32_e32 v9, v7, v3
	v_add_co_u32 v6, s4, s24, v12
	v_add_co_ci_u32_e64 v7, null, s25, v13, s4
	s_and_b32 s4, vcc_lo, s8
	global_store_dwordx4 v[6:7], v[8:11], off
	s_and_saveexec_b32 s8, s4
	s_cbranch_execz .LBB62_52
; %bb.51:
	v_ashrrev_i32_e32 v6, 31, v5
	v_mov_b32_e32 v0, v50
	v_lshlrev_b64 v[5:6], 3, v[5:6]
	v_add_co_u32 v5, vcc_lo, s26, v5
	v_add_co_ci_u32_e64 v6, null, s27, v6, vcc_lo
	global_store_dwordx2 v[5:6], v[0:1], off
.LBB62_52:
	s_or_b32 exec_lo, exec_lo, s8
	s_waitcnt vmcnt(0)
	v_cmp_gt_i32_e32 vcc_lo, s30, v53
	s_and_b32 exec_lo, exec_lo, vcc_lo
	s_cbranch_execz .LBB62_46
; %bb.53:
	v_mov_b32_e32 v3, 1.0
	s_andn2_b32 vcc_lo, exec_lo, s6
	s_cbranch_vccnz .LBB62_55
; %bb.54:
	v_div_scale_f32 v0, null, v4, v4, 1.0
	v_rcp_f32_e32 v1, v0
	v_fma_f32 v3, -v0, v1, 1.0
	v_fmac_f32_e32 v1, v3, v1
	v_div_scale_f32 v3, vcc_lo, 1.0, v4, 1.0
	v_mul_f32_e32 v5, v3, v1
	v_fma_f32 v6, -v0, v5, v3
	v_fmac_f32_e32 v5, v6, v1
	v_fma_f32 v0, -v0, v5, v3
	v_div_fmas_f32 v0, v0, v1, v5
	v_div_fixup_f32 v3, v0, v4, 1.0
.LBB62_55:
	v_add_nc_u32_e32 v0, s7, v52
	v_mov_b32_e32 v5, 0
	v_cvt_f32_f16_sdwa v6, v22 dst_sel:DWORD dst_unused:UNUSED_PAD src0_sel:WORD_1
	v_cvt_f32_f16_e32 v7, v24
	v_cvt_f32_f16_sdwa v10, v24 dst_sel:DWORD dst_unused:UNUSED_PAD src0_sel:WORD_1
	v_mad_u64_u32 v[0:1], null, v0, s31, s[44:45]
	v_mad_u64_u32 v[0:1], null, s5, v0, s[34:35]
	v_cvt_f32_f16_e32 v1, v22
	v_lshl_add_u32 v4, v0, 7, v72
	v_lshlrev_b64 v[8:9], 2, v[4:5]
	v_mul_f32_e32 v4, v3, v1
	v_mul_f32_e32 v5, v3, v6
	v_mul_f32_e32 v6, v3, v7
	v_mul_f32_e32 v7, v3, v10
	v_add_co_u32 v8, vcc_lo, s24, v8
	v_add_co_ci_u32_e64 v9, null, s25, v9, vcc_lo
	global_store_dwordx4 v[8:9], v[4:7], off
	s_and_b32 exec_lo, exec_lo, s4
	s_cbranch_execz .LBB62_46
; %bb.56:
	v_ashrrev_i32_e32 v1, 31, v0
	v_lshlrev_b64 v[0:1], 3, v[0:1]
	v_add_co_u32 v3, vcc_lo, s26, v0
	v_add_co_ci_u32_e64 v4, null, s27, v1, vcc_lo
	v_mov_b32_e32 v1, v51
	global_store_dwordx2 v[3:4], v[1:2], off
	s_endpgm
	.section	.rodata,"a",@progbits
	.p2align	6, 0x0
	.amdhsa_kernel _ZL15flash_attn_tileILi128ELi128ELi8ELi1ELb0EEvPKcS1_S1_S1_S1_PKiPfP15HIP_vector_typeIfLj2EEffffjfiS5_IjLj3EEiiiiiiiiiiiliiliiiiil
		.amdhsa_group_segment_fixed_size 12288
		.amdhsa_private_segment_fixed_size 32
		.amdhsa_kernarg_size 464
		.amdhsa_user_sgpr_count 8
		.amdhsa_user_sgpr_private_segment_buffer 1
		.amdhsa_user_sgpr_dispatch_ptr 0
		.amdhsa_user_sgpr_queue_ptr 0
		.amdhsa_user_sgpr_kernarg_segment_ptr 1
		.amdhsa_user_sgpr_dispatch_id 0
		.amdhsa_user_sgpr_flat_scratch_init 1
		.amdhsa_user_sgpr_private_segment_size 0
		.amdhsa_wavefront_size32 1
		.amdhsa_uses_dynamic_stack 0
		.amdhsa_system_sgpr_private_segment_wavefront_offset 1
		.amdhsa_system_sgpr_workgroup_id_x 1
		.amdhsa_system_sgpr_workgroup_id_y 1
		.amdhsa_system_sgpr_workgroup_id_z 1
		.amdhsa_system_sgpr_workgroup_info 0
		.amdhsa_system_vgpr_workitem_id 1
		.amdhsa_next_free_vgpr 128
		.amdhsa_next_free_sgpr 52
		.amdhsa_reserve_vcc 1
		.amdhsa_reserve_flat_scratch 1
		.amdhsa_float_round_mode_32 0
		.amdhsa_float_round_mode_16_64 0
		.amdhsa_float_denorm_mode_32 3
		.amdhsa_float_denorm_mode_16_64 3
		.amdhsa_dx10_clamp 1
		.amdhsa_ieee_mode 1
		.amdhsa_fp16_overflow 0
		.amdhsa_workgroup_processor_mode 1
		.amdhsa_memory_ordered 1
		.amdhsa_forward_progress 1
		.amdhsa_shared_vgpr_count 0
		.amdhsa_exception_fp_ieee_invalid_op 0
		.amdhsa_exception_fp_denorm_src 0
		.amdhsa_exception_fp_ieee_div_zero 0
		.amdhsa_exception_fp_ieee_overflow 0
		.amdhsa_exception_fp_ieee_underflow 0
		.amdhsa_exception_fp_ieee_inexact 0
		.amdhsa_exception_int_div_zero 0
	.end_amdhsa_kernel
	.section	.text._ZL15flash_attn_tileILi128ELi128ELi8ELi1ELb0EEvPKcS1_S1_S1_S1_PKiPfP15HIP_vector_typeIfLj2EEffffjfiS5_IjLj3EEiiiiiiiiiiiliiliiiiil,"axG",@progbits,_ZL15flash_attn_tileILi128ELi128ELi8ELi1ELb0EEvPKcS1_S1_S1_S1_PKiPfP15HIP_vector_typeIfLj2EEffffjfiS5_IjLj3EEiiiiiiiiiiiliiliiiiil,comdat
.Lfunc_end62:
	.size	_ZL15flash_attn_tileILi128ELi128ELi8ELi1ELb0EEvPKcS1_S1_S1_S1_PKiPfP15HIP_vector_typeIfLj2EEffffjfiS5_IjLj3EEiiiiiiiiiiiliiliiiiil, .Lfunc_end62-_ZL15flash_attn_tileILi128ELi128ELi8ELi1ELb0EEvPKcS1_S1_S1_S1_PKiPfP15HIP_vector_typeIfLj2EEffffjfiS5_IjLj3EEiiiiiiiiiiiliiliiiiil
                                        ; -- End function
	.set _ZL15flash_attn_tileILi128ELi128ELi8ELi1ELb0EEvPKcS1_S1_S1_S1_PKiPfP15HIP_vector_typeIfLj2EEffffjfiS5_IjLj3EEiiiiiiiiiiiliiliiiiil.num_vgpr, 128
	.set _ZL15flash_attn_tileILi128ELi128ELi8ELi1ELb0EEvPKcS1_S1_S1_S1_PKiPfP15HIP_vector_typeIfLj2EEffffjfiS5_IjLj3EEiiiiiiiiiiiliiliiiiil.num_agpr, 0
	.set _ZL15flash_attn_tileILi128ELi128ELi8ELi1ELb0EEvPKcS1_S1_S1_S1_PKiPfP15HIP_vector_typeIfLj2EEffffjfiS5_IjLj3EEiiiiiiiiiiiliiliiiiil.numbered_sgpr, 52
	.set _ZL15flash_attn_tileILi128ELi128ELi8ELi1ELb0EEvPKcS1_S1_S1_S1_PKiPfP15HIP_vector_typeIfLj2EEffffjfiS5_IjLj3EEiiiiiiiiiiiliiliiiiil.num_named_barrier, 0
	.set _ZL15flash_attn_tileILi128ELi128ELi8ELi1ELb0EEvPKcS1_S1_S1_S1_PKiPfP15HIP_vector_typeIfLj2EEffffjfiS5_IjLj3EEiiiiiiiiiiiliiliiiiil.private_seg_size, 32
	.set _ZL15flash_attn_tileILi128ELi128ELi8ELi1ELb0EEvPKcS1_S1_S1_S1_PKiPfP15HIP_vector_typeIfLj2EEffffjfiS5_IjLj3EEiiiiiiiiiiiliiliiiiil.uses_vcc, 1
	.set _ZL15flash_attn_tileILi128ELi128ELi8ELi1ELb0EEvPKcS1_S1_S1_S1_PKiPfP15HIP_vector_typeIfLj2EEffffjfiS5_IjLj3EEiiiiiiiiiiiliiliiiiil.uses_flat_scratch, 1
	.set _ZL15flash_attn_tileILi128ELi128ELi8ELi1ELb0EEvPKcS1_S1_S1_S1_PKiPfP15HIP_vector_typeIfLj2EEffffjfiS5_IjLj3EEiiiiiiiiiiiliiliiiiil.has_dyn_sized_stack, 0
	.set _ZL15flash_attn_tileILi128ELi128ELi8ELi1ELb0EEvPKcS1_S1_S1_S1_PKiPfP15HIP_vector_typeIfLj2EEffffjfiS5_IjLj3EEiiiiiiiiiiiliiliiiiil.has_recursion, 0
	.set _ZL15flash_attn_tileILi128ELi128ELi8ELi1ELb0EEvPKcS1_S1_S1_S1_PKiPfP15HIP_vector_typeIfLj2EEffffjfiS5_IjLj3EEiiiiiiiiiiiliiliiiiil.has_indirect_call, 0
	.section	.AMDGPU.csdata,"",@progbits
; Kernel info:
; codeLenInByte = 28756
; TotalNumSgprs: 54
; NumVgprs: 128
; ScratchSize: 32
; MemoryBound: 0
; FloatMode: 240
; IeeeMode: 1
; LDSByteSize: 12288 bytes/workgroup (compile time only)
; SGPRBlocks: 0
; VGPRBlocks: 15
; NumSGPRsForWavesPerEU: 54
; NumVGPRsForWavesPerEU: 128
; Occupancy: 8
; WaveLimiterHint : 1
; COMPUTE_PGM_RSRC2:SCRATCH_EN: 1
; COMPUTE_PGM_RSRC2:USER_SGPR: 8
; COMPUTE_PGM_RSRC2:TRAP_HANDLER: 0
; COMPUTE_PGM_RSRC2:TGID_X_EN: 1
; COMPUTE_PGM_RSRC2:TGID_Y_EN: 1
; COMPUTE_PGM_RSRC2:TGID_Z_EN: 1
; COMPUTE_PGM_RSRC2:TIDIG_COMP_CNT: 1
	.section	.text._ZL33flash_attn_stream_k_fixup_uniformILi128ELi8ELi1EEvPfPK15HIP_vector_typeIfLj2EEiiiiiiS1_IjLj3EES5_S5_,"axG",@progbits,_ZL33flash_attn_stream_k_fixup_uniformILi128ELi8ELi1EEvPfPK15HIP_vector_typeIfLj2EEiiiiiiS1_IjLj3EES5_S5_,comdat
	.globl	_ZL33flash_attn_stream_k_fixup_uniformILi128ELi8ELi1EEvPfPK15HIP_vector_typeIfLj2EEiiiiiiS1_IjLj3EES5_S5_ ; -- Begin function _ZL33flash_attn_stream_k_fixup_uniformILi128ELi8ELi1EEvPfPK15HIP_vector_typeIfLj2EEiiiiiiS1_IjLj3EES5_S5_
	.p2align	8
	.type	_ZL33flash_attn_stream_k_fixup_uniformILi128ELi8ELi1EEvPfPK15HIP_vector_typeIfLj2EEiiiiiiS1_IjLj3EES5_S5_,@function
_ZL33flash_attn_stream_k_fixup_uniformILi128ELi8ELi1EEvPfPK15HIP_vector_typeIfLj2EEiiiiiiS1_IjLj3EES5_S5_: ; @_ZL33flash_attn_stream_k_fixup_uniformILi128ELi8ELi1EEvPfPK15HIP_vector_typeIfLj2EEiiiiiiS1_IjLj3EES5_S5_
; %bb.0:
	s_clause 0x2
	s_load_dwordx8 s[12:19], s[4:5], 0x1c
	s_load_dwordx4 s[20:23], s[4:5], 0x3c
	s_load_dwordx2 s[10:11], s[4:5], 0x10
	s_waitcnt lgkmcnt(0)
	s_mul_hi_u32 s0, s15, s6
	s_add_i32 s0, s6, s0
	s_lshr_b32 s0, s0, s16
	s_mul_i32 s1, s0, s17
	s_sub_i32 s2, s6, s1
	s_mul_hi_u32 s1, s2, s18
	s_add_i32 s1, s2, s1
	s_lshr_b32 s1, s1, s19
	s_mul_i32 s3, s1, s20
	s_sub_i32 s2, s2, s3
	;; [unrolled: 5-line block ×3, first 2 shown]
	s_lshl_b32 s2, s15, 3
	s_add_i32 s2, s2, s7
	s_cmp_lt_i32 s2, s10
	s_cselect_b32 s2, -1, 0
	s_add_i32 s3, s9, s8
	s_cmp_lt_i32 s3, s13
	s_cselect_b32 s3, -1, 0
	s_and_b32 s2, s2, s3
	s_andn2_b32 vcc_lo, exec_lo, s2
	s_cbranch_vccnz .LBB63_6
; %bb.1:
	s_mul_i32 s0, s0, s10
	s_mul_i32 s10, s1, s13
	s_add_i32 s0, s0, s7
	s_mul_i32 s0, s0, s11
	s_add_i32 s13, s0, s8
	s_load_dwordx4 s[0:3], s[4:5], 0x0
	s_add_i32 s4, s13, s10
	s_mul_i32 s5, s11, s15
	s_add_i32 s4, s4, s9
	s_lshl_b32 s5, s5, 10
	s_lshl_b32 s4, s4, 7
	s_add_i32 s8, s7, s8
	s_add_i32 s5, s5, s4
	s_mul_i32 s4, s14, s6
	v_or_b32_e32 v1, s5, v0
	s_add_i32 s9, s4, s14
	v_ashrrev_i32_e32 v2, 31, v1
	v_lshlrev_b64 v[1:2], 2, v[1:2]
	s_waitcnt lgkmcnt(0)
	v_add_co_u32 v1, vcc_lo, s0, v1
	v_add_co_ci_u32_e64 v2, null, s1, v2, vcc_lo
	s_lshl_b32 s0, s9, 3
	s_add_i32 s0, s8, s0
	global_load_dword v5, v[1:2], off
	s_add_i32 s0, s0, -8
	s_ashr_i32 s1, s0, 31
	s_lshl_b64 s[0:1], s[0:1], 3
	s_add_u32 s0, s2, s0
	s_addc_u32 s1, s3, s1
	s_add_i32 s5, s9, -2
	s_load_dword s10, s[0:1], 0x4
	s_cmp_lt_i32 s5, s4
	s_cbranch_scc1 .LBB63_4
; %bb.2:
	s_lshl_b32 s16, s12, 5
	s_load_dword s11, s[0:1], 0x0
	s_ashr_i32 s17, s16, 31
	s_waitcnt lgkmcnt(0)
	v_mov_b32_e32 v6, s10
	s_lshl_b64 s[0:1], s[16:17], 2
	s_add_u32 s5, s2, s0
	s_addc_u32 s7, s3, s1
	s_add_i32 s6, s6, 1
	s_lshl_b32 s1, s8, 7
	s_mul_i32 s0, s14, s6
	s_lshl_b32 s6, s0, 10
	s_lshl_b32 s0, s0, 3
	s_add_i32 s1, s1, s6
	s_add_i32 s0, s8, s0
	v_or_b32_e32 v0, s1, v0
	s_lshl_b32 s1, s12, 3
	s_add_i32 s6, s9, -1
	s_add_i32 s0, s0, s1
	v_add_nc_u32_e32 v3, 0xfffff800, v0
	v_mov_b32_e32 v0, s11
	s_add_i32 s0, s0, -16
.LBB63_3:                               ; =>This Inner Loop Header: Depth=1
	v_ashrrev_i32_e32 v4, 31, v3
	s_ashr_i32 s1, s0, 31
	s_lshl_b64 s[8:9], s[0:1], 3
	s_add_u32 s8, s2, s8
	v_lshlrev_b64 v[7:8], 2, v[3:4]
	s_addc_u32 s9, s3, s9
	v_add_nc_u32_e32 v3, 0xfffffc00, v3
	s_add_i32 s6, s6, -1
	s_add_i32 s0, s0, -8
	s_cmp_le_i32 s6, s4
	v_add_co_u32 v7, vcc_lo, s5, v7
	v_add_co_ci_u32_e64 v8, null, s7, v8, vcc_lo
	s_load_dwordx2 s[8:9], s[8:9], 0x0
	global_load_dword v4, v[7:8], off
	v_max_f32_e32 v7, v0, v0
	s_waitcnt lgkmcnt(0)
	v_max_f32_e64 v8, s8, s8
	v_max_f32_e32 v7, v7, v8
	v_sub_f32_e32 v8, s8, v7
	v_sub_f32_e32 v0, v0, v7
	v_mul_f32_e32 v9, 0x3fb8aa3b, v8
	v_mul_f32_e32 v12, 0x3fb8aa3b, v0
	v_cmp_ngt_f32_e32 vcc_lo, 0xc2ce8ed0, v8
	v_fma_f32 v10, 0x3fb8aa3b, v8, -v9
	v_rndne_f32_e32 v11, v9
	v_fma_f32 v13, 0x3fb8aa3b, v0, -v12
	v_rndne_f32_e32 v14, v12
	v_fmac_f32_e32 v10, 0x32a5705f, v8
	v_sub_f32_e32 v9, v9, v11
	v_fmac_f32_e32 v13, 0x32a5705f, v0
	v_cvt_i32_f32_e32 v11, v11
	v_add_f32_e32 v9, v9, v10
	v_sub_f32_e32 v10, v12, v14
	v_exp_f32_e32 v9, v9
	v_add_f32_e32 v10, v10, v13
	v_exp_f32_e32 v10, v10
	v_ldexp_f32 v9, v9, v11
	v_cvt_i32_f32_e32 v11, v14
	v_cndmask_b32_e32 v9, 0, v9, vcc_lo
	v_cmp_nlt_f32_e32 vcc_lo, 0x42b17218, v8
	v_ldexp_f32 v10, v10, v11
	v_mov_b32_e32 v11, v6
	v_cndmask_b32_e32 v9, 0x7f800000, v9, vcc_lo
	v_cmp_ngt_f32_e32 vcc_lo, 0xc2ce8ed0, v0
	v_cndmask_b32_e32 v10, 0, v10, vcc_lo
	v_cmp_le_f32_e32 vcc_lo, 0xc1a00000, v8
	v_cndmask_b32_e32 v8, 0, v9, vcc_lo
	v_cmp_nlt_f32_e32 vcc_lo, 0x42b17218, v0
	s_waitcnt vmcnt(1)
	v_mov_b32_e32 v9, v5
	v_cndmask_b32_e32 v5, 0x7f800000, v10, vcc_lo
	v_mul_f32_e32 v10, s9, v8
	v_cmp_le_f32_e32 vcc_lo, 0xc1a00000, v0
	v_mov_b32_e32 v0, v7
	v_mov_b32_e32 v6, v10
	v_cndmask_b32_e32 v12, 0, v5, vcc_lo
	v_fmac_f32_e32 v6, v11, v12
	s_waitcnt vmcnt(0)
	v_mul_f32_e32 v5, v4, v8
	v_fmac_f32_e32 v5, v9, v12
	s_cbranch_scc0 .LBB63_3
	s_branch .LBB63_5
.LBB63_4:
	s_waitcnt lgkmcnt(0)
	v_mov_b32_e32 v6, s10
.LBB63_5:
	s_waitcnt vmcnt(0)
	v_div_scale_f32 v0, null, v6, v6, v5
	v_rcp_f32_e32 v3, v0
	v_fma_f32 v4, -v0, v3, 1.0
	v_fmac_f32_e32 v3, v4, v3
	v_div_scale_f32 v4, vcc_lo, v5, v6, v5
	v_mul_f32_e32 v7, v4, v3
	v_fma_f32 v8, -v0, v7, v4
	v_fmac_f32_e32 v7, v8, v3
	v_fma_f32 v0, -v0, v7, v4
	v_div_fmas_f32 v0, v0, v3, v7
	v_div_fixup_f32 v0, v0, v6, v5
	global_store_dword v[1:2], v0, off
.LBB63_6:
	s_endpgm
	.section	.rodata,"a",@progbits
	.p2align	6, 0x0
	.amdhsa_kernel _ZL33flash_attn_stream_k_fixup_uniformILi128ELi8ELi1EEvPfPK15HIP_vector_typeIfLj2EEiiiiiiS1_IjLj3EES5_S5_
		.amdhsa_group_segment_fixed_size 0
		.amdhsa_private_segment_fixed_size 0
		.amdhsa_kernarg_size 76
		.amdhsa_user_sgpr_count 6
		.amdhsa_user_sgpr_private_segment_buffer 1
		.amdhsa_user_sgpr_dispatch_ptr 0
		.amdhsa_user_sgpr_queue_ptr 0
		.amdhsa_user_sgpr_kernarg_segment_ptr 1
		.amdhsa_user_sgpr_dispatch_id 0
		.amdhsa_user_sgpr_flat_scratch_init 0
		.amdhsa_user_sgpr_private_segment_size 0
		.amdhsa_wavefront_size32 1
		.amdhsa_uses_dynamic_stack 0
		.amdhsa_system_sgpr_private_segment_wavefront_offset 0
		.amdhsa_system_sgpr_workgroup_id_x 1
		.amdhsa_system_sgpr_workgroup_id_y 1
		.amdhsa_system_sgpr_workgroup_id_z 1
		.amdhsa_system_sgpr_workgroup_info 0
		.amdhsa_system_vgpr_workitem_id 0
		.amdhsa_next_free_vgpr 15
		.amdhsa_next_free_sgpr 24
		.amdhsa_reserve_vcc 1
		.amdhsa_reserve_flat_scratch 0
		.amdhsa_float_round_mode_32 0
		.amdhsa_float_round_mode_16_64 0
		.amdhsa_float_denorm_mode_32 3
		.amdhsa_float_denorm_mode_16_64 3
		.amdhsa_dx10_clamp 1
		.amdhsa_ieee_mode 1
		.amdhsa_fp16_overflow 0
		.amdhsa_workgroup_processor_mode 1
		.amdhsa_memory_ordered 1
		.amdhsa_forward_progress 1
		.amdhsa_shared_vgpr_count 0
		.amdhsa_exception_fp_ieee_invalid_op 0
		.amdhsa_exception_fp_denorm_src 0
		.amdhsa_exception_fp_ieee_div_zero 0
		.amdhsa_exception_fp_ieee_overflow 0
		.amdhsa_exception_fp_ieee_underflow 0
		.amdhsa_exception_fp_ieee_inexact 0
		.amdhsa_exception_int_div_zero 0
	.end_amdhsa_kernel
	.section	.text._ZL33flash_attn_stream_k_fixup_uniformILi128ELi8ELi1EEvPfPK15HIP_vector_typeIfLj2EEiiiiiiS1_IjLj3EES5_S5_,"axG",@progbits,_ZL33flash_attn_stream_k_fixup_uniformILi128ELi8ELi1EEvPfPK15HIP_vector_typeIfLj2EEiiiiiiS1_IjLj3EES5_S5_,comdat
.Lfunc_end63:
	.size	_ZL33flash_attn_stream_k_fixup_uniformILi128ELi8ELi1EEvPfPK15HIP_vector_typeIfLj2EEiiiiiiS1_IjLj3EES5_S5_, .Lfunc_end63-_ZL33flash_attn_stream_k_fixup_uniformILi128ELi8ELi1EEvPfPK15HIP_vector_typeIfLj2EEiiiiiiS1_IjLj3EES5_S5_
                                        ; -- End function
	.set _ZL33flash_attn_stream_k_fixup_uniformILi128ELi8ELi1EEvPfPK15HIP_vector_typeIfLj2EEiiiiiiS1_IjLj3EES5_S5_.num_vgpr, 15
	.set _ZL33flash_attn_stream_k_fixup_uniformILi128ELi8ELi1EEvPfPK15HIP_vector_typeIfLj2EEiiiiiiS1_IjLj3EES5_S5_.num_agpr, 0
	.set _ZL33flash_attn_stream_k_fixup_uniformILi128ELi8ELi1EEvPfPK15HIP_vector_typeIfLj2EEiiiiiiS1_IjLj3EES5_S5_.numbered_sgpr, 24
	.set _ZL33flash_attn_stream_k_fixup_uniformILi128ELi8ELi1EEvPfPK15HIP_vector_typeIfLj2EEiiiiiiS1_IjLj3EES5_S5_.num_named_barrier, 0
	.set _ZL33flash_attn_stream_k_fixup_uniformILi128ELi8ELi1EEvPfPK15HIP_vector_typeIfLj2EEiiiiiiS1_IjLj3EES5_S5_.private_seg_size, 0
	.set _ZL33flash_attn_stream_k_fixup_uniformILi128ELi8ELi1EEvPfPK15HIP_vector_typeIfLj2EEiiiiiiS1_IjLj3EES5_S5_.uses_vcc, 1
	.set _ZL33flash_attn_stream_k_fixup_uniformILi128ELi8ELi1EEvPfPK15HIP_vector_typeIfLj2EEiiiiiiS1_IjLj3EES5_S5_.uses_flat_scratch, 0
	.set _ZL33flash_attn_stream_k_fixup_uniformILi128ELi8ELi1EEvPfPK15HIP_vector_typeIfLj2EEiiiiiiS1_IjLj3EES5_S5_.has_dyn_sized_stack, 0
	.set _ZL33flash_attn_stream_k_fixup_uniformILi128ELi8ELi1EEvPfPK15HIP_vector_typeIfLj2EEiiiiiiS1_IjLj3EES5_S5_.has_recursion, 0
	.set _ZL33flash_attn_stream_k_fixup_uniformILi128ELi8ELi1EEvPfPK15HIP_vector_typeIfLj2EEiiiiiiS1_IjLj3EES5_S5_.has_indirect_call, 0
	.section	.AMDGPU.csdata,"",@progbits
; Kernel info:
; codeLenInByte = 828
; TotalNumSgprs: 26
; NumVgprs: 15
; ScratchSize: 0
; MemoryBound: 0
; FloatMode: 240
; IeeeMode: 1
; LDSByteSize: 0 bytes/workgroup (compile time only)
; SGPRBlocks: 0
; VGPRBlocks: 1
; NumSGPRsForWavesPerEU: 26
; NumVGPRsForWavesPerEU: 15
; Occupancy: 16
; WaveLimiterHint : 0
; COMPUTE_PGM_RSRC2:SCRATCH_EN: 0
; COMPUTE_PGM_RSRC2:USER_SGPR: 6
; COMPUTE_PGM_RSRC2:TRAP_HANDLER: 0
; COMPUTE_PGM_RSRC2:TGID_X_EN: 1
; COMPUTE_PGM_RSRC2:TGID_Y_EN: 1
; COMPUTE_PGM_RSRC2:TGID_Z_EN: 1
; COMPUTE_PGM_RSRC2:TIDIG_COMP_CNT: 0
	.section	.text._ZL33flash_attn_stream_k_fixup_generalILi128ELi8ELi1EEvPfPK15HIP_vector_typeIfLj2EEiiiiS1_IjLj3EES5_S5_S5_,"axG",@progbits,_ZL33flash_attn_stream_k_fixup_generalILi128ELi8ELi1EEvPfPK15HIP_vector_typeIfLj2EEiiiiS1_IjLj3EES5_S5_S5_,comdat
	.globl	_ZL33flash_attn_stream_k_fixup_generalILi128ELi8ELi1EEvPfPK15HIP_vector_typeIfLj2EEiiiiS1_IjLj3EES5_S5_S5_ ; -- Begin function _ZL33flash_attn_stream_k_fixup_generalILi128ELi8ELi1EEvPfPK15HIP_vector_typeIfLj2EEiiiiS1_IjLj3EES5_S5_S5_
	.p2align	8
	.type	_ZL33flash_attn_stream_k_fixup_generalILi128ELi8ELi1EEvPfPK15HIP_vector_typeIfLj2EEiiiiS1_IjLj3EES5_S5_S5_,@function
_ZL33flash_attn_stream_k_fixup_generalILi128ELi8ELi1EEvPfPK15HIP_vector_typeIfLj2EEiiiiS1_IjLj3EES5_S5_S5_: ; @_ZL33flash_attn_stream_k_fixup_generalILi128ELi8ELi1EEvPfPK15HIP_vector_typeIfLj2EEiiiiS1_IjLj3EES5_S5_S5_
; %bb.0:
	s_clause 0x1
	s_load_dwordx4 s[0:3], s[4:5], 0x10
	s_load_dword s9, s[4:5], 0x50
	s_mov_b32 s16, 0
	s_waitcnt lgkmcnt(0)
	s_mul_hi_i32 s17, s3, s6
	s_mul_i32 s18, s3, s6
	s_cmp_lg_u64 s[16:17], 0
	s_cbranch_scc0 .LBB64_21
; %bb.1:
	s_add_u32 s10, s9, 0
	s_addc_u32 s11, 0, 0
	s_xor_b64 s[10:11], s[10:11], 0
	v_cvt_f32_u32_e32 v1, s10
	v_cvt_f32_u32_e32 v2, s11
	s_sub_u32 s14, 0, s10
	s_subb_u32 s15, 0, s11
	v_fmamk_f32 v1, v2, 0x4f800000, v1
	v_rcp_f32_e32 v1, v1
	v_mul_f32_e32 v1, 0x5f7ffffc, v1
	v_mul_f32_e32 v2, 0x2f800000, v1
	v_trunc_f32_e32 v2, v2
	v_fmamk_f32 v1, v2, 0xcf800000, v1
	v_cvt_u32_f32_e32 v2, v2
	v_cvt_u32_f32_e32 v1, v1
	v_readfirstlane_b32 s12, v2
	v_readfirstlane_b32 s13, v1
	s_mul_i32 s19, s14, s12
	s_mul_hi_u32 s21, s14, s13
	s_mul_i32 s20, s15, s13
	s_add_i32 s19, s21, s19
	s_mul_i32 s22, s14, s13
	s_add_i32 s19, s19, s20
	s_mul_hi_u32 s21, s13, s22
	s_mul_i32 s24, s13, s19
	s_mul_hi_u32 s23, s12, s22
	s_mul_i32 s20, s12, s22
	s_mul_hi_u32 s22, s13, s19
	s_add_u32 s21, s21, s24
	s_addc_u32 s22, 0, s22
	s_mul_hi_u32 s25, s12, s19
	s_add_u32 s20, s21, s20
	s_mul_i32 s19, s12, s19
	s_addc_u32 s20, s22, s23
	s_addc_u32 s21, s25, 0
	s_add_u32 s19, s20, s19
	s_addc_u32 s20, 0, s21
	s_add_u32 s13, s13, s19
	s_cselect_b32 s19, -1, 0
	s_mul_hi_u32 s21, s14, s13
	s_cmp_lg_u32 s19, 0
	s_mul_i32 s19, s14, s13
	s_addc_u32 s12, s12, s20
	s_mul_i32 s15, s15, s13
	s_mul_i32 s14, s14, s12
	s_mul_hi_u32 s20, s13, s19
	s_add_i32 s14, s21, s14
	s_mul_hi_u32 s21, s12, s19
	s_add_i32 s14, s14, s15
	s_mul_i32 s15, s12, s19
	s_mul_i32 s23, s13, s14
	s_mul_hi_u32 s22, s13, s14
	s_add_u32 s20, s20, s23
	s_addc_u32 s22, 0, s22
	s_mul_hi_u32 s19, s12, s14
	s_add_u32 s15, s20, s15
	s_mul_i32 s14, s12, s14
	s_addc_u32 s15, s22, s21
	s_addc_u32 s19, s19, 0
	s_add_u32 s14, s15, s14
	s_addc_u32 s15, 0, s19
	s_add_u32 s19, s13, s14
	s_cselect_b32 s13, -1, 0
	s_cmp_lg_u32 s13, 0
	s_addc_u32 s20, s12, s15
	s_ashr_i32 s12, s17, 31
	s_add_u32 s14, s18, s12
	s_mov_b32 s13, s12
	s_addc_u32 s15, s17, s12
	s_xor_b64 s[14:15], s[14:15], s[12:13]
	s_mul_i32 s21, s14, s20
	s_mul_hi_u32 s22, s14, s19
	s_mul_hi_u32 s17, s14, s20
	;; [unrolled: 1-line block ×3, first 2 shown]
	s_mul_i32 s19, s15, s19
	s_add_u32 s21, s22, s21
	s_addc_u32 s17, 0, s17
	s_mul_hi_u32 s23, s15, s20
	s_add_u32 s19, s21, s19
	s_mul_i32 s20, s15, s20
	s_addc_u32 s17, s17, s24
	s_addc_u32 s19, s23, 0
	s_add_u32 s17, s17, s20
	s_addc_u32 s19, 0, s19
	s_mul_hi_u32 s20, s10, s17
	s_mul_i32 s21, s10, s19
	s_mul_i32 s22, s11, s17
	s_add_i32 s20, s20, s21
	s_mul_i32 s21, s10, s17
	s_add_i32 s20, s20, s22
	s_sub_i32 s22, s15, s20
	s_sub_u32 s14, s14, s21
	s_cselect_b32 s21, -1, 0
	s_cmp_lg_u32 s21, 0
	s_subb_u32 s22, s22, s11
	s_sub_u32 s23, s14, s10
	s_cselect_b32 s24, -1, 0
	s_cmp_lg_u32 s24, 0
	s_subb_u32 s22, s22, 0
	s_cmp_ge_u32 s22, s11
	s_cselect_b32 s24, -1, 0
	s_cmp_ge_u32 s23, s10
	s_cselect_b32 s23, -1, 0
	s_cmp_eq_u32 s22, s11
	s_cselect_b32 s22, s23, s24
	s_add_u32 s23, s17, 1
	s_addc_u32 s24, s19, 0
	s_add_u32 s25, s17, 2
	s_addc_u32 s26, s19, 0
	s_cmp_lg_u32 s22, 0
	s_cselect_b32 s22, s25, s23
	s_cselect_b32 s23, s26, s24
	s_cmp_lg_u32 s21, 0
	s_subb_u32 s15, s15, s20
	s_cmp_ge_u32 s15, s11
	s_cselect_b32 s20, -1, 0
	s_cmp_ge_u32 s14, s10
	s_cselect_b32 s10, -1, 0
	s_cmp_eq_u32 s15, s11
	s_cselect_b32 s10, s10, s20
	s_cmp_lg_u32 s10, 0
	s_cselect_b32 s11, s23, s19
	s_cselect_b32 s10, s22, s17
	s_xor_b64 s[12:13], s[12:13], 0
	s_xor_b64 s[10:11], s[10:11], s[12:13]
	s_sub_u32 s10, s10, s12
	s_load_dwordx4 s[12:15], s[4:5], 0x44
	s_andn2_b32 vcc_lo, exec_lo, s16
	s_cbranch_vccnz .LBB64_3
.LBB64_2:
	v_cvt_f32_u32_e32 v1, s9
	s_sub_i32 s11, 0, s9
	v_rcp_iflag_f32_e32 v1, v1
	v_mul_f32_e32 v1, 0x4f7ffffe, v1
	v_cvt_u32_f32_e32 v1, v1
	v_readfirstlane_b32 s10, v1
	s_mul_i32 s11, s11, s10
	s_mul_hi_u32 s11, s10, s11
	s_add_i32 s10, s10, s11
	s_mul_hi_u32 s10, s18, s10
	s_mul_i32 s11, s10, s9
	s_waitcnt lgkmcnt(0)
	s_add_i32 s15, s10, 1
	s_sub_i32 s11, s18, s11
	s_sub_i32 s16, s11, s9
	s_cmp_ge_u32 s11, s9
	s_cselect_b32 s10, s15, s10
	s_cselect_b32 s11, s16, s11
	s_add_i32 s15, s10, 1
	s_cmp_ge_u32 s11, s9
	s_cselect_b32 s10, s15, s10
.LBB64_3:
	s_add_i32 s11, s6, 1
	s_mov_b32 s16, 0
	s_mul_hi_i32 s17, s3, s11
	s_mul_i32 s11, s3, s11
	s_cmp_lg_u64 s[16:17], 0
	s_cbranch_scc0 .LBB64_22
; %bb.4:
	s_add_u32 s18, s9, 0
	s_addc_u32 s19, 0, 0
	s_xor_b64 s[18:19], s[18:19], 0
	v_cvt_f32_u32_e32 v1, s18
	v_cvt_f32_u32_e32 v2, s19
	s_sub_u32 s21, 0, s18
	s_subb_u32 s22, 0, s19
	v_fmamk_f32 v1, v2, 0x4f800000, v1
	v_rcp_f32_e32 v1, v1
	v_mul_f32_e32 v1, 0x5f7ffffc, v1
	v_mul_f32_e32 v2, 0x2f800000, v1
	v_trunc_f32_e32 v2, v2
	v_fmamk_f32 v1, v2, 0xcf800000, v1
	v_cvt_u32_f32_e32 v2, v2
	v_cvt_u32_f32_e32 v1, v1
	s_waitcnt lgkmcnt(0)
	v_readfirstlane_b32 s15, v2
	v_readfirstlane_b32 s20, v1
	s_mul_i32 s23, s21, s15
	s_mul_hi_u32 s25, s21, s20
	s_mul_i32 s24, s22, s20
	s_add_i32 s23, s25, s23
	s_mul_i32 s26, s21, s20
	s_add_i32 s23, s23, s24
	s_mul_hi_u32 s25, s20, s26
	s_mul_i32 s28, s20, s23
	s_mul_hi_u32 s27, s15, s26
	s_mul_i32 s24, s15, s26
	s_mul_hi_u32 s26, s20, s23
	s_add_u32 s25, s25, s28
	s_addc_u32 s26, 0, s26
	s_mul_hi_u32 s29, s15, s23
	s_add_u32 s24, s25, s24
	s_mul_i32 s23, s15, s23
	s_addc_u32 s24, s26, s27
	s_addc_u32 s25, s29, 0
	s_add_u32 s23, s24, s23
	s_addc_u32 s24, 0, s25
	s_add_u32 s20, s20, s23
	s_cselect_b32 s23, -1, 0
	s_mul_hi_u32 s25, s21, s20
	s_cmp_lg_u32 s23, 0
	s_mul_i32 s23, s21, s20
	s_addc_u32 s15, s15, s24
	s_mul_i32 s22, s22, s20
	s_mul_i32 s21, s21, s15
	s_mul_hi_u32 s24, s20, s23
	s_add_i32 s21, s25, s21
	s_mul_hi_u32 s25, s15, s23
	s_add_i32 s21, s21, s22
	s_mul_i32 s22, s15, s23
	s_mul_i32 s27, s20, s21
	s_mul_hi_u32 s26, s20, s21
	s_add_u32 s24, s24, s27
	s_addc_u32 s26, 0, s26
	s_mul_hi_u32 s23, s15, s21
	s_add_u32 s22, s24, s22
	s_mul_i32 s21, s15, s21
	s_addc_u32 s22, s26, s25
	s_addc_u32 s23, s23, 0
	s_add_u32 s21, s22, s21
	s_addc_u32 s22, 0, s23
	s_add_u32 s24, s20, s21
	s_cselect_b32 s20, -1, 0
	s_cmp_lg_u32 s20, 0
	s_addc_u32 s15, s15, s22
	s_ashr_i32 s20, s17, 31
	s_add_u32 s22, s11, s20
	s_mov_b32 s21, s20
	s_addc_u32 s23, s17, s20
	s_xor_b64 s[22:23], s[22:23], s[20:21]
	s_mul_i32 s25, s22, s15
	s_mul_hi_u32 s26, s22, s24
	s_mul_hi_u32 s17, s22, s15
	;; [unrolled: 1-line block ×3, first 2 shown]
	s_mul_i32 s24, s23, s24
	s_add_u32 s25, s26, s25
	s_addc_u32 s17, 0, s17
	s_mul_hi_u32 s27, s23, s15
	s_add_u32 s24, s25, s24
	s_mul_i32 s15, s23, s15
	s_addc_u32 s17, s17, s28
	s_addc_u32 s24, s27, 0
	s_add_u32 s15, s17, s15
	s_addc_u32 s17, 0, s24
	s_mul_hi_u32 s24, s18, s15
	s_mul_i32 s25, s18, s17
	s_mul_i32 s26, s19, s15
	s_add_i32 s24, s24, s25
	s_mul_i32 s25, s18, s15
	s_add_i32 s24, s24, s26
	s_sub_i32 s26, s23, s24
	s_sub_u32 s22, s22, s25
	s_cselect_b32 s25, -1, 0
	s_cmp_lg_u32 s25, 0
	s_subb_u32 s26, s26, s19
	s_sub_u32 s27, s22, s18
	s_cselect_b32 s28, -1, 0
	s_cmp_lg_u32 s28, 0
	s_subb_u32 s26, s26, 0
	s_cmp_ge_u32 s26, s19
	s_cselect_b32 s28, -1, 0
	s_cmp_ge_u32 s27, s18
	s_cselect_b32 s27, -1, 0
	s_cmp_eq_u32 s26, s19
	s_cselect_b32 s26, s27, s28
	s_add_u32 s27, s15, 1
	s_addc_u32 s28, s17, 0
	s_add_u32 s29, s15, 2
	s_addc_u32 s30, s17, 0
	s_cmp_lg_u32 s26, 0
	s_cselect_b32 s26, s29, s27
	s_cselect_b32 s27, s30, s28
	s_cmp_lg_u32 s25, 0
	s_subb_u32 s23, s23, s24
	s_cmp_ge_u32 s23, s19
	s_cselect_b32 s24, -1, 0
	s_cmp_ge_u32 s22, s18
	s_cselect_b32 s18, -1, 0
	s_cmp_eq_u32 s23, s19
	s_cselect_b32 s18, s18, s24
	s_cmp_lg_u32 s18, 0
	s_cselect_b32 s19, s27, s17
	s_cselect_b32 s18, s26, s15
	s_xor_b64 s[20:21], s[20:21], 0
	s_xor_b64 s[18:19], s[18:19], s[20:21]
	s_sub_u32 s18, s18, s20
	s_andn2_b32 vcc_lo, exec_lo, s16
	s_cbranch_vccnz .LBB64_6
.LBB64_5:
	v_cvt_f32_u32_e32 v1, s9
	s_sub_i32 s16, 0, s9
	v_rcp_iflag_f32_e32 v1, v1
	v_mul_f32_e32 v1, 0x4f7ffffe, v1
	v_cvt_u32_f32_e32 v1, v1
	s_waitcnt lgkmcnt(0)
	v_readfirstlane_b32 s15, v1
	s_mul_i32 s16, s16, s15
	s_mul_hi_u32 s16, s15, s16
	s_add_i32 s15, s15, s16
	s_mul_hi_u32 s15, s11, s15
	s_mul_i32 s16, s15, s9
	s_sub_i32 s11, s11, s16
	s_add_i32 s16, s15, 1
	s_sub_i32 s17, s11, s9
	s_cmp_ge_u32 s11, s9
	s_cselect_b32 s15, s16, s15
	s_cselect_b32 s11, s17, s11
	s_add_i32 s16, s15, 1
	s_cmp_ge_u32 s11, s9
	s_cselect_b32 s18, s16, s15
.LBB64_6:
	s_cmp_eq_u32 s10, s18
	s_waitcnt lgkmcnt(0)
	s_mul_hi_u32 s11, s10, s12
	s_cselect_b32 s15, -1, 0
	s_add_i32 s11, s11, s10
	s_lshr_b32 s11, s11, s13
	s_mul_i32 s16, s11, s14
	s_cmp_eq_u32 s16, s10
	s_mul_hi_u32 s16, s18, s12
	s_cselect_b32 s17, -1, 0
	s_add_i32 s16, s16, s18
	s_lshr_b32 s16, s16, s13
	s_cmp_eq_u32 s11, s16
	s_mul_i32 s16, s16, s14
	s_cselect_b32 s19, -1, 0
	s_cmp_lg_u32 s16, s18
	s_cselect_b32 s16, -1, 0
	s_or_b32 s15, s15, s17
	s_and_b32 s16, s19, s16
	s_or_b32 s15, s15, s16
	s_and_b32 vcc_lo, exec_lo, s15
	s_cbranch_vccnz .LBB64_24
; %bb.7:
	s_load_dwordx8 s[20:27], s[4:5], 0x20
	s_waitcnt lgkmcnt(0)
	s_mul_hi_u32 s15, s10, s20
	s_add_i32 s15, s15, s10
	s_lshr_b32 s20, s15, s21
	s_load_dword s15, s[4:5], 0x40
	s_mul_i32 s16, s20, s22
	s_sub_i32 s16, s10, s16
	s_mul_hi_u32 s17, s16, s23
	s_add_i32 s17, s16, s17
	s_lshr_b32 s22, s17, s24
	s_mul_i32 s17, s22, s25
	s_sub_i32 s16, s16, s17
	s_mul_hi_u32 s17, s16, s26
	s_add_i32 s17, s16, s17
	s_lshr_b32 s23, s17, s27
	s_waitcnt lgkmcnt(0)
	s_mul_i32 s15, s23, s15
	s_sub_i32 s15, s16, s15
	s_mul_hi_u32 s16, s15, s12
	s_add_i32 s15, s15, s16
	s_lshr_b32 s24, s15, s13
	s_lshl_b32 s15, s24, 3
	s_add_i32 s15, s15, s7
	s_cmp_lt_i32 s15, s0
	s_cselect_b32 s15, -1, 0
	s_add_i32 s16, s23, s8
	s_cmp_lt_i32 s16, s2
	s_cselect_b32 s16, -1, 0
	s_and_b32 s15, s15, s16
	s_andn2_b32 vcc_lo, exec_lo, s15
	s_cbranch_vccnz .LBB64_24
; %bb.8:
	s_load_dwordx4 s[16:19], s[4:5], 0x0
	s_mov_b32 s4, 0
	s_lshl_b32 s26, s9, 5
	s_mov_b32 s27, s4
	s_add_i32 s15, s7, s8
	s_lshl_b64 s[26:27], s[26:27], 2
	s_mul_i32 s0, s20, s0
	s_mul_i32 s22, s22, s2
	v_cvt_f32_u32_e32 v4, s9
	v_rcp_iflag_f32_e32 v4, v4
	s_waitcnt lgkmcnt(0)
	s_add_u32 s20, s18, s26
	s_addc_u32 s21, s19, s27
	s_add_i32 s0, s0, s7
	v_mul_f32_e32 v4, 0x4f7ffffe, v4
	s_mul_i32 s0, s0, s1
	s_mul_i32 s1, s1, s24
	s_add_i32 s0, s0, s8
	s_lshl_b32 s1, s1, 10
	s_add_i32 s0, s0, s22
	v_cvt_u32_f32_e32 v4, v4
	s_add_i32 s0, s0, s23
	s_lshl_b32 s0, s0, 7
	s_add_i32 s1, s1, s0
	s_lshl_b32 s0, s6, 3
	v_or_b32_e32 v1, s1, v0
	s_add_i32 s0, s0, s15
	v_lshl_or_b32 v0, s15, 7, v0
	s_ashr_i32 s1, s0, 31
	v_ashrrev_i32_e32 v2, 31, v1
	s_lshl_b64 s[0:1], s[0:1], 3
	s_add_u32 s0, s18, s0
	s_addc_u32 s1, s19, s1
	v_lshlrev_b64 v[1:2], 2, v[1:2]
	s_load_dwordx2 s[0:1], s[0:1], 0x0
	s_add_i32 s8, s6, -1
	s_sub_i32 s2, 0, s9
	v_add_co_u32 v1, vcc_lo, s16, v1
	v_add_co_ci_u32_e64 v2, null, s17, v2, vcc_lo
	global_load_dword v3, v[1:2], off
	s_waitcnt lgkmcnt(0)
	v_mov_b32_e32 v5, s1
	v_mov_b32_e32 v6, s0
.LBB64_9:                               ; =>This Inner Loop Header: Depth=1
	s_mul_hi_i32 s5, s8, s3
	s_mul_i32 s6, s8, s3
	s_cmp_lg_u64 s[4:5], 0
	s_mov_b32 s7, -1
                                        ; implicit-def: $sgpr0_sgpr1
	s_cbranch_scc0 .LBB64_11
; %bb.10:                               ;   in Loop: Header=BB64_9 Depth=1
	s_add_u32 s0, s9, 0
	s_addc_u32 s1, 0, 0
	s_xor_b64 s[0:1], s[0:1], 0
	v_cvt_f32_u32_e32 v7, s0
	v_cvt_f32_u32_e32 v8, s1
	s_sub_u32 s17, 0, s0
	s_subb_u32 s22, 0, s1
	v_fmac_f32_e32 v7, 0x4f800000, v8
	v_rcp_f32_e32 v7, v7
	v_mul_f32_e32 v7, 0x5f7ffffc, v7
	v_mul_f32_e32 v8, 0x2f800000, v7
	v_trunc_f32_e32 v8, v8
	v_fmac_f32_e32 v7, 0xcf800000, v8
	v_cvt_u32_f32_e32 v8, v8
	v_cvt_u32_f32_e32 v7, v7
	v_readfirstlane_b32 s7, v8
	v_readfirstlane_b32 s16, v7
	s_mul_i32 s23, s17, s7
	s_mul_hi_u32 s25, s17, s16
	s_mul_i32 s24, s22, s16
	s_add_i32 s23, s25, s23
	s_mul_i32 s26, s17, s16
	s_add_i32 s23, s23, s24
	s_mul_hi_u32 s25, s16, s26
	s_mul_i32 s28, s16, s23
	s_mul_hi_u32 s27, s7, s26
	s_mul_i32 s24, s7, s26
	s_mul_hi_u32 s26, s16, s23
	s_add_u32 s25, s25, s28
	s_addc_u32 s26, 0, s26
	s_mul_hi_u32 s29, s7, s23
	s_add_u32 s24, s25, s24
	s_mul_i32 s23, s7, s23
	s_addc_u32 s24, s26, s27
	s_addc_u32 s25, s29, 0
	s_add_u32 s23, s24, s23
	s_addc_u32 s24, 0, s25
	s_add_u32 s16, s16, s23
	s_cselect_b32 s23, -1, 0
	s_mul_hi_u32 s25, s17, s16
	s_cmp_lg_u32 s23, 0
	s_mul_i32 s23, s17, s16
	s_addc_u32 s7, s7, s24
	s_mul_i32 s22, s22, s16
	s_mul_i32 s17, s17, s7
	s_mul_hi_u32 s24, s16, s23
	s_add_i32 s17, s25, s17
	s_mul_hi_u32 s25, s7, s23
	s_add_i32 s17, s17, s22
	s_mul_i32 s22, s7, s23
	s_mul_i32 s27, s16, s17
	s_mul_hi_u32 s26, s16, s17
	s_add_u32 s24, s24, s27
	s_addc_u32 s26, 0, s26
	s_mul_hi_u32 s23, s7, s17
	s_add_u32 s22, s24, s22
	s_mul_i32 s17, s7, s17
	s_addc_u32 s22, s26, s25
	s_addc_u32 s23, s23, 0
	s_add_u32 s17, s22, s17
	s_addc_u32 s22, 0, s23
	s_add_u32 s24, s16, s17
	s_cselect_b32 s16, -1, 0
	s_cmp_lg_u32 s16, 0
	s_addc_u32 s7, s7, s22
	s_ashr_i32 s16, s5, 31
	s_add_u32 s22, s6, s16
	s_mov_b32 s17, s16
	s_addc_u32 s23, s5, s16
	s_xor_b64 s[22:23], s[22:23], s[16:17]
	s_mul_i32 s25, s22, s7
	s_mul_hi_u32 s26, s22, s24
	s_mul_hi_u32 s5, s22, s7
	;; [unrolled: 1-line block ×3, first 2 shown]
	s_mul_i32 s24, s23, s24
	s_add_u32 s25, s26, s25
	s_addc_u32 s5, 0, s5
	s_mul_hi_u32 s27, s23, s7
	s_add_u32 s24, s25, s24
	s_mul_i32 s7, s23, s7
	s_addc_u32 s5, s5, s28
	s_addc_u32 s24, s27, 0
	s_add_u32 s5, s5, s7
	s_addc_u32 s7, 0, s24
	s_mul_hi_u32 s24, s0, s5
	s_mul_i32 s25, s0, s7
	s_mul_i32 s26, s1, s5
	s_add_i32 s24, s24, s25
	s_mul_i32 s25, s0, s5
	s_add_i32 s24, s24, s26
	s_sub_i32 s26, s23, s24
	s_sub_u32 s22, s22, s25
	s_cselect_b32 s25, -1, 0
	s_cmp_lg_u32 s25, 0
	s_subb_u32 s26, s26, s1
	s_sub_u32 s27, s22, s0
	s_cselect_b32 s28, -1, 0
	s_cmp_lg_u32 s28, 0
	s_subb_u32 s26, s26, 0
	s_cmp_ge_u32 s26, s1
	s_cselect_b32 s28, -1, 0
	s_cmp_ge_u32 s27, s0
	s_cselect_b32 s27, -1, 0
	s_cmp_eq_u32 s26, s1
	s_cselect_b32 s26, s27, s28
	s_add_u32 s27, s5, 1
	s_addc_u32 s28, s7, 0
	s_add_u32 s29, s5, 2
	s_addc_u32 s30, s7, 0
	s_cmp_lg_u32 s26, 0
	s_cselect_b32 s26, s29, s27
	s_cselect_b32 s27, s30, s28
	s_cmp_lg_u32 s25, 0
	s_subb_u32 s23, s23, s24
	s_cmp_ge_u32 s23, s1
	s_cselect_b32 s24, -1, 0
	s_cmp_ge_u32 s22, s0
	s_cselect_b32 s0, -1, 0
	s_cmp_eq_u32 s23, s1
	s_cselect_b32 s0, s0, s24
	s_cmp_lg_u32 s0, 0
	s_cselect_b32 s1, s27, s7
	s_cselect_b32 s0, s26, s5
	s_xor_b64 s[16:17], s[16:17], 0
	s_mov_b32 s7, 0
	s_xor_b64 s[0:1], s[0:1], s[16:17]
	s_sub_u32 s0, s0, s16
.LBB64_11:                              ;   in Loop: Header=BB64_9 Depth=1
	s_andn2_b32 vcc_lo, exec_lo, s7
	s_cbranch_vccnz .LBB64_13
; %bb.12:                               ;   in Loop: Header=BB64_9 Depth=1
	v_readfirstlane_b32 s0, v4
	s_mul_i32 s1, s2, s0
	s_mul_hi_u32 s1, s0, s1
	s_add_i32 s0, s0, s1
	s_mul_hi_u32 s0, s6, s0
	s_mul_i32 s1, s0, s9
	s_add_i32 s5, s0, 1
	s_sub_i32 s1, s6, s1
	s_sub_i32 s6, s1, s9
	s_cmp_ge_u32 s1, s9
	s_cselect_b32 s0, s5, s0
	s_cselect_b32 s1, s6, s1
	s_add_i32 s5, s0, 1
	s_cmp_ge_u32 s1, s9
	s_cselect_b32 s0, s5, s0
.LBB64_13:                              ;   in Loop: Header=BB64_9 Depth=1
	s_cmp_lg_u32 s10, s0
	s_mov_b32 s6, -1
                                        ; implicit-def: $sgpr5
                                        ; implicit-def: $vgpr8
                                        ; implicit-def: $vgpr7
                                        ; implicit-def: $vgpr9
                                        ; implicit-def: $sgpr1
                                        ; implicit-def: $sgpr16
	s_cbranch_scc0 .LBB64_18
; %bb.14:                               ;   in Loop: Header=BB64_9 Depth=1
	s_add_i32 s1, s8, s9
	s_mov_b32 s7, s4
	s_lshl_b32 s1, s1, 3
	s_mov_b32 s16, s10
	s_add_i32 s6, s1, s15
	s_mul_hi_u32 s1, s0, s12
	s_lshl_b64 s[6:7], s[6:7], 3
	s_add_u32 s6, s18, s6
	s_addc_u32 s7, s19, s7
	s_add_i32 s1, s1, s0
	s_lshr_b32 s1, s1, s13
	s_mul_i32 s5, s1, s14
	s_cmp_eq_u32 s5, s0
	s_cselect_b32 s5, -1, 0
	s_cmp_lt_u32 s1, s11
	s_cselect_b32 s1, -1, 0
	s_or_b32 s1, s1, s5
	s_mov_b32 s5, -1
	s_and_b32 vcc_lo, exec_lo, s1
	s_mov_b32 s1, s8
	s_cbranch_vccnz .LBB64_16
; %bb.15:                               ;   in Loop: Header=BB64_9 Depth=1
	s_add_i32 s1, s8, -1
	s_mov_b32 s5, 0
	s_mov_b32 s16, s0
.LBB64_16:                              ;   in Loop: Header=BB64_9 Depth=1
	v_lshl_add_u32 v7, s8, 10, v0
	s_load_dwordx2 s[6:7], s[6:7], 0x0
	v_ashrrev_i32_e32 v8, 31, v7
	v_lshlrev_b64 v[7:8], 2, v[7:8]
	v_add_co_u32 v7, vcc_lo, s20, v7
	v_add_co_ci_u32_e64 v8, null, s21, v8, vcc_lo
	s_waitcnt lgkmcnt(0)
	v_max_f32_e64 v9, s6, s6
	global_load_dword v8, v[7:8], off
	v_max_f32_e32 v7, v6, v6
	v_max_f32_e32 v7, v7, v9
	v_sub_f32_e32 v9, s6, v7
	v_sub_f32_e32 v10, v6, v7
	v_mul_f32_e32 v11, 0x3fb8aa3b, v9
	v_mul_f32_e32 v12, 0x3fb8aa3b, v10
	v_cmp_ngt_f32_e32 vcc_lo, 0xc2ce8ed0, v9
	v_fma_f32 v13, 0x3fb8aa3b, v9, -v11
	v_rndne_f32_e32 v14, v11
	v_fma_f32 v15, 0x3fb8aa3b, v10, -v12
	v_rndne_f32_e32 v16, v12
	v_fmac_f32_e32 v13, 0x32a5705f, v9
	v_sub_f32_e32 v11, v11, v14
	v_fmac_f32_e32 v15, 0x32a5705f, v10
	v_sub_f32_e32 v12, v12, v16
	v_add_f32_e32 v11, v11, v13
	v_cvt_i32_f32_e32 v13, v14
	v_add_f32_e32 v12, v12, v15
	v_cvt_i32_f32_e32 v14, v16
	v_exp_f32_e32 v11, v11
	v_exp_f32_e32 v12, v12
	v_ldexp_f32 v11, v11, v13
	v_ldexp_f32 v12, v12, v14
	v_cndmask_b32_e32 v11, 0, v11, vcc_lo
	v_cmp_ngt_f32_e32 vcc_lo, 0xc2ce8ed0, v10
	v_cndmask_b32_e32 v12, 0, v12, vcc_lo
	v_cmp_nlt_f32_e32 vcc_lo, 0x42b17218, v9
	v_cndmask_b32_e32 v11, 0x7f800000, v11, vcc_lo
	v_cmp_nlt_f32_e32 vcc_lo, 0x42b17218, v10
	v_cndmask_b32_e32 v12, 0x7f800000, v12, vcc_lo
	v_cmp_le_f32_e32 vcc_lo, 0xc1a00000, v9
	v_cndmask_b32_e32 v9, 0, v11, vcc_lo
	v_cmp_le_f32_e32 vcc_lo, 0xc1a00000, v10
	v_cndmask_b32_e32 v10, 0, v12, vcc_lo
	s_waitcnt vmcnt(0)
	v_mul_f32_e32 v8, v8, v9
	v_mul_f32_e32 v9, s7, v9
	v_fmac_f32_e32 v8, v3, v10
	v_fmac_f32_e32 v9, v5, v10
	s_cbranch_execz .LBB64_19
.LBB64_17:                              ;   in Loop: Header=BB64_9 Depth=1
	s_andn2_b32 vcc_lo, exec_lo, s5
	s_cbranch_vccnz .LBB64_20
	s_branch .LBB64_23
.LBB64_18:                              ;   in Loop: Header=BB64_9 Depth=1
	s_andn2_b32 vcc_lo, exec_lo, s6
	s_cbranch_vccnz .LBB64_17
.LBB64_19:                              ;   in Loop: Header=BB64_9 Depth=1
	v_mov_b32_e32 v9, v5
	v_mov_b32_e32 v7, v6
	s_waitcnt vmcnt(0)
	v_mov_b32_e32 v8, v3
	s_add_i32 s1, s8, -1
	s_mov_b32 s16, s10
	s_cbranch_execz .LBB64_23
.LBB64_20:                              ;   in Loop: Header=BB64_9 Depth=1
	v_mov_b32_e32 v5, v9
	v_mov_b32_e32 v6, v7
	s_waitcnt vmcnt(0)
	v_mov_b32_e32 v3, v8
	s_mov_b32 s10, s16
	s_mov_b32 s8, s1
	s_branch .LBB64_9
.LBB64_21:
                                        ; implicit-def: $sgpr10_sgpr11
	s_load_dwordx4 s[12:15], s[4:5], 0x44
	s_branch .LBB64_2
.LBB64_22:
                                        ; implicit-def: $sgpr18_sgpr19
	s_branch .LBB64_5
.LBB64_23:
	v_div_scale_f32 v0, null, v9, v9, v8
	s_waitcnt vmcnt(0)
	v_rcp_f32_e32 v3, v0
	v_fma_f32 v4, -v0, v3, 1.0
	v_fmac_f32_e32 v3, v4, v3
	v_div_scale_f32 v4, vcc_lo, v8, v9, v8
	v_mul_f32_e32 v5, v4, v3
	v_fma_f32 v6, -v0, v5, v4
	v_fmac_f32_e32 v5, v6, v3
	v_fma_f32 v0, -v0, v5, v4
	v_div_fmas_f32 v0, v0, v3, v5
	v_div_fixup_f32 v0, v0, v9, v8
	global_store_dword v[1:2], v0, off
.LBB64_24:
	s_endpgm
	.section	.rodata,"a",@progbits
	.p2align	6, 0x0
	.amdhsa_kernel _ZL33flash_attn_stream_k_fixup_generalILi128ELi8ELi1EEvPfPK15HIP_vector_typeIfLj2EEiiiiS1_IjLj3EES5_S5_S5_
		.amdhsa_group_segment_fixed_size 0
		.amdhsa_private_segment_fixed_size 0
		.amdhsa_kernarg_size 336
		.amdhsa_user_sgpr_count 6
		.amdhsa_user_sgpr_private_segment_buffer 1
		.amdhsa_user_sgpr_dispatch_ptr 0
		.amdhsa_user_sgpr_queue_ptr 0
		.amdhsa_user_sgpr_kernarg_segment_ptr 1
		.amdhsa_user_sgpr_dispatch_id 0
		.amdhsa_user_sgpr_flat_scratch_init 0
		.amdhsa_user_sgpr_private_segment_size 0
		.amdhsa_wavefront_size32 1
		.amdhsa_uses_dynamic_stack 0
		.amdhsa_system_sgpr_private_segment_wavefront_offset 0
		.amdhsa_system_sgpr_workgroup_id_x 1
		.amdhsa_system_sgpr_workgroup_id_y 1
		.amdhsa_system_sgpr_workgroup_id_z 1
		.amdhsa_system_sgpr_workgroup_info 0
		.amdhsa_system_vgpr_workitem_id 0
		.amdhsa_next_free_vgpr 17
		.amdhsa_next_free_sgpr 31
		.amdhsa_reserve_vcc 1
		.amdhsa_reserve_flat_scratch 0
		.amdhsa_float_round_mode_32 0
		.amdhsa_float_round_mode_16_64 0
		.amdhsa_float_denorm_mode_32 3
		.amdhsa_float_denorm_mode_16_64 3
		.amdhsa_dx10_clamp 1
		.amdhsa_ieee_mode 1
		.amdhsa_fp16_overflow 0
		.amdhsa_workgroup_processor_mode 1
		.amdhsa_memory_ordered 1
		.amdhsa_forward_progress 1
		.amdhsa_shared_vgpr_count 0
		.amdhsa_exception_fp_ieee_invalid_op 0
		.amdhsa_exception_fp_denorm_src 0
		.amdhsa_exception_fp_ieee_div_zero 0
		.amdhsa_exception_fp_ieee_overflow 0
		.amdhsa_exception_fp_ieee_underflow 0
		.amdhsa_exception_fp_ieee_inexact 0
		.amdhsa_exception_int_div_zero 0
	.end_amdhsa_kernel
	.section	.text._ZL33flash_attn_stream_k_fixup_generalILi128ELi8ELi1EEvPfPK15HIP_vector_typeIfLj2EEiiiiS1_IjLj3EES5_S5_S5_,"axG",@progbits,_ZL33flash_attn_stream_k_fixup_generalILi128ELi8ELi1EEvPfPK15HIP_vector_typeIfLj2EEiiiiS1_IjLj3EES5_S5_S5_,comdat
.Lfunc_end64:
	.size	_ZL33flash_attn_stream_k_fixup_generalILi128ELi8ELi1EEvPfPK15HIP_vector_typeIfLj2EEiiiiS1_IjLj3EES5_S5_S5_, .Lfunc_end64-_ZL33flash_attn_stream_k_fixup_generalILi128ELi8ELi1EEvPfPK15HIP_vector_typeIfLj2EEiiiiS1_IjLj3EES5_S5_S5_
                                        ; -- End function
	.set _ZL33flash_attn_stream_k_fixup_generalILi128ELi8ELi1EEvPfPK15HIP_vector_typeIfLj2EEiiiiS1_IjLj3EES5_S5_S5_.num_vgpr, 17
	.set _ZL33flash_attn_stream_k_fixup_generalILi128ELi8ELi1EEvPfPK15HIP_vector_typeIfLj2EEiiiiS1_IjLj3EES5_S5_S5_.num_agpr, 0
	.set _ZL33flash_attn_stream_k_fixup_generalILi128ELi8ELi1EEvPfPK15HIP_vector_typeIfLj2EEiiiiS1_IjLj3EES5_S5_S5_.numbered_sgpr, 31
	.set _ZL33flash_attn_stream_k_fixup_generalILi128ELi8ELi1EEvPfPK15HIP_vector_typeIfLj2EEiiiiS1_IjLj3EES5_S5_S5_.num_named_barrier, 0
	.set _ZL33flash_attn_stream_k_fixup_generalILi128ELi8ELi1EEvPfPK15HIP_vector_typeIfLj2EEiiiiS1_IjLj3EES5_S5_S5_.private_seg_size, 0
	.set _ZL33flash_attn_stream_k_fixup_generalILi128ELi8ELi1EEvPfPK15HIP_vector_typeIfLj2EEiiiiS1_IjLj3EES5_S5_S5_.uses_vcc, 1
	.set _ZL33flash_attn_stream_k_fixup_generalILi128ELi8ELi1EEvPfPK15HIP_vector_typeIfLj2EEiiiiS1_IjLj3EES5_S5_S5_.uses_flat_scratch, 0
	.set _ZL33flash_attn_stream_k_fixup_generalILi128ELi8ELi1EEvPfPK15HIP_vector_typeIfLj2EEiiiiS1_IjLj3EES5_S5_S5_.has_dyn_sized_stack, 0
	.set _ZL33flash_attn_stream_k_fixup_generalILi128ELi8ELi1EEvPfPK15HIP_vector_typeIfLj2EEiiiiS1_IjLj3EES5_S5_S5_.has_recursion, 0
	.set _ZL33flash_attn_stream_k_fixup_generalILi128ELi8ELi1EEvPfPK15HIP_vector_typeIfLj2EEiiiiS1_IjLj3EES5_S5_S5_.has_indirect_call, 0
	.section	.AMDGPU.csdata,"",@progbits
; Kernel info:
; codeLenInByte = 2936
; TotalNumSgprs: 33
; NumVgprs: 17
; ScratchSize: 0
; MemoryBound: 0
; FloatMode: 240
; IeeeMode: 1
; LDSByteSize: 0 bytes/workgroup (compile time only)
; SGPRBlocks: 0
; VGPRBlocks: 2
; NumSGPRsForWavesPerEU: 33
; NumVGPRsForWavesPerEU: 17
; Occupancy: 16
; WaveLimiterHint : 0
; COMPUTE_PGM_RSRC2:SCRATCH_EN: 0
; COMPUTE_PGM_RSRC2:USER_SGPR: 6
; COMPUTE_PGM_RSRC2:TRAP_HANDLER: 0
; COMPUTE_PGM_RSRC2:TGID_X_EN: 1
; COMPUTE_PGM_RSRC2:TGID_Y_EN: 1
; COMPUTE_PGM_RSRC2:TGID_Z_EN: 1
; COMPUTE_PGM_RSRC2:TIDIG_COMP_CNT: 0
	.section	.text._ZL15flash_attn_tileILi128ELi128ELi4ELi1ELb0EEvPKcS1_S1_S1_S1_PKiPfP15HIP_vector_typeIfLj2EEffffjfiS5_IjLj3EEiiiiiiiiiiiliiliiiiil,"axG",@progbits,_ZL15flash_attn_tileILi128ELi128ELi4ELi1ELb0EEvPKcS1_S1_S1_S1_PKiPfP15HIP_vector_typeIfLj2EEffffjfiS5_IjLj3EEiiiiiiiiiiiliiliiiiil,comdat
	.globl	_ZL15flash_attn_tileILi128ELi128ELi4ELi1ELb0EEvPKcS1_S1_S1_S1_PKiPfP15HIP_vector_typeIfLj2EEffffjfiS5_IjLj3EEiiiiiiiiiiiliiliiiiil ; -- Begin function _ZL15flash_attn_tileILi128ELi128ELi4ELi1ELb0EEvPKcS1_S1_S1_S1_PKiPfP15HIP_vector_typeIfLj2EEffffjfiS5_IjLj3EEiiiiiiiiiiiliiliiiiil
	.p2align	8
	.type	_ZL15flash_attn_tileILi128ELi128ELi4ELi1ELb0EEvPKcS1_S1_S1_S1_PKiPfP15HIP_vector_typeIfLj2EEffffjfiS5_IjLj3EEiiiiiiiiiiiliiliiiiil,@function
_ZL15flash_attn_tileILi128ELi128ELi4ELi1ELb0EEvPKcS1_S1_S1_S1_PKiPfP15HIP_vector_typeIfLj2EEffffjfiS5_IjLj3EEiiiiiiiiiiiliiliiiiil: ; @_ZL15flash_attn_tileILi128ELi128ELi4ELi1ELb0EEvPKcS1_S1_S1_S1_PKiPfP15HIP_vector_typeIfLj2EEffffjfiS5_IjLj3EEiiiiiiiiiiiliiliiiiil
; %bb.0:
	s_add_u32 s6, s6, s11
	s_addc_u32 s7, s7, 0
	s_setreg_b32 hwreg(HW_REG_FLAT_SCR_LO), s6
	s_setreg_b32 hwreg(HW_REG_FLAT_SCR_HI), s7
	s_clause 0x1
	s_load_dwordx4 s[28:31], s[4:5], 0x5c
	s_load_dwordx2 s[44:45], s[4:5], 0x80
	s_add_u32 s0, s0, s11
	s_addc_u32 s1, s1, 0
	s_mov_b32 s34, s9
	s_load_dwordx2 s[46:47], s[4:5], 0xb8
	s_mov_b64 s[42:43], 0
	s_waitcnt lgkmcnt(0)
	v_cvt_f32_u32_e32 v2, s31
	s_sub_i32 s7, 0, s31
	v_rcp_iflag_f32_e32 v2, v2
	v_mul_f32_e32 v2, 0x4f7ffffe, v2
	v_cvt_u32_f32_e32 v2, v2
	v_readfirstlane_b32 s6, v2
	s_mul_i32 s7, s7, s6
	s_mul_hi_u32 s7, s6, s7
	s_add_i32 s6, s6, s7
	s_mul_hi_u32 s6, s10, s6
	s_mul_i32 s7, s6, s31
	s_add_i32 s9, s6, 1
	s_sub_i32 s7, s10, s7
	s_sub_i32 s11, s7, s31
	s_cmp_ge_u32 s7, s31
	s_cselect_b32 s6, s9, s6
	s_cselect_b32 s7, s11, s7
	s_add_i32 s9, s6, 1
	s_cmp_ge_u32 s7, s31
	s_cselect_b32 s33, s9, s6
	s_abs_i32 s6, s45
	s_abs_i32 s12, s31
	v_cvt_f32_u32_e32 v2, s6
	s_sub_i32 s9, 0, s6
	s_mul_i32 s11, s33, s31
	s_sub_i32 s40, s10, s11
	v_rcp_iflag_f32_e32 v2, v2
	v_mul_f32_e32 v2, 0x4f7ffffe, v2
	v_cvt_u32_f32_e32 v2, v2
	v_readfirstlane_b32 s7, v2
	s_mul_i32 s9, s9, s7
	s_mul_hi_u32 s9, s7, s9
	s_add_i32 s7, s7, s9
	s_xor_b32 s9, s31, s45
	s_mul_hi_u32 s7, s12, s7
	s_ashr_i32 s9, s9, 31
	s_mul_i32 s10, s7, s6
	s_add_i32 s11, s7, 1
	s_sub_i32 s10, s12, s10
	s_sub_i32 s12, s10, s6
	s_cmp_ge_u32 s10, s6
	s_cselect_b32 s7, s11, s7
	s_cselect_b32 s10, s12, s10
	s_add_i32 s11, s7, 1
	s_cmp_ge_u32 s10, s6
	s_load_dwordx16 s[12:27], s[4:5], 0x0
	s_cselect_b32 s6, s11, s7
	s_abs_i32 s45, s40
	s_xor_b32 s6, s6, s9
	s_sub_i32 s10, s6, s9
	s_abs_i32 s35, s10
	v_cvt_f32_u32_e32 v2, s35
	s_sub_i32 s7, 0, s35
	v_rcp_iflag_f32_e32 v2, v2
	v_mul_f32_e32 v2, 0x4f7ffffe, v2
	v_cvt_u32_f32_e32 v2, v2
	v_readfirstlane_b32 s6, v2
	s_mul_i32 s7, s7, s6
	s_mul_hi_u32 s7, s6, s7
	s_add_i32 s6, s6, s7
	s_waitcnt lgkmcnt(0)
	s_cmp_eq_u64 s[18:19], 0
	s_cbranch_scc1 .LBB65_2
; %bb.1:
	s_abs_i32 s7, s46
	s_abs_i32 s38, s33
	v_cvt_f32_u32_e32 v2, s7
	s_sub_i32 s11, 0, s7
	s_load_dwordx2 s[36:37], s[4:5], 0xc8
	v_rcp_iflag_f32_e32 v2, v2
	v_mul_f32_e32 v2, 0x4f7ffffe, v2
	v_cvt_u32_f32_e32 v2, v2
	v_readfirstlane_b32 s9, v2
	s_mul_i32 s11, s11, s9
	s_mul_hi_u32 s11, s9, s11
	s_add_i32 s9, s9, s11
	s_ashr_i32 s11, s33, 31
	s_mul_hi_u32 s9, s38, s9
	s_mul_i32 s9, s9, s7
	s_sub_i32 s9, s38, s9
	s_sub_i32 s38, s9, s7
	s_cmp_ge_u32 s9, s7
	s_cselect_b32 s9, s38, s9
	s_sub_i32 s38, s9, s7
	s_cmp_ge_u32 s9, s7
	s_cselect_b32 s7, s38, s9
	s_xor_b32 s7, s7, s11
	s_sub_i32 s7, s7, s11
	s_ashr_i32 s9, s7, 31
	s_waitcnt lgkmcnt(0)
	s_mul_hi_u32 s11, s36, s7
	s_mul_i32 s9, s36, s9
	s_add_i32 s9, s11, s9
	s_mul_i32 s11, s37, s7
	s_mul_i32 s7, s36, s7
	s_add_i32 s9, s9, s11
	s_add_u32 s42, s18, s7
	s_addc_u32 s43, s19, s9
.LBB65_2:
	s_clause 0x1
	s_load_dwordx4 s[36:39], s[4:5], 0x40
	s_load_dword s7, s[4:5], 0x50
	v_mov_b32_e32 v39, 1.0
	s_waitcnt lgkmcnt(0)
	v_cmp_le_f32_e64 s9, s37, 0
	s_mul_hi_u32 s37, s45, s6
	s_and_b32 vcc_lo, exec_lo, s9
	s_cbranch_vccnz .LBB65_4
; %bb.3:
	v_sub_co_u32 v3, vcc_lo, s40, s7
	v_mov_b32_e32 v2, s38
	s_add_i32 s6, s40, 1
	v_lshlrev_b32_e32 v3, 1, v3
	v_cndmask_b32_e32 v2, s39, v2, vcc_lo
	v_or_b32_e32 v3, 1, v3
	v_cndmask_b32_e64 v3, v3, s6, vcc_lo
	v_cmp_neq_f32_e32 vcc_lo, 1.0, v2
	s_mov_b32 s6, 0x3e76c4e1
	v_cvt_f32_i32_e32 v3, v3
	v_cndmask_b32_e32 v4, 1.0, v3, vcc_lo
	v_cmp_neq_f32_e32 vcc_lo, 0, v4
	v_cndmask_b32_e32 v5, 1.0, v2, vcc_lo
	v_frexp_mant_f32_e64 v2, |v5|
	v_cmp_eq_f32_e64 s9, 0, v5
	v_cmp_gt_f32_e32 vcc_lo, 0x3f2aaaab, v2
	v_cndmask_b32_e64 v3, 1.0, 2.0, vcc_lo
	v_mul_f32_e32 v2, v2, v3
	v_add_f32_e32 v3, 1.0, v2
	v_add_f32_e32 v7, -1.0, v2
	v_rcp_f32_e32 v6, v3
	v_add_f32_e32 v9, -1.0, v3
	v_sub_f32_e32 v2, v2, v9
	v_mul_f32_e32 v8, v7, v6
	v_mul_f32_e32 v10, v3, v8
	v_fma_f32 v3, v8, v3, -v10
	v_fmac_f32_e32 v3, v8, v2
	v_add_f32_e32 v2, v10, v3
	v_sub_f32_e32 v9, v7, v2
	v_sub_f32_e32 v10, v2, v10
	;; [unrolled: 1-line block ×5, first 2 shown]
	v_add_f32_e32 v2, v3, v2
	v_add_f32_e32 v2, v9, v2
	v_mul_f32_e32 v2, v6, v2
	v_add_f32_e32 v6, v8, v2
	v_sub_f32_e32 v3, v6, v8
	v_mul_f32_e32 v7, v6, v6
	v_sub_f32_e32 v8, v2, v3
	v_fma_f32 v2, v6, v6, -v7
	v_add_f32_e32 v3, v8, v8
	v_fmac_f32_e32 v2, v6, v3
	v_add_f32_e32 v9, v7, v2
	v_fmaak_f32 v3, s6, v9, 0x3e91f4c4
	v_sub_f32_e32 v7, v9, v7
	v_mul_f32_e32 v14, v6, v9
	v_fmaak_f32 v3, v9, v3, 0x3ecccdef
	v_sub_f32_e32 v7, v2, v7
	v_fma_f32 v15, v9, v6, -v14
	v_mul_f32_e32 v10, v9, v3
	v_fmac_f32_e32 v15, v9, v8
	v_ldexp_f32 v8, v8, 1
	v_fma_f32 v11, v9, v3, -v10
	v_fmac_f32_e32 v15, v7, v6
	v_fmac_f32_e32 v11, v7, v3
	v_cvt_f64_f32_e64 v[2:3], |v5|
	v_add_f32_e32 v12, v10, v11
	v_sub_f32_e32 v10, v12, v10
	v_add_f32_e32 v13, 0x3f2aaaaa, v12
	v_sub_f32_e32 v10, v11, v10
	v_add_f32_e32 v11, 0xbf2aaaaa, v13
	v_add_f32_e32 v10, 0x31739010, v10
	v_sub_f32_e32 v11, v12, v11
	v_frexp_exp_i32_f64_e32 v2, v[2:3]
	v_add_f32_e32 v9, v10, v11
	v_add_f32_e32 v10, v14, v15
	;; [unrolled: 1-line block ×3, first 2 shown]
	v_sub_f32_e32 v12, v10, v14
	v_sub_f32_e32 v3, v13, v7
	v_mul_f32_e32 v11, v10, v7
	v_sub_f32_e32 v12, v15, v12
	v_add_f32_e32 v3, v9, v3
	v_fma_f32 v9, v10, v7, -v11
	v_subrev_co_ci_u32_e64 v2, null, 0, v2, vcc_lo
	v_fmac_f32_e32 v9, v10, v3
	v_ldexp_f32 v3, v6, 1
	v_cvt_f32_i32_e32 v2, v2
	v_fmac_f32_e32 v9, v12, v7
	v_add_f32_e32 v6, v11, v9
	v_add_f32_e32 v7, v3, v6
	v_sub_f32_e32 v10, v6, v11
	v_mul_f32_e32 v11, 0x3f317218, v2
	v_sub_f32_e32 v3, v7, v3
	v_sub_f32_e32 v9, v9, v10
	v_fma_f32 v10, 0x3f317218, v2, -v11
	v_sub_f32_e32 v3, v6, v3
	v_add_f32_e32 v6, v8, v9
	v_fmamk_f32 v2, v2, 0xb102e308, v10
	v_add_f32_e32 v3, v6, v3
	v_add_f32_e32 v6, v11, v2
	v_add_f32_e32 v8, v7, v3
	v_sub_f32_e32 v11, v6, v11
	v_add_f32_e32 v9, v6, v8
	v_sub_f32_e32 v7, v8, v7
	v_sub_f32_e32 v2, v2, v11
	;; [unrolled: 1-line block ×6, first 2 shown]
	v_add_f32_e32 v8, v2, v3
	v_sub_f32_e32 v6, v6, v12
	v_add_f32_e32 v6, v7, v6
	v_sub_f32_e32 v7, v8, v2
	;; [unrolled: 2-line block ×3, first 2 shown]
	v_sub_f32_e32 v3, v3, v7
	v_add_f32_e32 v10, v9, v6
	v_sub_f32_e32 v2, v2, v8
	v_sub_f32_e32 v7, v10, v9
	v_add_f32_e32 v2, v3, v2
	v_sub_f32_e32 v3, v6, v7
	v_add_f32_e32 v2, v2, v3
	v_add_f32_e32 v3, v10, v2
	v_sub_f32_e32 v6, v3, v10
	v_mul_f32_e32 v7, v4, v3
	v_sub_f32_e32 v2, v2, v6
	v_fma_f32 v3, v4, v3, -v7
	v_cmp_class_f32_e64 vcc_lo, v7, 0x204
	v_fmac_f32_e32 v3, v4, v2
	v_add_f32_e32 v2, v7, v3
	v_cndmask_b32_e32 v6, v2, v7, vcc_lo
	v_sub_f32_e32 v2, v2, v7
	v_cmp_eq_f32_e32 vcc_lo, 0x42b17218, v6
	v_sub_f32_e32 v2, v3, v2
	v_cndmask_b32_e64 v8, 0, 0x37000000, vcc_lo
	v_cmp_neq_f32_e64 vcc_lo, 0x7f800000, |v6|
	v_sub_f32_e32 v9, v6, v8
	v_cndmask_b32_e32 v2, 0, v2, vcc_lo
	v_trunc_f32_e32 v6, v4
	v_mul_f32_e32 v10, 0x3fb8aa3b, v9
	v_cmp_ngt_f32_e32 vcc_lo, 0xc2ce8ed0, v9
	v_add_f32_e32 v2, v8, v2
	v_fma_f32 v11, 0x3fb8aa3b, v9, -v10
	v_rndne_f32_e32 v12, v10
	v_fmamk_f32 v11, v9, 0x32a5705f, v11
	v_sub_f32_e32 v10, v10, v12
	v_cvt_i32_f32_e32 v7, v12
	v_add_f32_e32 v10, v10, v11
	v_exp_f32_e32 v10, v10
	v_ldexp_f32 v3, v10, v7
	v_mul_f32_e32 v7, 0.5, v4
	v_cndmask_b32_e32 v3, 0, v3, vcc_lo
	v_cmp_nlt_f32_e32 vcc_lo, 0x42b17218, v9
	v_trunc_f32_e32 v10, v7
	v_cndmask_b32_e32 v3, 0x7f800000, v3, vcc_lo
	v_cmp_eq_f32_e32 vcc_lo, v6, v4
	v_cmp_neq_f32_e64 s6, v10, v7
	v_fma_f32 v2, v3, v2, v3
	v_cmp_class_f32_e64 s7, v3, 0x204
	s_and_b32 s6, vcc_lo, s6
	v_cndmask_b32_e64 v6, 1.0, v5, s6
	v_cndmask_b32_e64 v2, v2, v3, s7
	v_cmp_gt_f32_e64 s7, 0, v4
	v_bfi_b32 v2, 0x7fffffff, v2, v6
	s_xor_b32 s7, s7, s9
	v_cndmask_b32_e64 v6, 0, v5, s6
	v_cndmask_b32_e64 v3, 0x7f800000, 0, s7
	v_cmp_class_f32_e64 s6, v5, 0x204
	v_cndmask_b32_e32 v4, 0x7fc00000, v2, vcc_lo
	v_cmp_gt_f32_e32 vcc_lo, 0, v5
	v_bfi_b32 v3, 0x7fffffff, v3, v6
	v_cndmask_b32_e32 v2, v2, v4, vcc_lo
	s_or_b32 vcc_lo, s9, s6
	v_cndmask_b32_e32 v2, v2, v3, vcc_lo
	v_cmp_o_f32_e32 vcc_lo, v5, v5
	v_cndmask_b32_e32 v39, 0x7fc00000, v2, vcc_lo
.LBB65_4:
	v_lshl_add_u32 v14, s8, 2, v1
	s_load_dwordx4 s[48:51], s[4:5], 0x70
	s_ashr_i32 s41, s40, 31
	v_lshlrev_b32_e32 v35, 3, v0
	v_lshl_add_u32 v42, v1, 8, 0x2400
	v_mul_hi_u32 v2, s28, v14
	s_ashr_i32 s28, s10, 31
	v_mov_b32_e32 v13, 0
	v_add_nc_u32_e32 v6, v42, v35
	v_add_nc_u32_e32 v2, v14, v2
	v_lshrrev_b32_e32 v2, s29, v2
	s_waitcnt lgkmcnt(0)
	s_mul_i32 s6, s33, s50
	s_mul_i32 s7, s40, s49
	v_mul_lo_u32 v2, v2, s30
	s_ashr_i32 s9, s6, 31
	s_add_u32 s6, s12, s6
	s_addc_u32 s9, s13, s9
	s_ashr_i32 s10, s7, 31
	s_add_u32 s11, s6, s7
	s_addc_u32 s9, s9, s10
	s_ashr_i32 s49, s48, 31
	v_sub_nc_u32_e32 v41, v14, v2
	s_lshr_b64 s[6:7], s[48:49], 2
	s_mov_b32 s7, 0
	v_mad_u64_u32 v[2:3], null, s6, v41, 0
	s_lshr_b32 s6, s49, 2
	s_cmp_eq_u64 s[22:23], 0
	v_mad_u64_u32 v[3:4], null, s6, v41, v[3:4]
	v_lshlrev_b32_e32 v4, 4, v0
	v_lshlrev_b64 v[2:3], 2, v[2:3]
	v_add_co_u32 v2, vcc_lo, s11, v2
	v_add_co_ci_u32_e64 v3, null, s9, v3, vcc_lo
	v_add_co_u32 v2, vcc_lo, v2, v4
	v_add_co_ci_u32_e64 v3, null, 0, v3, vcc_lo
	global_load_dwordx4 v[2:5], v[2:3], off
	s_waitcnt vmcnt(0)
	v_fma_mixlo_f16 v3, s36, v3, 0
	v_fma_mixlo_f16 v2, s36, v2, 0
	v_fma_mixlo_f16 v4, s36, v4, 0
	v_fma_mixlo_f16 v5, s36, v5, 0
	v_lshlrev_b32_e32 v3, 16, v3
	v_and_b32_e32 v2, 0xffff, v2
	v_and_b32_e32 v4, 0xffff, v4
	v_lshlrev_b32_e32 v5, 16, v5
	v_or_b32_e32 v2, v3, v2
	v_or3_b32 v3, v5, v4, 0
	v_or3_b32 v2, 0, 0, v2
	ds_write_b64 v6, v[2:3]
	s_waitcnt lgkmcnt(0)
	s_barrier
	buffer_gl0_inv
	s_cbranch_scc1 .LBB65_6
; %bb.5:
	s_load_dword s6, s[4:5], 0xd0
	s_waitcnt lgkmcnt(0)
	s_mul_i32 s6, s6, s33
	s_add_i32 s6, s6, s8
	s_lshl_b64 s[6:7], s[6:7], 2
	s_add_u32 s6, s22, s6
	s_addc_u32 s7, s23, s7
	s_load_dword s44, s[6:7], 0x0
.LBB65_6:
	s_clause 0x1
	s_load_dwordx2 s[6:7], s[4:5], 0x8c
	s_load_dwordx4 s[8:11], s[4:5], 0x98
	s_ashr_i32 s23, s33, 31
	s_load_dwordx2 s[12:13], s[4:5], 0xa8
	s_ashr_i32 s19, s47, 1
	s_mul_i32 s29, s37, s35
	v_lshlrev_b32_e32 v33, 2, v0
	v_lshrrev_b32_e32 v45, 3, v0
	v_mul_u32_u24_e32 v43, 0x90, v0
	v_lshrrev_b32_e32 v36, 4, v0
	v_mbcnt_lo_u32_b32 v34, -1, 0
	v_and_b32_e32 v44, 28, v33
	v_and_b32_e32 v38, 60, v33
	s_waitcnt lgkmcnt(0)
	s_ashr_i32 s22, s6, 2
	s_ashr_i32 s18, s10, 2
	s_mul_hi_u32 s6, s8, s33
	s_mul_i32 s10, s8, s23
	s_mul_i32 s9, s9, s33
	s_add_i32 s6, s6, s10
	s_mul_i32 s8, s8, s33
	s_add_i32 s6, s6, s9
	s_add_u32 s8, s14, s8
	s_addc_u32 s6, s15, s6
	s_sub_i32 s10, s45, s29
	s_xor_b32 s9, s41, s28
	s_add_i32 s14, s37, 1
	s_sub_i32 s15, s10, s35
	s_cmp_ge_u32 s10, s35
	s_mul_i32 s13, s13, s33
	s_cselect_b32 s14, s14, s37
	s_cselect_b32 s10, s15, s10
	s_add_i32 s15, s14, 1
	s_cmp_ge_u32 s10, s35
	s_cselect_b32 s10, s15, s14
	s_mul_hi_u32 s14, s12, s33
	s_xor_b32 s10, s10, s9
	s_mul_i32 s15, s12, s23
	s_sub_i32 s10, s10, s9
	s_mul_i32 s12, s12, s33
	s_mul_i32 s7, s10, s7
	;; [unrolled: 1-line block ×3, first 2 shown]
	s_ashr_i32 s9, s7, 31
	s_add_u32 s8, s8, s7
	s_addc_u32 s9, s6, s9
	s_add_i32 s6, s14, s15
	s_add_i32 s6, s6, s13
	s_add_u32 s7, s16, s12
	s_addc_u32 s6, s17, s6
	s_ashr_i32 s12, s10, 31
	s_add_u32 s11, s7, s10
	s_addc_u32 s14, s6, s12
	s_lshl_b32 s10, s34, 6
	s_sub_i32 s12, s44, 64
	s_cmp_ge_i32 s10, s12
	s_cbranch_scc1 .LBB65_15
; %bb.7:
	v_lshl_add_u32 v3, v1, 2, v45
	v_lshl_add_u32 v7, v1, 1, v36
	s_lshl_b32 s6, s22, 4
	s_cmp_lg_u64 s[42:43], 0
	v_lshlrev_b32_e32 v8, 2, v38
	v_mul_lo_u32 v2, s22, v3
	v_mul_lo_u32 v4, s18, v7
	s_cselect_b32 s13, -1, 0
	s_lshl_b32 s7, s18, 3
	v_lshl_or_b32 v49, v7, 8, v8
	v_lshlrev_b32_e32 v5, 2, v44
	v_lshl_add_u32 v46, v1, 7, 0x2800
	v_mad_u64_u32 v[16:17], null, v41, s19, v[0:1]
	v_add_nc_u32_e32 v6, s6, v2
	v_add_nc_u32_e32 v11, s7, v4
	v_mad_u32_u24 v47, 0x90, v3, v5
	v_ashrrev_i32_e32 v3, 31, v2
	v_ashrrev_i32_e32 v5, 31, v4
	v_add_nc_u32_e32 v8, s6, v6
	v_add_nc_u32_e32 v29, s7, v11
	v_ashrrev_i32_e32 v7, 31, v6
	v_ashrrev_i32_e32 v12, 31, v11
	v_lshlrev_b64 v[17:18], 2, v[2:3]
	v_add_nc_u32_e32 v23, s6, v8
	v_add_nc_u32_e32 v31, s7, v29
	v_ashrrev_i32_e32 v9, 31, v8
	v_ashrrev_i32_e32 v30, 31, v29
	v_lshlrev_b64 v[19:20], 2, v[6:7]
	v_ashrrev_i32_e32 v24, 31, v23
	v_ashrrev_i32_e32 v32, 31, v31
	v_lshlrev_b64 v[21:22], 2, v[8:9]
	v_lshlrev_b64 v[25:26], 2, v[4:5]
	;; [unrolled: 1-line block ×6, first 2 shown]
	v_mov_b32_e32 v37, 0
	v_lshl_add_u32 v48, v0, 1, v46
	v_add_nc_u32_e32 v50, 0x900, v47
	v_add_nc_u32_e32 v51, 0x1200, v47
	;; [unrolled: 1-line block ×6, first 2 shown]
	v_mov_b32_e32 v10, 0xfeffffff
	v_lshlrev_b32_e32 v56, 2, v44
	v_lshlrev_b32_e32 v57, 2, v38
	v_mbcnt_lo_u32_b32 v58, -1, 0
	v_mov_b32_e32 v59, 0x10001
	v_mov_b32_e32 v40, 0
	;; [unrolled: 1-line block ×3, first 2 shown]
	s_add_u32 s6, s4, 0xd0
	s_addc_u32 s7, s5, 0
.LBB65_8:                               ; =>This Inner Loop Header: Depth=1
	s_mul_hi_i32 s17, s10, s22
	s_mul_i32 s16, s10, s22
	v_mov_b32_e32 v11, 0
	s_lshl_b64 s[16:17], s[16:17], 2
	v_mov_b32_e32 v12, 0
	s_add_u32 s15, s8, s16
	s_addc_u32 s16, s9, s17
	v_add_co_u32 v2, vcc_lo, s15, v17
	v_add_co_ci_u32_e64 v3, null, s16, v18, vcc_lo
	v_add_co_u32 v4, vcc_lo, s15, v19
	v_add_co_ci_u32_e64 v5, null, s16, v20, vcc_lo
	;; [unrolled: 2-line block ×8, first 2 shown]
	s_clause 0x3
	global_load_dwordx4 v[61:64], v[2:3], off
	global_load_dwordx4 v[65:68], v[4:5], off
	;; [unrolled: 1-line block ×4, first 2 shown]
	s_andn2_b32 vcc_lo, exec_lo, s13
	s_waitcnt vmcnt(3)
	ds_write_b128 v47, v[61:64]
	s_waitcnt vmcnt(2)
	ds_write_b128 v50, v[65:68]
	;; [unrolled: 2-line block ×4, first 2 shown]
	s_waitcnt lgkmcnt(0)
	s_barrier
	buffer_gl0_inv
	ds_read_b128 v[61:64], v43
	ds_read_b128 v[65:68], v42
	ds_read_b128 v[69:72], v43 offset:4608
	s_waitcnt lgkmcnt(1)
	;;#ASMSTART
	v_dot2_f32_f16 v11, v61, v65, v11
	;;#ASMEND
	;;#ASMSTART
	v_dot2_f32_f16 v11, v62, v66, v11
	;;#ASMEND
	;;#ASMSTART
	v_dot2_f32_f16 v11, v63, v67, v11
	;;#ASMEND
	;;#ASMSTART
	v_dot2_f32_f16 v11, v64, v68, v11
	;;#ASMEND
	s_waitcnt lgkmcnt(0)
	;;#ASMSTART
	v_dot2_f32_f16 v12, v69, v65, v12
	;;#ASMEND
	;;#ASMSTART
	v_dot2_f32_f16 v12, v70, v66, v12
	;;#ASMEND
	;;#ASMSTART
	v_dot2_f32_f16 v12, v71, v67, v12
	;;#ASMEND
	;;#ASMSTART
	v_dot2_f32_f16 v12, v72, v68, v12
	;;#ASMEND
	ds_read_b128 v[61:64], v43 offset:16
	ds_read_b128 v[65:68], v42 offset:16
	ds_read_b128 v[69:72], v43 offset:4624
	s_waitcnt lgkmcnt(1)
	;;#ASMSTART
	v_dot2_f32_f16 v11, v61, v65, v11
	;;#ASMEND
	;;#ASMSTART
	v_dot2_f32_f16 v11, v62, v66, v11
	;;#ASMEND
	;;#ASMSTART
	v_dot2_f32_f16 v11, v63, v67, v11
	;;#ASMEND
	;;#ASMSTART
	v_dot2_f32_f16 v11, v64, v68, v11
	;;#ASMEND
	s_waitcnt lgkmcnt(0)
	;;#ASMSTART
	v_dot2_f32_f16 v12, v69, v65, v12
	;;#ASMEND
	;;#ASMSTART
	v_dot2_f32_f16 v12, v70, v66, v12
	;;#ASMEND
	;;#ASMSTART
	v_dot2_f32_f16 v12, v71, v67, v12
	;;#ASMEND
	;;#ASMSTART
	v_dot2_f32_f16 v12, v72, v68, v12
	;;#ASMEND
	ds_read_b128 v[61:64], v43 offset:32
	ds_read_b128 v[65:68], v42 offset:32
	;; [unrolled: 29-line block ×7, first 2 shown]
	ds_read_b128 v[69:72], v43 offset:4720
	s_waitcnt lgkmcnt(1)
	;;#ASMSTART
	v_dot2_f32_f16 v11, v61, v65, v11
	;;#ASMEND
	;;#ASMSTART
	v_dot2_f32_f16 v11, v62, v66, v11
	;;#ASMEND
	;; [unrolled: 3-line block ×4, first 2 shown]
	s_waitcnt lgkmcnt(0)
	;;#ASMSTART
	v_dot2_f32_f16 v12, v69, v65, v12
	;;#ASMEND
	;;#ASMSTART
	v_dot2_f32_f16 v12, v70, v66, v12
	;;#ASMEND
	;; [unrolled: 3-line block ×4, first 2 shown]
	s_barrier
	buffer_gl0_inv
	s_clause 0x3
	global_load_dwordx4 v[61:64], v[2:3], off offset:128
	global_load_dwordx4 v[2:5], v[4:5], off offset:128
	;; [unrolled: 1-line block ×4, first 2 shown]
	s_waitcnt vmcnt(3)
	ds_write_b128 v47, v[61:64]
	s_waitcnt vmcnt(2)
	ds_write_b128 v50, v[2:5]
	;; [unrolled: 2-line block ×4, first 2 shown]
	s_waitcnt lgkmcnt(0)
	s_barrier
	buffer_gl0_inv
	ds_read_b128 v[2:5], v43
	ds_read_b128 v[6:9], v42 offset:128
	ds_read_b128 v[61:64], v43 offset:4608
	s_waitcnt lgkmcnt(1)
	;;#ASMSTART
	v_dot2_f32_f16 v11, v2, v6, v11
	;;#ASMEND
	;;#ASMSTART
	v_dot2_f32_f16 v11, v3, v7, v11
	;;#ASMEND
	;;#ASMSTART
	v_dot2_f32_f16 v11, v4, v8, v11
	;;#ASMEND
	;;#ASMSTART
	v_dot2_f32_f16 v11, v5, v9, v11
	;;#ASMEND
	s_waitcnt lgkmcnt(0)
	;;#ASMSTART
	v_dot2_f32_f16 v12, v61, v6, v12
	;;#ASMEND
	;;#ASMSTART
	v_dot2_f32_f16 v12, v62, v7, v12
	;;#ASMEND
	;;#ASMSTART
	v_dot2_f32_f16 v12, v63, v8, v12
	;;#ASMEND
	;;#ASMSTART
	v_dot2_f32_f16 v12, v64, v9, v12
	;;#ASMEND
	ds_read_b128 v[2:5], v43 offset:16
	ds_read_b128 v[6:9], v42 offset:144
	ds_read_b128 v[61:64], v43 offset:4624
	s_waitcnt lgkmcnt(1)
	;;#ASMSTART
	v_dot2_f32_f16 v11, v2, v6, v11
	;;#ASMEND
	;;#ASMSTART
	v_dot2_f32_f16 v11, v3, v7, v11
	;;#ASMEND
	;;#ASMSTART
	v_dot2_f32_f16 v11, v4, v8, v11
	;;#ASMEND
	;;#ASMSTART
	v_dot2_f32_f16 v11, v5, v9, v11
	;;#ASMEND
	s_waitcnt lgkmcnt(0)
	;;#ASMSTART
	v_dot2_f32_f16 v12, v61, v6, v12
	;;#ASMEND
	;;#ASMSTART
	v_dot2_f32_f16 v12, v62, v7, v12
	;;#ASMEND
	;;#ASMSTART
	v_dot2_f32_f16 v12, v63, v8, v12
	;;#ASMEND
	;;#ASMSTART
	v_dot2_f32_f16 v12, v64, v9, v12
	;;#ASMEND
	ds_read_b128 v[2:5], v43 offset:32
	;; [unrolled: 29-line block ×7, first 2 shown]
	ds_read_b128 v[61:64], v42 offset:240
	ds_read_b128 v[65:68], v43 offset:4720
	v_add_nc_u32_e32 v2, s10, v16
	s_waitcnt lgkmcnt(1)
	;;#ASMSTART
	v_dot2_f32_f16 v11, v5, v61, v11
	;;#ASMEND
	v_mov_b32_e32 v4, 0
	v_ashrrev_i32_e32 v3, 31, v2
	;;#ASMSTART
	v_dot2_f32_f16 v11, v6, v62, v11
	;;#ASMEND
	;;#ASMSTART
	v_dot2_f32_f16 v11, v7, v63, v11
	;;#ASMEND
	;; [unrolled: 3-line block ×3, first 2 shown]
	s_waitcnt lgkmcnt(0)
	;;#ASMSTART
	v_dot2_f32_f16 v12, v65, v61, v12
	;;#ASMEND
	;;#ASMSTART
	v_dot2_f32_f16 v12, v66, v62, v12
	;;#ASMEND
	;; [unrolled: 3-line block ×4, first 2 shown]
	s_cbranch_vccnz .LBB65_10
; %bb.9:                                ;   in Loop: Header=BB65_8 Depth=1
	v_lshlrev_b64 v[4:5], 1, v[2:3]
	v_add_co_u32 v4, vcc_lo, s42, v4
	v_add_co_ci_u32_e64 v5, null, s43, v5, vcc_lo
	global_load_ushort v4, v[4:5], off
	s_waitcnt vmcnt(0)
	v_cvt_f32_f16_e32 v4, v4
	v_mul_f32_e32 v4, v39, v4
.LBB65_10:                              ;   in Loop: Header=BB65_8 Depth=1
	s_andn2_b32 vcc_lo, exec_lo, s13
	s_cbranch_vccnz .LBB65_12
; %bb.11:                               ;   in Loop: Header=BB65_8 Depth=1
	v_lshlrev_b64 v[2:3], 1, v[2:3]
	v_add_co_u32 v2, vcc_lo, s42, v2
	v_add_co_ci_u32_e64 v3, null, s43, v3, vcc_lo
	global_load_ushort v2, v[2:3], off offset:64
	s_waitcnt vmcnt(0)
	v_cvt_f32_f16_e32 v2, v2
	v_mul_f32_e32 v2, v39, v2
	s_branch .LBB65_13
.LBB65_12:                              ;   in Loop: Header=BB65_8 Depth=1
	v_mov_b32_e32 v2, 0
.LBB65_13:                              ;   in Loop: Header=BB65_8 Depth=1
	s_mul_hi_i32 s17, s10, s18
	s_mul_i32 s16, s10, s18
	s_lshl_b64 s[16:17], s[16:17], 2
	s_barrier
	s_add_u32 s15, s11, s16
	s_addc_u32 s16, s14, s17
	v_add_co_u32 v3, vcc_lo, s15, v25
	v_add_co_ci_u32_e64 v6, null, s16, v26, vcc_lo
	v_add_co_u32 v7, vcc_lo, s15, v27
	v_add_co_ci_u32_e64 v8, null, s16, v28, vcc_lo
	;; [unrolled: 2-line block ×8, first 2 shown]
	buffer_gl0_inv
	s_clause 0x3
	global_load_dwordx4 v[5:8], v[5:6], off
	global_load_dwordx4 v[63:66], v[61:62], off
	global_load_dwordx4 v[67:70], v[67:68], off
	global_load_dwordx4 v[71:74], v[71:72], off
	v_add_f32_e32 v3, v11, v4
	v_xor_b32_e32 v4, 16, v58
	v_add_f32_e32 v2, v12, v2
	s_or_b32 s15, s10, 32
	v_add_f32_e32 v9, 0x40051340, v3
	v_cmp_gt_i32_e32 vcc_lo, 32, v4
	v_add_f32_e32 v11, 0x40051340, v2
	s_mul_hi_i32 s17, s15, s18
	s_mul_i32 s16, s15, s18
	v_cndmask_b32_e32 v4, v58, v4, vcc_lo
	v_max3_f32 v9, v10, v9, v11
	v_xor_b32_e32 v11, 8, v58
	s_lshl_b64 s[16:17], s[16:17], 2
	v_lshlrev_b32_e32 v4, 2, v4
	s_add_u32 s15, s11, s16
	v_cmp_gt_i32_e32 vcc_lo, 32, v11
	s_addc_u32 s16, s14, s17
	ds_bpermute_b32 v4, v4, v9
	v_cndmask_b32_e32 v11, v58, v11, vcc_lo
	v_lshlrev_b32_e32 v11, 2, v11
	s_waitcnt lgkmcnt(0)
	v_max_f32_e32 v4, v4, v4
	v_max_f32_e32 v4, v9, v4
	ds_bpermute_b32 v9, v11, v4
	v_xor_b32_e32 v11, 4, v58
	v_cmp_gt_i32_e32 vcc_lo, 32, v11
	v_cndmask_b32_e32 v11, v58, v11, vcc_lo
	v_lshlrev_b32_e32 v11, 2, v11
	s_waitcnt lgkmcnt(0)
	v_max_f32_e32 v9, v9, v9
	v_max_f32_e32 v4, v4, v9
	ds_bpermute_b32 v9, v11, v4
	v_xor_b32_e32 v11, 2, v58
	v_cmp_gt_i32_e32 vcc_lo, 32, v11
	;; [unrolled: 8-line block ×3, first 2 shown]
	v_cndmask_b32_e32 v11, v58, v11, vcc_lo
	v_lshlrev_b32_e32 v11, 2, v11
	s_waitcnt lgkmcnt(0)
	v_max_f32_e32 v9, v9, v9
	v_max_f32_e32 v4, v4, v9
	ds_bpermute_b32 v9, v11, v4
	s_waitcnt lgkmcnt(0)
	v_max_f32_e32 v9, v9, v9
	v_max_f32_e32 v15, v4, v9
	v_sub_f32_e32 v3, v3, v15
	v_sub_f32_e32 v2, v2, v15
	;; [unrolled: 1-line block ×3, first 2 shown]
	v_mul_f32_e32 v4, 0x3fb8aa3b, v3
	v_mul_f32_e32 v9, 0x3fb8aa3b, v2
	v_cmp_ngt_f32_e32 vcc_lo, 0xc2ce8ed0, v3
	v_fma_f32 v11, 0x3fb8aa3b, v3, -v4
	v_rndne_f32_e32 v12, v4
	v_fma_f32 v13, 0x3fb8aa3b, v2, -v9
	v_rndne_f32_e32 v61, v9
	v_fmac_f32_e32 v11, 0x32a5705f, v3
	v_sub_f32_e32 v4, v4, v12
	v_fmac_f32_e32 v13, 0x32a5705f, v2
	v_sub_f32_e32 v9, v9, v61
	v_cvt_i32_f32_e32 v12, v12
	v_add_f32_e32 v4, v4, v11
	v_mul_f32_e32 v11, 0x3fb8aa3b, v10
	v_add_f32_e32 v9, v9, v13
	v_cvt_i32_f32_e32 v13, v61
	v_exp_f32_e32 v4, v4
	v_fma_f32 v75, 0x3fb8aa3b, v10, -v11
	v_exp_f32_e32 v9, v9
	v_fmac_f32_e32 v75, 0x32a5705f, v10
	v_ldexp_f32 v4, v4, v12
	v_rndne_f32_e32 v12, v11
	v_ldexp_f32 v9, v9, v13
	v_cndmask_b32_e32 v4, 0, v4, vcc_lo
	v_cmp_ngt_f32_e32 vcc_lo, 0xc2ce8ed0, v2
	v_sub_f32_e32 v11, v11, v12
	v_cndmask_b32_e32 v9, 0, v9, vcc_lo
	v_cmp_nlt_f32_e32 vcc_lo, 0x42b17218, v3
	v_cndmask_b32_e32 v61, 0x7f800000, v4, vcc_lo
	v_cmp_nlt_f32_e32 vcc_lo, 0x42b17218, v2
	v_add_f32_e32 v2, v11, v75
	v_cvt_i32_f32_e32 v11, v12
	v_cvt_f16_f32_e32 v3, v61
	v_cndmask_b32_e32 v62, 0x7f800000, v9, vcc_lo
	v_exp_f32_e32 v2, v2
	v_cmp_ngt_f32_e32 vcc_lo, 0xc2ce8ed0, v10
	v_cvt_f16_f32_e32 v4, v62
	ds_write_b16 v48, v3
	ds_write_b16 v48, v4 offset:64
	s_waitcnt vmcnt(3)
	ds_write_b128 v49, v[5:8]
	s_waitcnt vmcnt(2)
	ds_write_b128 v53, v[63:66]
	;; [unrolled: 2-line block ×4, first 2 shown]
	s_waitcnt lgkmcnt(0)
	s_barrier
	buffer_gl0_inv
	ds_read_b128 v[6:9], v46
	v_ldexp_f32 v2, v2, v11
	ds_read2_b64 v[64:67], v35 offset1:32
	v_cndmask_b32_e32 v2, 0, v2, vcc_lo
	v_cmp_nlt_f32_e32 vcc_lo, 0x42b17218, v10
	v_cndmask_b32_e32 v63, 0x7f800000, v2, vcc_lo
	ds_read_b128 v[2:5], v46 offset:16
	ds_read2_b64 v[68:71], v35 offset0:64 offset1:96
	v_cvt_f16_f32_e32 v10, v63
	s_waitcnt lgkmcnt(3)
	v_mul_u32_u24_sdwa v11, v6, v59 dst_sel:DWORD dst_unused:UNUSED_PAD src0_sel:WORD_0 src1_sel:DWORD
	v_mul_u32_u24_sdwa v6, v6, v59 dst_sel:DWORD dst_unused:UNUSED_PAD src0_sel:WORD_1 src1_sel:DWORD
	v_mul_u32_u24_sdwa v72, v10, v59 dst_sel:DWORD dst_unused:UNUSED_PAD src0_sel:WORD_0 src1_sel:DWORD
	s_waitcnt lgkmcnt(2)
	v_pk_mul_f16 v64, v64, v11
	v_pk_mul_f16 v65, v65, v11
	ds_read2_b64 v[10:13], v35 offset0:128 offset1:160
	v_pk_fma_f16 v37, v37, v72, v64
	v_pk_fma_f16 v64, v40, v72, v65
	v_mul_u32_u24_sdwa v72, v7, v59 dst_sel:DWORD dst_unused:UNUSED_PAD src0_sel:WORD_0 src1_sel:DWORD
	v_mul_u32_u24_sdwa v7, v7, v59 dst_sel:DWORD dst_unused:UNUSED_PAD src0_sel:WORD_1 src1_sel:DWORD
	v_add_nc_u32_e32 v40, 0x800, v35
	v_pk_fma_f16 v73, v66, v6, v37
	v_pk_fma_f16 v6, v67, v6, v64
	ds_read2_b64 v[64:67], v35 offset0:192 offset1:224
	v_add_nc_u32_e32 v37, 0x1000, v35
	s_waitcnt lgkmcnt(3)
	v_mul_u32_u24_sdwa v80, v5, v59 dst_sel:DWORD dst_unused:UNUSED_PAD src0_sel:WORD_1 src1_sel:DWORD
	s_waitcnt lgkmcnt(2)
	v_pk_fma_f16 v68, v68, v72, v73
	v_pk_fma_f16 v69, v69, v72, v6
	v_mul_u32_u24_sdwa v72, v8, v59 dst_sel:DWORD dst_unused:UNUSED_PAD src0_sel:WORD_0 src1_sel:DWORD
	v_mul_u32_u24_sdwa v8, v8, v59 dst_sel:DWORD dst_unused:UNUSED_PAD src0_sel:WORD_1 src1_sel:DWORD
	v_add_nc_u32_e32 v6, 0x1800, v35
	v_pk_fma_f16 v68, v70, v7, v68
	v_pk_fma_f16 v7, v71, v7, v69
	s_waitcnt lgkmcnt(1)
	v_pk_fma_f16 v10, v10, v72, v68
	v_pk_fma_f16 v7, v11, v72, v7
	ds_read2_b64 v[68:71], v40 offset1:32
	v_mul_u32_u24_sdwa v11, v9, v59 dst_sel:DWORD dst_unused:UNUSED_PAD src0_sel:WORD_0 src1_sel:DWORD
	v_add_co_u32 v72, vcc_lo, s15, v25
	v_pk_fma_f16 v10, v12, v8, v10
	v_pk_fma_f16 v7, v13, v8, v7
	v_mul_u32_u24_sdwa v12, v9, v59 dst_sel:DWORD dst_unused:UNUSED_PAD src0_sel:WORD_1 src1_sel:DWORD
	v_add_co_ci_u32_e64 v73, null, s16, v26, vcc_lo
	s_waitcnt lgkmcnt(1)
	v_pk_fma_f16 v13, v64, v11, v10
	v_pk_fma_f16 v11, v65, v11, v7
	ds_read2_b64 v[7:10], v40 offset0:64 offset1:96
	v_mul_u32_u24_sdwa v64, v2, v59 dst_sel:DWORD dst_unused:UNUSED_PAD src0_sel:WORD_0 src1_sel:DWORD
	v_mul_u32_u24_sdwa v2, v2, v59 dst_sel:DWORD dst_unused:UNUSED_PAD src0_sel:WORD_1 src1_sel:DWORD
	v_pk_fma_f16 v13, v66, v12, v13
	v_pk_fma_f16 v11, v67, v12, v11
	v_add_co_u32 v74, vcc_lo, s15, v27
	v_add_co_ci_u32_e64 v75, null, s16, v28, vcc_lo
	s_waitcnt lgkmcnt(1)
	v_pk_fma_f16 v12, v68, v64, v13
	v_pk_fma_f16 v11, v69, v64, v11
	ds_read2_b64 v[64:67], v40 offset0:128 offset1:160
	v_mul_u32_u24_sdwa v68, v3, v59 dst_sel:DWORD dst_unused:UNUSED_PAD src0_sel:WORD_0 src1_sel:DWORD
	v_add_co_u32 v13, vcc_lo, s15, v29
	v_pk_fma_f16 v12, v70, v2, v12
	v_pk_fma_f16 v2, v71, v2, v11
	v_mul_u32_u24_sdwa v3, v3, v59 dst_sel:DWORD dst_unused:UNUSED_PAD src0_sel:WORD_1 src1_sel:DWORD
	v_add_co_ci_u32_e64 v76, null, s16, v30, vcc_lo
	s_waitcnt lgkmcnt(1)
	v_pk_fma_f16 v7, v7, v68, v12
	v_pk_fma_f16 v2, v8, v68, v2
	ds_read2_b64 v[68:71], v40 offset0:192 offset1:224
	v_add_co_u32 v77, vcc_lo, s15, v31
	v_add_co_ci_u32_e64 v78, null, s16, v32, vcc_lo
	v_add_co_u32 v11, vcc_lo, v72, v57
	v_add_co_ci_u32_e64 v12, null, 0, v73, vcc_lo
	v_mul_u32_u24_sdwa v72, v4, v59 dst_sel:DWORD dst_unused:UNUSED_PAD src0_sel:WORD_0 src1_sel:DWORD
	v_pk_fma_f16 v73, v9, v3, v7
	v_pk_fma_f16 v2, v10, v3, v2
	ds_read_b128 v[7:10], v46 offset:32
	v_add_co_u32 v92, vcc_lo, v74, v57
	v_add_co_ci_u32_e64 v93, null, 0, v75, vcc_lo
	v_mul_u32_u24_sdwa v3, v4, v59 dst_sel:DWORD dst_unused:UNUSED_PAD src0_sel:WORD_1 src1_sel:DWORD
	s_waitcnt lgkmcnt(2)
	v_pk_fma_f16 v4, v64, v72, v73
	v_pk_fma_f16 v2, v65, v72, v2
	ds_read2_b64 v[72:75], v37 offset1:32
	v_add_co_u32 v96, vcc_lo, v13, v57
	v_mul_u32_u24_sdwa v13, v5, v59 dst_sel:DWORD dst_unused:UNUSED_PAD src0_sel:WORD_0 src1_sel:DWORD
	v_pk_fma_f16 v4, v66, v3, v4
	v_pk_fma_f16 v2, v67, v3, v2
	ds_read2_b64 v[64:67], v37 offset0:64 offset1:96
	v_add_co_ci_u32_e64 v97, null, 0, v76, vcc_lo
	s_waitcnt lgkmcnt(3)
	v_pk_fma_f16 v68, v68, v13, v4
	v_pk_fma_f16 v13, v69, v13, v2
	v_add_co_u32 v98, vcc_lo, v77, v57
	s_waitcnt lgkmcnt(2)
	v_mul_u32_u24_sdwa v84, v7, v59 dst_sel:DWORD dst_unused:UNUSED_PAD src0_sel:WORD_0 src1_sel:DWORD
	v_pk_fma_f16 v85, v70, v80, v68
	v_pk_fma_f16 v13, v71, v80, v13
	v_add_co_ci_u32_e64 v99, null, 0, v78, vcc_lo
	ds_read_b128 v[2:5], v46 offset:48
	ds_read2_b64 v[76:79], v37 offset0:128 offset1:160
	v_mul_u32_u24_sdwa v7, v7, v59 dst_sel:DWORD dst_unused:UNUSED_PAD src0_sel:WORD_1 src1_sel:DWORD
	s_waitcnt lgkmcnt(3)
	v_pk_fma_f16 v72, v72, v84, v85
	v_pk_fma_f16 v13, v73, v84, v13
	v_mul_u32_u24_sdwa v94, v8, v59 dst_sel:DWORD dst_unused:UNUSED_PAD src0_sel:WORD_0 src1_sel:DWORD
	v_mul_u32_u24_sdwa v8, v8, v59 dst_sel:DWORD dst_unused:UNUSED_PAD src0_sel:WORD_1 src1_sel:DWORD
	v_mul_u32_u24_sdwa v100, v9, v59 dst_sel:DWORD dst_unused:UNUSED_PAD src0_sel:WORD_0 src1_sel:DWORD
	v_pk_fma_f16 v95, v74, v7, v72
	v_pk_fma_f16 v7, v75, v7, v13
	ds_read2_b64 v[68:71], v37 offset0:192 offset1:224
	ds_read2_b64 v[80:83], v6 offset1:32
	ds_read2_b64 v[84:87], v6 offset0:64 offset1:96
	ds_read2_b64 v[88:91], v6 offset0:128 offset1:160
	;; [unrolled: 1-line block ×3, first 2 shown]
	s_waitcnt lgkmcnt(7)
	v_pk_fma_f16 v13, v64, v94, v95
	v_pk_fma_f16 v7, v65, v94, v7
	s_waitcnt lgkmcnt(0)
	s_barrier
	buffer_gl0_inv
	v_pk_fma_f16 v13, v66, v8, v13
	v_pk_fma_f16 v7, v67, v8, v7
	s_clause 0x1
	global_load_dwordx4 v[64:67], v[11:12], off
	global_load_dwordx4 v[92:95], v[92:93], off
	v_mul_u32_u24_sdwa v11, v9, v59 dst_sel:DWORD dst_unused:UNUSED_PAD src0_sel:WORD_1 src1_sel:DWORD
	v_mul_u32_u24_sdwa v12, v10, v59 dst_sel:DWORD dst_unused:UNUSED_PAD src0_sel:WORD_0 src1_sel:DWORD
	v_mul_u32_u24_sdwa v101, v10, v59 dst_sel:DWORD dst_unused:UNUSED_PAD src0_sel:WORD_1 src1_sel:DWORD
	v_pk_fma_f16 v13, v76, v100, v13
	v_pk_fma_f16 v76, v77, v100, v7
	s_clause 0x1
	global_load_dwordx4 v[7:10], v[96:97], off
	global_load_dwordx4 v[96:99], v[98:99], off
	s_waitcnt vmcnt(3)
	ds_write_b128 v49, v[64:67]
	s_waitcnt vmcnt(2)
	ds_write_b128 v53, v[92:95]
	;; [unrolled: 2-line block ×4, first 2 shown]
	v_pk_fma_f16 v13, v78, v11, v13
	v_pk_fma_f16 v11, v79, v11, v76
	s_waitcnt lgkmcnt(0)
	s_barrier
	buffer_gl0_inv
	v_pk_fma_f16 v13, v68, v12, v13
	v_pk_fma_f16 v11, v69, v12, v11
	v_mul_u32_u24_sdwa v68, v2, v59 dst_sel:DWORD dst_unused:UNUSED_PAD src0_sel:WORD_0 src1_sel:DWORD
	v_mul_u32_u24_sdwa v2, v2, v59 dst_sel:DWORD dst_unused:UNUSED_PAD src0_sel:WORD_1 src1_sel:DWORD
	ds_read_b128 v[7:10], v46 offset:64
	v_pk_fma_f16 v12, v70, v101, v13
	v_pk_fma_f16 v11, v71, v101, v11
	v_mul_u32_u24_sdwa v13, v3, v59 dst_sel:DWORD dst_unused:UNUSED_PAD src0_sel:WORD_0 src1_sel:DWORD
	v_mul_u32_u24_sdwa v3, v3, v59 dst_sel:DWORD dst_unused:UNUSED_PAD src0_sel:WORD_1 src1_sel:DWORD
	ds_read2_b64 v[64:67], v35 offset1:32
	v_pk_fma_f16 v12, v80, v68, v12
	v_pk_fma_f16 v11, v81, v68, v11
	;; [unrolled: 1-line block ×6, first 2 shown]
	v_mul_u32_u24_sdwa v12, v4, v59 dst_sel:DWORD dst_unused:UNUSED_PAD src0_sel:WORD_0 src1_sel:DWORD
	v_mul_u32_u24_sdwa v13, v5, v59 dst_sel:DWORD dst_unused:UNUSED_PAD src0_sel:WORD_1 src1_sel:DWORD
	v_pk_fma_f16 v11, v86, v3, v11
	v_pk_fma_f16 v2, v87, v3, v2
	v_mul_u32_u24_sdwa v3, v4, v59 dst_sel:DWORD dst_unused:UNUSED_PAD src0_sel:WORD_1 src1_sel:DWORD
	v_pk_fma_f16 v4, v88, v12, v11
	v_pk_fma_f16 v2, v89, v12, v2
	v_mul_u32_u24_sdwa v11, v5, v59 dst_sel:DWORD dst_unused:UNUSED_PAD src0_sel:WORD_0 src1_sel:DWORD
	v_pk_fma_f16 v4, v90, v3, v4
	v_pk_fma_f16 v12, v91, v3, v2
	;; [unrolled: 1-line block ×3, first 2 shown]
	ds_read2_b64 v[2:5], v35 offset0:64 offset1:96
	v_pk_fma_f16 v11, v73, v11, v12
	v_pk_fma_f16 v12, v74, v13, v68
	ds_read_b128 v[68:71], v46 offset:80
	s_waitcnt lgkmcnt(3)
	v_mul_u32_u24_sdwa v76, v7, v59 dst_sel:DWORD dst_unused:UNUSED_PAD src0_sel:WORD_0 src1_sel:DWORD
	v_pk_fma_f16 v11, v75, v13, v11
	ds_read2_b64 v[72:75], v35 offset0:128 offset1:160
	v_mul_u32_u24_sdwa v7, v7, v59 dst_sel:DWORD dst_unused:UNUSED_PAD src0_sel:WORD_1 src1_sel:DWORD
	v_mul_u32_u24_sdwa v13, v8, v59 dst_sel:DWORD dst_unused:UNUSED_PAD src0_sel:WORD_0 src1_sel:DWORD
	s_waitcnt lgkmcnt(3)
	v_pk_fma_f16 v12, v64, v76, v12
	v_pk_fma_f16 v11, v65, v76, v11
	v_mul_u32_u24_sdwa v8, v8, v59 dst_sel:DWORD dst_unused:UNUSED_PAD src0_sel:WORD_1 src1_sel:DWORD
	v_pk_fma_f16 v12, v66, v7, v12
	v_pk_fma_f16 v7, v67, v7, v11
	ds_read2_b64 v[64:67], v35 offset0:192 offset1:224
	s_waitcnt lgkmcnt(3)
	v_pk_fma_f16 v2, v2, v13, v12
	v_pk_fma_f16 v3, v3, v13, v7
	v_mul_u32_u24_sdwa v7, v9, v59 dst_sel:DWORD dst_unused:UNUSED_PAD src0_sel:WORD_0 src1_sel:DWORD
	v_mul_u32_u24_sdwa v9, v9, v59 dst_sel:DWORD dst_unused:UNUSED_PAD src0_sel:WORD_1 src1_sel:DWORD
	v_pk_fma_f16 v11, v4, v8, v2
	v_pk_fma_f16 v8, v5, v8, v3
	ds_read2_b64 v[2:5], v40 offset1:32
	s_waitcnt lgkmcnt(2)
	v_pk_fma_f16 v11, v72, v7, v11
	v_pk_fma_f16 v7, v73, v7, v8
	v_mul_u32_u24_sdwa v8, v10, v59 dst_sel:DWORD dst_unused:UNUSED_PAD src0_sel:WORD_0 src1_sel:DWORD
	v_pk_fma_f16 v11, v74, v9, v11
	v_pk_fma_f16 v7, v75, v9, v7
	ds_read2_b64 v[72:75], v40 offset0:64 offset1:96
	v_mul_u32_u24_sdwa v9, v10, v59 dst_sel:DWORD dst_unused:UNUSED_PAD src0_sel:WORD_1 src1_sel:DWORD
	s_waitcnt lgkmcnt(2)
	v_pk_fma_f16 v10, v64, v8, v11
	v_pk_fma_f16 v7, v65, v8, v7
	v_mul_u32_u24_sdwa v11, v68, v59 dst_sel:DWORD dst_unused:UNUSED_PAD src0_sel:WORD_0 src1_sel:DWORD
	v_mul_u32_u24_sdwa v64, v68, v59 dst_sel:DWORD dst_unused:UNUSED_PAD src0_sel:WORD_1 src1_sel:DWORD
	v_pk_fma_f16 v12, v66, v9, v10
	v_pk_fma_f16 v13, v67, v9, v7
	ds_read2_b64 v[7:10], v40 offset0:128 offset1:160
	s_waitcnt lgkmcnt(2)
	v_pk_fma_f16 v2, v2, v11, v12
	v_pk_fma_f16 v3, v3, v11, v13
	v_mul_u32_u24_sdwa v11, v69, v59 dst_sel:DWORD dst_unused:UNUSED_PAD src0_sel:WORD_0 src1_sel:DWORD
	v_pk_fma_f16 v12, v4, v64, v2
	v_pk_fma_f16 v13, v5, v64, v3
	ds_read2_b64 v[2:5], v40 offset0:192 offset1:224
	v_mul_u32_u24_sdwa v40, v69, v59 dst_sel:DWORD dst_unused:UNUSED_PAD src0_sel:WORD_1 src1_sel:DWORD
	ds_read_b128 v[64:67], v46 offset:96
	s_waitcnt lgkmcnt(3)
	v_pk_fma_f16 v12, v72, v11, v12
	v_pk_fma_f16 v11, v73, v11, v13
	v_mul_u32_u24_sdwa v13, v70, v59 dst_sel:DWORD dst_unused:UNUSED_PAD src0_sel:WORD_0 src1_sel:DWORD
	v_pk_fma_f16 v12, v74, v40, v12
	v_pk_fma_f16 v11, v75, v40, v11
	ds_read2_b64 v[72:75], v37 offset1:32
	v_mul_u32_u24_sdwa v40, v70, v59 dst_sel:DWORD dst_unused:UNUSED_PAD src0_sel:WORD_1 src1_sel:DWORD
	s_waitcnt lgkmcnt(3)
	v_pk_fma_f16 v7, v7, v13, v12
	v_pk_fma_f16 v8, v8, v13, v11
	v_mul_u32_u24_sdwa v11, v71, v59 dst_sel:DWORD dst_unused:UNUSED_PAD src0_sel:WORD_0 src1_sel:DWORD
	v_pk_fma_f16 v12, v9, v40, v7
	v_pk_fma_f16 v13, v10, v40, v8
	ds_read2_b64 v[7:10], v37 offset0:64 offset1:96
	v_mul_u32_u24_sdwa v40, v71, v59 dst_sel:DWORD dst_unused:UNUSED_PAD src0_sel:WORD_1 src1_sel:DWORD
	ds_read_b128 v[68:71], v46 offset:112
	s_waitcnt lgkmcnt(4)
	v_pk_fma_f16 v2, v2, v11, v12
	v_pk_fma_f16 v3, v3, v11, v13
	s_waitcnt lgkmcnt(3)
	v_mul_u32_u24_sdwa v11, v64, v59 dst_sel:DWORD dst_unused:UNUSED_PAD src0_sel:WORD_0 src1_sel:DWORD
	v_pk_fma_f16 v12, v4, v40, v2
	v_pk_fma_f16 v13, v5, v40, v3
	ds_read2_b64 v[2:5], v37 offset0:128 offset1:160
	v_mul_u32_u24_sdwa v40, v64, v59 dst_sel:DWORD dst_unused:UNUSED_PAD src0_sel:WORD_1 src1_sel:DWORD
	s_waitcnt lgkmcnt(3)
	v_pk_fma_f16 v12, v72, v11, v12
	v_pk_fma_f16 v11, v73, v11, v13
	v_mul_u32_u24_sdwa v13, v65, v59 dst_sel:DWORD dst_unused:UNUSED_PAD src0_sel:WORD_0 src1_sel:DWORD
	v_pk_fma_f16 v12, v74, v40, v12
	v_pk_fma_f16 v11, v75, v40, v11
	ds_read2_b64 v[72:75], v37 offset0:192 offset1:224
	v_mul_u32_u24_sdwa v37, v65, v59 dst_sel:DWORD dst_unused:UNUSED_PAD src0_sel:WORD_1 src1_sel:DWORD
	s_waitcnt lgkmcnt(3)
	v_pk_fma_f16 v7, v7, v13, v12
	v_pk_fma_f16 v8, v8, v13, v11
	v_mul_u32_u24_sdwa v11, v66, v59 dst_sel:DWORD dst_unused:UNUSED_PAD src0_sel:WORD_0 src1_sel:DWORD
	v_pk_fma_f16 v12, v9, v37, v7
	v_pk_fma_f16 v13, v10, v37, v8
	ds_read2_b64 v[7:10], v6 offset1:32
	v_mul_u32_u24_sdwa v37, v66, v59 dst_sel:DWORD dst_unused:UNUSED_PAD src0_sel:WORD_1 src1_sel:DWORD
	s_waitcnt lgkmcnt(2)
	v_pk_fma_f16 v2, v2, v11, v12
	v_pk_fma_f16 v3, v3, v11, v13
	v_mul_u32_u24_sdwa v11, v67, v59 dst_sel:DWORD dst_unused:UNUSED_PAD src0_sel:WORD_0 src1_sel:DWORD
	v_pk_fma_f16 v12, v4, v37, v2
	v_pk_fma_f16 v13, v5, v37, v3
	ds_read2_b64 v[2:5], v6 offset0:64 offset1:96
	v_mul_u32_u24_sdwa v37, v67, v59 dst_sel:DWORD dst_unused:UNUSED_PAD src0_sel:WORD_1 src1_sel:DWORD
	ds_read2_b64 v[64:67], v6 offset0:128 offset1:160
	s_waitcnt lgkmcnt(3)
	v_pk_fma_f16 v12, v72, v11, v12
	v_pk_fma_f16 v11, v73, v11, v13
	v_mul_u32_u24_sdwa v13, v68, v59 dst_sel:DWORD dst_unused:UNUSED_PAD src0_sel:WORD_0 src1_sel:DWORD
	v_pk_fma_f16 v12, v74, v37, v12
	v_pk_fma_f16 v11, v75, v37, v11
	v_mul_u32_u24_sdwa v37, v68, v59 dst_sel:DWORD dst_unused:UNUSED_PAD src0_sel:WORD_1 src1_sel:DWORD
	ds_read2_b64 v[72:75], v6 offset0:192 offset1:224
	v_mul_u32_u24_sdwa v6, v69, v59 dst_sel:DWORD dst_unused:UNUSED_PAD src0_sel:WORD_0 src1_sel:DWORD
	s_waitcnt lgkmcnt(3)
	v_pk_fma_f16 v7, v7, v13, v12
	v_pk_fma_f16 v8, v8, v13, v11
	s_waitcnt lgkmcnt(0)
	s_barrier
	buffer_gl0_inv
	v_pk_fma_f16 v7, v9, v37, v7
	v_pk_fma_f16 v8, v10, v37, v8
	v_mul_u32_u24_sdwa v9, v69, v59 dst_sel:DWORD dst_unused:UNUSED_PAD src0_sel:WORD_1 src1_sel:DWORD
	s_load_dword s15, s[6:7], 0x4
	v_add_f32_e32 v13, v61, v62
	v_pk_fma_f16 v2, v2, v6, v7
	v_pk_fma_f16 v3, v3, v6, v8
	v_mul_u32_u24_sdwa v6, v70, v59 dst_sel:DWORD dst_unused:UNUSED_PAD src0_sel:WORD_0 src1_sel:DWORD
	v_fmac_f32_e32 v13, v60, v63
	v_pk_fma_f16 v2, v4, v9, v2
	v_pk_fma_f16 v3, v5, v9, v3
	v_mul_u32_u24_sdwa v4, v70, v59 dst_sel:DWORD dst_unused:UNUSED_PAD src0_sel:WORD_1 src1_sel:DWORD
	v_mul_u32_u24_sdwa v5, v71, v59 dst_sel:DWORD dst_unused:UNUSED_PAD src0_sel:WORD_0 src1_sel:DWORD
	v_pk_fma_f16 v2, v64, v6, v2
	v_pk_fma_f16 v3, v65, v6, v3
	;; [unrolled: 1-line block ×4, first 2 shown]
	v_mul_u32_u24_sdwa v4, v71, v59 dst_sel:DWORD dst_unused:UNUSED_PAD src0_sel:WORD_1 src1_sel:DWORD
	s_waitcnt lgkmcnt(0)
	s_lshl_b32 s15, s15, 6
	v_pk_fma_f16 v2, v72, v5, v2
	v_pk_fma_f16 v3, v73, v5, v3
	s_add_i32 s10, s15, s10
	s_cmp_lt_i32 s10, s12
	v_pk_fma_f16 v37, v74, v4, v2
	v_pk_fma_f16 v40, v75, v4, v3
	s_cbranch_scc0 .LBB65_16
; %bb.14:                               ;   in Loop: Header=BB65_8 Depth=1
	v_mov_b32_e32 v10, v15
	v_mov_b32_e32 v60, v13
	s_branch .LBB65_8
.LBB65_15:
	v_mov_b32_e32 v40, 0
	v_mov_b32_e32 v15, 0xfeffffff
	;; [unrolled: 1-line block ×3, first 2 shown]
.LBB65_16:
	s_cmp_gt_i32 s44, s10
	s_cbranch_scc1 .LBB65_19
; %bb.17:
	v_mbcnt_lo_u32_b32 v3, -1, 0
	v_mov_b32_e32 v2, 32
	v_xor_b32_e32 v17, 16, v3
	v_xor_b32_e32 v16, 8, v3
	;; [unrolled: 1-line block ×5, first 2 shown]
	s_cbranch_execz .LBB65_20
; %bb.18:
	v_mov_b32_e32 v34, v3
	s_branch .LBB65_30
.LBB65_19:
                                        ; implicit-def: $vgpr3
                                        ; implicit-def: $vgpr2
                                        ; implicit-def: $vgpr17
                                        ; implicit-def: $vgpr16
                                        ; implicit-def: $vgpr18
                                        ; implicit-def: $vgpr19
                                        ; implicit-def: $vgpr20
.LBB65_20:
	v_lshl_add_u32 v12, v1, 2, v45
	s_mul_hi_i32 s7, s10, s22
	s_mul_i32 s6, s10, s22
	s_mov_b64 s[12:13], src_private_base
	s_lshl_b64 s[6:7], s[6:7], 2
	v_mul_lo_u32 v2, s22, v12
	s_sub_i32 s12, s44, s10
	s_add_u32 s8, s8, s6
	v_lshlrev_b32_e32 v22, 2, v44
	s_addc_u32 s9, s9, s7
	v_cmp_gt_i32_e64 s6, s12, v12
	v_mov_b32_e32 v6, 0
	buffer_store_dword v6, off, s[0:3], 0
	buffer_store_dword v6, off, s[0:3], 0 offset:4
	buffer_store_dword v6, off, s[0:3], 0 offset:8
	;; [unrolled: 1-line block ×3, first 2 shown]
	v_ashrrev_i32_e32 v3, 31, v2
	s_lshl_b32 s15, s22, 4
	v_add_nc_u32_e32 v10, 16, v12
	v_add_nc_u32_e32 v20, 32, v12
	s_cmp_lg_u64 s[42:43], 0
	v_lshlrev_b64 v[3:4], 2, v[2:3]
	v_add_co_u32 v3, vcc_lo, s8, v3
	v_add_co_ci_u32_e64 v4, null, s9, v4, vcc_lo
	v_add_co_u32 v8, vcc_lo, v3, v22
	v_add_co_ci_u32_e64 v9, null, 0, v4, vcc_lo
	v_cndmask_b32_e64 v3, 0, v8, s6
	v_cndmask_b32_e64 v4, s13, v9, s6
	flat_load_dwordx4 v[16:19], v[3:4]
	v_add_nc_u32_e32 v4, s15, v2
	buffer_store_dword v6, off, s[0:3], 0
	buffer_store_dword v6, off, s[0:3], 0 offset:4
	buffer_store_dword v6, off, s[0:3], 0 offset:8
	;; [unrolled: 1-line block ×3, first 2 shown]
	v_ashrrev_i32_e32 v5, 31, v4
	v_lshlrev_b64 v[2:3], 2, v[4:5]
	v_add_nc_u32_e32 v4, s15, v4
	v_add_co_u32 v2, vcc_lo, s8, v2
	v_add_co_ci_u32_e64 v5, null, s9, v3, vcc_lo
	v_add_co_u32 v3, vcc_lo, v2, v22
	v_add_co_ci_u32_e64 v7, null, 0, v5, vcc_lo
	v_cmp_gt_i32_e32 vcc_lo, s12, v10
	v_mad_u32_u24 v2, 0x90, v12, v22
	v_ashrrev_i32_e32 v5, 31, v4
	v_cndmask_b32_e32 v11, s13, v7, vcc_lo
	v_cndmask_b32_e32 v10, 0, v3, vcc_lo
	s_waitcnt vmcnt(0) lgkmcnt(0)
	ds_write_b128 v2, v[16:19]
	flat_load_dwordx4 v[16:19], v[10:11]
	v_lshlrev_b64 v[10:11], 2, v[4:5]
	buffer_store_dword v6, off, s[0:3], 0
	buffer_store_dword v6, off, s[0:3], 0 offset:4
	buffer_store_dword v6, off, s[0:3], 0 offset:8
	;; [unrolled: 1-line block ×3, first 2 shown]
	v_add_nc_u32_e32 v4, s15, v4
	v_add_co_u32 v5, s7, s8, v10
	v_add_co_ci_u32_e64 v11, null, s9, v11, s7
	v_add_co_u32 v10, s7, v5, v22
	v_add_co_ci_u32_e64 v11, null, 0, v11, s7
	v_cmp_gt_i32_e64 s7, s12, v20
	v_ashrrev_i32_e32 v5, 31, v4
	v_cndmask_b32_e64 v21, s13, v11, s7
	v_cndmask_b32_e64 v20, 0, v10, s7
	v_lshlrev_b64 v[4:5], 2, v[4:5]
	v_add_co_u32 v4, s8, s8, v4
	v_add_co_ci_u32_e64 v5, null, s9, v5, s8
	v_add_co_u32 v8, s9, 0x80, v8
	v_add_co_ci_u32_e64 v9, null, 0, v9, s9
	v_cndmask_b32_e64 v8, 0, v8, s6
	v_cndmask_b32_e64 v9, s13, v9, s6
	v_add_co_u32 v3, s6, 0x80, v3
	v_add_co_ci_u32_e64 v7, null, 0, v7, s6
	s_mov_b32 s6, exec_lo
	s_waitcnt vmcnt(0) lgkmcnt(0)
	ds_write_b128 v2, v[16:19] offset:2304
	flat_load_dwordx4 v[17:20], v[20:21]
	v_add_nc_u32_e32 v21, 48, v12
	v_add_co_u32 v12, s8, v4, v22
	v_add_co_ci_u32_e64 v16, null, 0, v5, s8
	v_cmp_gt_i32_e64 s8, s12, v21
	buffer_store_dword v6, off, s[0:3], 0
	buffer_store_dword v6, off, s[0:3], 0 offset:4
	buffer_store_dword v6, off, s[0:3], 0 offset:8
	;; [unrolled: 1-line block ×3, first 2 shown]
	v_cndmask_b32_e64 v5, s13, v16, s8
	v_cndmask_b32_e64 v4, 0, v12, s8
	s_waitcnt vmcnt(0) lgkmcnt(0)
	ds_write_b128 v2, v[17:20] offset:4608
	flat_load_dwordx4 v[17:20], v[4:5]
	v_mov_b32_e32 v4, 0
	v_mov_b32_e32 v5, 0
	s_waitcnt vmcnt(0) lgkmcnt(0)
	ds_write_b128 v2, v[17:20] offset:6912
	s_waitcnt lgkmcnt(0)
	s_waitcnt_vscnt null, 0x0
	s_barrier
	buffer_gl0_inv
	ds_read_b128 v[17:20], v43
	ds_read_b128 v[21:24], v42
	ds_read_b128 v[25:28], v43 offset:4608
	s_waitcnt lgkmcnt(1)
	;;#ASMSTART
	v_dot2_f32_f16 v4, v17, v21, v4
	;;#ASMEND
	;;#ASMSTART
	v_dot2_f32_f16 v4, v18, v22, v4
	;;#ASMEND
	;;#ASMSTART
	v_dot2_f32_f16 v4, v19, v23, v4
	;;#ASMEND
	;;#ASMSTART
	v_dot2_f32_f16 v4, v20, v24, v4
	;;#ASMEND
	s_waitcnt lgkmcnt(0)
	;;#ASMSTART
	v_dot2_f32_f16 v5, v25, v21, v5
	;;#ASMEND
	;;#ASMSTART
	v_dot2_f32_f16 v5, v26, v22, v5
	;;#ASMEND
	;;#ASMSTART
	v_dot2_f32_f16 v5, v27, v23, v5
	;;#ASMEND
	;;#ASMSTART
	v_dot2_f32_f16 v5, v28, v24, v5
	;;#ASMEND
	ds_read_b128 v[17:20], v43 offset:16
	ds_read_b128 v[21:24], v42 offset:16
	ds_read_b128 v[25:28], v43 offset:4624
	s_waitcnt lgkmcnt(1)
	;;#ASMSTART
	v_dot2_f32_f16 v4, v17, v21, v4
	;;#ASMEND
	;;#ASMSTART
	v_dot2_f32_f16 v4, v18, v22, v4
	;;#ASMEND
	;;#ASMSTART
	v_dot2_f32_f16 v4, v19, v23, v4
	;;#ASMEND
	;;#ASMSTART
	v_dot2_f32_f16 v4, v20, v24, v4
	;;#ASMEND
	s_waitcnt lgkmcnt(0)
	;;#ASMSTART
	v_dot2_f32_f16 v5, v25, v21, v5
	;;#ASMEND
	;;#ASMSTART
	v_dot2_f32_f16 v5, v26, v22, v5
	;;#ASMEND
	;;#ASMSTART
	v_dot2_f32_f16 v5, v27, v23, v5
	;;#ASMEND
	;;#ASMSTART
	v_dot2_f32_f16 v5, v28, v24, v5
	;;#ASMEND
	ds_read_b128 v[17:20], v43 offset:32
	ds_read_b128 v[21:24], v42 offset:32
	;; [unrolled: 29-line block ×7, first 2 shown]
	ds_read_b128 v[25:28], v43 offset:4720
	s_waitcnt lgkmcnt(1)
	;;#ASMSTART
	v_dot2_f32_f16 v4, v17, v21, v4
	;;#ASMEND
	;;#ASMSTART
	v_dot2_f32_f16 v4, v18, v22, v4
	;;#ASMEND
	;; [unrolled: 3-line block ×4, first 2 shown]
	s_waitcnt lgkmcnt(0)
	;;#ASMSTART
	v_dot2_f32_f16 v5, v25, v21, v5
	;;#ASMEND
	;;#ASMSTART
	v_dot2_f32_f16 v5, v26, v22, v5
	;;#ASMEND
	;; [unrolled: 3-line block ×4, first 2 shown]
	s_barrier
	buffer_gl0_inv
	buffer_store_dword v6, off, s[0:3], 0
	buffer_store_dword v6, off, s[0:3], 0 offset:4
	buffer_store_dword v6, off, s[0:3], 0 offset:8
	;; [unrolled: 1-line block ×3, first 2 shown]
	flat_load_dwordx4 v[17:20], v[8:9]
	v_cndmask_b32_e32 v8, s13, v7, vcc_lo
	v_cndmask_b32_e32 v7, 0, v3, vcc_lo
	buffer_store_dword v6, off, s[0:3], 0
	buffer_store_dword v6, off, s[0:3], 0 offset:4
	buffer_store_dword v6, off, s[0:3], 0 offset:8
	;; [unrolled: 1-line block ×3, first 2 shown]
	v_add_co_u32 v3, vcc_lo, 0x80, v10
	s_waitcnt vmcnt(0) lgkmcnt(0)
	ds_write_b128 v2, v[17:20]
	flat_load_dwordx4 v[17:20], v[7:8]
	v_add_co_ci_u32_e64 v7, null, 0, v11, vcc_lo
	buffer_store_dword v6, off, s[0:3], 0
	buffer_store_dword v6, off, s[0:3], 0 offset:4
	buffer_store_dword v6, off, s[0:3], 0 offset:8
	;; [unrolled: 1-line block ×3, first 2 shown]
	v_cndmask_b32_e64 v8, s13, v7, s7
	v_cndmask_b32_e64 v7, 0, v3, s7
	v_add_co_u32 v3, vcc_lo, 0x80, v12
	v_add_co_ci_u32_e64 v11, null, 0, v16, vcc_lo
	s_cselect_b32 s7, -1, 0
	v_cndmask_b32_e64 v12, s13, v11, s8
	v_cndmask_b32_e64 v11, 0, v3, s8
	s_waitcnt vmcnt(0) lgkmcnt(0)
	ds_write_b128 v2, v[17:20] offset:2304
	flat_load_dwordx4 v[7:10], v[7:8]
	buffer_store_dword v6, off, s[0:3], 0
	buffer_store_dword v6, off, s[0:3], 0 offset:4
	buffer_store_dword v6, off, s[0:3], 0 offset:8
	;; [unrolled: 1-line block ×3, first 2 shown]
	s_waitcnt vmcnt(0) lgkmcnt(0)
	ds_write_b128 v2, v[7:10] offset:4608
	flat_load_dwordx4 v[7:10], v[11:12]
	s_waitcnt vmcnt(0) lgkmcnt(0)
	ds_write_b128 v2, v[7:10] offset:6912
	s_waitcnt lgkmcnt(0)
	s_waitcnt_vscnt null, 0x0
	s_barrier
	buffer_gl0_inv
	ds_read_b128 v[7:10], v43
	ds_read_b128 v[16:19], v42 offset:128
	ds_read_b128 v[20:23], v43 offset:4608
	s_waitcnt lgkmcnt(1)
	;;#ASMSTART
	v_dot2_f32_f16 v4, v7, v16, v4
	;;#ASMEND
	;;#ASMSTART
	v_dot2_f32_f16 v4, v8, v17, v4
	;;#ASMEND
	;;#ASMSTART
	v_dot2_f32_f16 v4, v9, v18, v4
	;;#ASMEND
	;;#ASMSTART
	v_dot2_f32_f16 v4, v10, v19, v4
	;;#ASMEND
	s_waitcnt lgkmcnt(0)
	;;#ASMSTART
	v_dot2_f32_f16 v5, v20, v16, v5
	;;#ASMEND
	;;#ASMSTART
	v_dot2_f32_f16 v5, v21, v17, v5
	;;#ASMEND
	;;#ASMSTART
	v_dot2_f32_f16 v5, v22, v18, v5
	;;#ASMEND
	;;#ASMSTART
	v_dot2_f32_f16 v5, v23, v19, v5
	;;#ASMEND
	ds_read_b128 v[7:10], v43 offset:16
	ds_read_b128 v[16:19], v42 offset:144
	ds_read_b128 v[20:23], v43 offset:4624
	s_waitcnt lgkmcnt(1)
	;;#ASMSTART
	v_dot2_f32_f16 v4, v7, v16, v4
	;;#ASMEND
	;;#ASMSTART
	v_dot2_f32_f16 v4, v8, v17, v4
	;;#ASMEND
	;;#ASMSTART
	v_dot2_f32_f16 v4, v9, v18, v4
	;;#ASMEND
	;;#ASMSTART
	v_dot2_f32_f16 v4, v10, v19, v4
	;;#ASMEND
	s_waitcnt lgkmcnt(0)
	;;#ASMSTART
	v_dot2_f32_f16 v5, v20, v16, v5
	;;#ASMEND
	;;#ASMSTART
	v_dot2_f32_f16 v5, v21, v17, v5
	;;#ASMEND
	;;#ASMSTART
	v_dot2_f32_f16 v5, v22, v18, v5
	;;#ASMEND
	;;#ASMSTART
	v_dot2_f32_f16 v5, v23, v19, v5
	;;#ASMEND
	ds_read_b128 v[7:10], v43 offset:32
	;; [unrolled: 29-line block ×7, first 2 shown]
	ds_read_b128 v[16:19], v42 offset:240
	ds_read_b128 v[20:23], v43 offset:4720
	v_mad_u64_u32 v[2:3], null, v41, s19, s[10:11]
	s_waitcnt lgkmcnt(1)
	;;#ASMSTART
	v_dot2_f32_f16 v4, v9, v16, v4
	;;#ASMEND
	v_mov_b32_e32 v7, v15
	v_cndmask_b32_e64 v8, 0, 1, s7
	;;#ASMSTART
	v_dot2_f32_f16 v4, v10, v17, v4
	;;#ASMEND
	;;#ASMSTART
	v_dot2_f32_f16 v4, v11, v18, v4
	;;#ASMEND
	;; [unrolled: 3-line block ×3, first 2 shown]
	s_waitcnt lgkmcnt(0)
	;;#ASMSTART
	v_dot2_f32_f16 v5, v20, v16, v5
	;;#ASMEND
	;;#ASMSTART
	v_dot2_f32_f16 v5, v21, v17, v5
	;;#ASMEND
	;; [unrolled: 3-line block ×4, first 2 shown]
	v_cmpx_gt_i32_e64 s12, v0
	s_cbranch_execz .LBB65_24
; %bb.21:
	s_andn2_b32 vcc_lo, exec_lo, s7
	s_cbranch_vccnz .LBB65_23
; %bb.22:
	v_add_nc_u32_e32 v6, v2, v0
	v_ashrrev_i32_e32 v7, 31, v6
	v_lshlrev_b64 v[6:7], 1, v[6:7]
	v_add_co_u32 v6, vcc_lo, s42, v6
	v_add_co_ci_u32_e64 v7, null, s43, v7, vcc_lo
	global_load_ushort v3, v[6:7], off
	s_waitcnt vmcnt(0)
	v_cvt_f32_f16_e32 v3, v3
	v_mul_f32_e32 v6, v39, v3
.LBB65_23:
	v_add_f32_e32 v4, v4, v6
	v_max_f32_e32 v6, v15, v15
	v_add_f32_e32 v3, 0x40051340, v4
	v_max_f32_e32 v7, v6, v3
.LBB65_24:
	s_or_b32 exec_lo, exec_lo, s6
	v_add_nc_u32_e32 v3, 32, v0
	s_mov_b32 s6, exec_lo
	v_cmpx_gt_i32_e64 s12, v3
	s_cbranch_execz .LBB65_29
; %bb.25:
	v_cmp_ne_u32_e32 vcc_lo, 1, v8
	s_cbranch_vccnz .LBB65_27
; %bb.26:
	v_ashrrev_i32_e32 v6, 31, v2
	v_add_co_u32 v8, vcc_lo, v2, v0
	v_add_co_ci_u32_e64 v9, null, 0, v6, vcc_lo
	v_lshlrev_b64 v[8:9], 1, v[8:9]
	v_add_co_u32 v8, vcc_lo, s42, v8
	v_add_co_ci_u32_e64 v9, null, s43, v9, vcc_lo
	global_load_ushort v2, v[8:9], off offset:64
	s_waitcnt vmcnt(0)
	v_cvt_f32_f16_e32 v2, v2
	v_mul_f32_e32 v2, v39, v2
	s_branch .LBB65_28
.LBB65_27:
	v_mov_b32_e32 v2, 0
.LBB65_28:
	v_add_f32_e32 v5, v5, v2
	v_max_f32_e32 v6, v7, v7
	v_add_f32_e32 v2, 0x40051340, v5
	v_max_f32_e32 v7, v6, v2
.LBB65_29:
	s_or_b32 exec_lo, exec_lo, s6
	v_xor_b32_e32 v17, 16, v34
	v_xor_b32_e32 v16, 8, v34
	v_max_f32_e32 v6, v7, v7
	v_xor_b32_e32 v18, 4, v34
	v_xor_b32_e32 v19, 2, v34
	v_cmp_gt_i32_e32 vcc_lo, 32, v17
	v_xor_b32_e32 v20, 1, v34
	v_lshlrev_b32_e32 v22, 7, v1
	v_lshl_add_u32 v27, v1, 1, v36
	s_mul_hi_i32 s9, s10, s18
	v_cndmask_b32_e32 v2, v34, v17, vcc_lo
	v_cmp_gt_i32_e32 vcc_lo, 32, v16
	s_mul_i32 s8, s10, s18
	s_mov_b64 s[6:7], src_private_base
	s_lshl_b64 s[8:9], s[8:9], 2
	v_lshlrev_b32_e32 v2, 2, v2
	s_lshl_b32 s6, s18, 3
	s_add_u32 s8, s11, s8
	s_addc_u32 s9, s14, s9
	v_lshlrev_b32_e32 v26, 2, v38
	ds_bpermute_b32 v2, v2, v7
	v_cndmask_b32_e32 v7, v34, v16, vcc_lo
	v_cmp_gt_i32_e32 vcc_lo, 32, v18
	v_lshlrev_b32_e32 v11, 1, v0
	v_mov_b32_e32 v25, 0
	s_waitcnt lgkmcnt(0)
	v_lshlrev_b32_e32 v7, 2, v7
	s_barrier
	v_add3_u32 v11, 0x2800, v22, v11
	buffer_gl0_inv
	buffer_store_dword v25, off, s[0:3], 0
	buffer_store_dword v25, off, s[0:3], 0 offset:4
	buffer_store_dword v25, off, s[0:3], 0 offset:8
	;; [unrolled: 1-line block ×3, first 2 shown]
	v_add_nc_u32_e32 v29, 8, v27
	v_lshl_or_b32 v28, v27, 8, v26
	v_add_nc_u32_e32 v31, 16, v27
	v_add_nc_u32_e32 v36, 24, v27
	v_max_f32_e32 v2, v2, v2
	v_max_f32_e32 v2, v6, v2
	ds_bpermute_b32 v6, v7, v2
	v_cndmask_b32_e32 v7, v34, v18, vcc_lo
	v_cmp_gt_i32_e32 vcc_lo, 32, v19
	v_lshlrev_b32_e32 v7, 2, v7
	s_waitcnt lgkmcnt(0)
	v_max_f32_e32 v6, v6, v6
	v_max_f32_e32 v2, v2, v6
	ds_bpermute_b32 v6, v7, v2
	v_cndmask_b32_e32 v7, v34, v19, vcc_lo
	v_cmp_gt_i32_e32 vcc_lo, 32, v20
	v_lshlrev_b32_e32 v7, 2, v7
	s_waitcnt lgkmcnt(0)
	v_max_f32_e32 v6, v6, v6
	v_max_f32_e32 v2, v2, v6
	ds_bpermute_b32 v6, v7, v2
	v_cndmask_b32_e32 v7, v34, v20, vcc_lo
	v_lshlrev_b32_e32 v7, 2, v7
	s_waitcnt lgkmcnt(0)
	v_max_f32_e32 v6, v6, v6
	v_max_f32_e32 v2, v2, v6
	ds_bpermute_b32 v6, v7, v2
	s_waitcnt lgkmcnt(0)
	v_max_f32_e32 v6, v6, v6
	v_max_f32_e32 v21, v2, v6
	v_sub_f32_e32 v2, v4, v21
	v_sub_f32_e32 v4, v5, v21
	v_mul_f32_e32 v5, 0x3fb8aa3b, v2
	v_mul_f32_e32 v6, 0x3fb8aa3b, v4
	v_cmp_ngt_f32_e32 vcc_lo, 0xc2ce8ed0, v2
	v_fma_f32 v7, 0x3fb8aa3b, v2, -v5
	v_rndne_f32_e32 v8, v5
	v_fma_f32 v9, 0x3fb8aa3b, v4, -v6
	v_rndne_f32_e32 v10, v6
	v_fmac_f32_e32 v7, 0x32a5705f, v2
	v_sub_f32_e32 v5, v5, v8
	v_fmac_f32_e32 v9, 0x32a5705f, v4
	v_sub_f32_e32 v6, v6, v10
	v_cvt_i32_f32_e32 v8, v8
	v_add_f32_e32 v1, v5, v7
	v_mul_lo_u32 v5, s18, v27
	v_add_f32_e32 v6, v6, v9
	v_cvt_i32_f32_e32 v9, v10
	v_exp_f32_e32 v1, v1
	v_exp_f32_e32 v7, v6
	v_ashrrev_i32_e32 v6, 31, v5
	v_ldexp_f32 v1, v1, v8
	v_ldexp_f32 v7, v7, v9
	v_lshlrev_b64 v[9:10], 2, v[5:6]
	v_cndmask_b32_e32 v1, 0, v1, vcc_lo
	v_cmp_ngt_f32_e32 vcc_lo, 0xc2ce8ed0, v4
	v_cndmask_b32_e32 v6, 0, v7, vcc_lo
	v_add_co_u32 v7, vcc_lo, s8, v9
	v_add_co_ci_u32_e64 v8, null, s9, v10, vcc_lo
	v_cmp_nlt_f32_e32 vcc_lo, 0x42b17218, v2
	v_cndmask_b32_e32 v1, 0x7f800000, v1, vcc_lo
	v_cmp_nlt_f32_e32 vcc_lo, 0x42b17218, v4
	v_cndmask_b32_e32 v2, 0x7f800000, v6, vcc_lo
	v_add_co_u32 v4, vcc_lo, v7, v26
	v_add_co_ci_u32_e64 v6, null, 0, v8, vcc_lo
	v_cmp_gt_u32_e32 vcc_lo, s12, v0
	v_add_nc_u32_e32 v7, s6, v5
	v_cndmask_b32_e32 v23, 0, v1, vcc_lo
	v_cmp_gt_u32_e32 vcc_lo, s12, v3
	v_ashrrev_i32_e32 v8, 31, v7
	v_cvt_f16_f32_e32 v3, v23
	v_cndmask_b32_e32 v24, 0, v2, vcc_lo
	v_cmp_gt_i32_e32 vcc_lo, s12, v27
	v_cndmask_b32_e32 v1, 0, v4, vcc_lo
	v_cvt_f16_f32_e32 v4, v24
	v_cndmask_b32_e32 v2, s7, v6, vcc_lo
	ds_write_b16 v11, v3
	ds_write_b16 v11, v4 offset:64
	v_lshlrev_b64 v[5:6], 2, v[7:8]
	flat_load_dwordx4 v[1:4], v[1:2]
	buffer_store_dword v25, off, s[0:3], 0
	buffer_store_dword v25, off, s[0:3], 0 offset:4
	buffer_store_dword v25, off, s[0:3], 0 offset:8
	;; [unrolled: 1-line block ×3, first 2 shown]
	v_add_co_u32 v8, vcc_lo, s8, v5
	v_add_co_ci_u32_e64 v11, null, s9, v6, vcc_lo
	v_add_co_u32 v8, vcc_lo, v8, v26
	v_add_co_ci_u32_e64 v12, null, 0, v11, vcc_lo
	v_cmp_gt_i32_e32 vcc_lo, s12, v29
	v_cndmask_b32_e32 v11, 0, v8, vcc_lo
	v_cndmask_b32_e32 v12, s7, v12, vcc_lo
	s_waitcnt vmcnt(0) lgkmcnt(0)
	ds_write_b128 v28, v[1:4]
	flat_load_dwordx4 v[1:4], v[11:12]
	v_add_nc_u32_e32 v11, s6, v7
	buffer_store_dword v25, off, s[0:3], 0
	buffer_store_dword v25, off, s[0:3], 0 offset:4
	buffer_store_dword v25, off, s[0:3], 0 offset:8
	;; [unrolled: 1-line block ×3, first 2 shown]
	v_ashrrev_i32_e32 v12, 31, v11
	v_lshlrev_b64 v[7:8], 2, v[11:12]
	v_add_nc_u32_e32 v11, s6, v11
	s_or_b32 s6, s10, 32
	v_add_co_u32 v12, vcc_lo, s8, v7
	v_add_co_ci_u32_e64 v30, null, s9, v8, vcc_lo
	v_add_co_u32 v12, vcc_lo, v12, v26
	v_add_co_ci_u32_e64 v32, null, 0, v30, vcc_lo
	v_cmp_gt_i32_e32 vcc_lo, s12, v31
	v_lshl_or_b32 v30, v29, 8, v26
	v_cndmask_b32_e32 v38, 0, v12, vcc_lo
	v_cndmask_b32_e32 v39, s7, v32, vcc_lo
	v_ashrrev_i32_e32 v12, 31, v11
	v_lshlrev_b64 v[11:12], 2, v[11:12]
	v_add_co_u32 v32, vcc_lo, s8, v11
	s_mul_i32 s8, s6, s18
	s_waitcnt vmcnt(0) lgkmcnt(0)
	ds_write_b128 v30, v[1:4]
	flat_load_dwordx4 v[1:4], v[38:39]
	v_add_co_ci_u32_e64 v38, null, s9, v12, vcc_lo
	v_add_co_u32 v39, vcc_lo, v32, v26
	v_lshl_or_b32 v32, v31, 8, v26
	v_add_co_ci_u32_e64 v41, null, 0, v38, vcc_lo
	v_cmp_gt_i32_e32 vcc_lo, s12, v36
	buffer_store_dword v25, off, s[0:3], 0
	buffer_store_dword v25, off, s[0:3], 0 offset:4
	buffer_store_dword v25, off, s[0:3], 0 offset:8
	;; [unrolled: 1-line block ×3, first 2 shown]
	s_mul_hi_i32 s9, s6, s18
	s_lshl_b64 s[8:9], s[8:9], 2
	v_cndmask_b32_e32 v38, 0, v39, vcc_lo
	v_cndmask_b32_e32 v39, s7, v41, vcc_lo
	s_add_u32 s6, s11, s8
	s_addc_u32 s8, s14, s9
	v_add_co_u32 v9, vcc_lo, s6, v9
	v_add_co_ci_u32_e64 v10, null, s8, v10, vcc_lo
	s_sub_i32 s9, s12, 32
	s_waitcnt vmcnt(0) lgkmcnt(0)
	ds_write_b128 v32, v[1:4]
	flat_load_dwordx4 v[1:4], v[38:39]
	v_add_co_u32 v39, vcc_lo, v9, v26
	v_add_co_ci_u32_e64 v41, null, 0, v10, vcc_lo
	v_cmp_gt_i32_e32 vcc_lo, s9, v27
	v_lshl_or_b32 v27, v36, 8, v26
	v_add_nc_u32_e32 v38, 0x800, v35
	v_add_nc_u32_e32 v10, 0x1000, v35
	;; [unrolled: 1-line block ×3, first 2 shown]
	v_cndmask_b32_e32 v121, 0, v39, vcc_lo
	v_cndmask_b32_e32 v122, s7, v41, vcc_lo
	v_add_co_u32 v5, vcc_lo, s6, v5
	v_add_co_ci_u32_e64 v6, null, s8, v6, vcc_lo
	v_add_co_u32 v5, vcc_lo, v5, v26
	v_add_co_ci_u32_e64 v6, null, 0, v6, vcc_lo
	v_cmp_gt_i32_e32 vcc_lo, s9, v29
	v_cndmask_b32_e32 v5, 0, v5, vcc_lo
	v_cndmask_b32_e32 v6, s7, v6, vcc_lo
	s_waitcnt vmcnt(0) lgkmcnt(0)
	ds_write_b128 v27, v[1:4]
	s_waitcnt lgkmcnt(0)
	s_waitcnt_vscnt null, 0x0
	s_barrier
	buffer_gl0_inv
	ds_read2_b64 v[41:44], v35 offset1:32
	ds_read2_b64 v[45:48], v35 offset0:64 offset1:96
	ds_read_b128 v[49:52], v22 offset:10240
	ds_read_b128 v[53:56], v22 offset:10256
	;; [unrolled: 1-line block ×4, first 2 shown]
	ds_read2_b64 v[65:68], v35 offset0:128 offset1:160
	ds_read2_b64 v[69:72], v35 offset0:192 offset1:224
	ds_read2_b64 v[73:76], v38 offset1:32
	ds_read2_b64 v[77:80], v38 offset0:64 offset1:96
	ds_read2_b64 v[81:84], v38 offset0:128 offset1:160
	ds_read2_b64 v[85:88], v38 offset0:192 offset1:224
	ds_read2_b64 v[89:92], v10 offset1:32
	ds_read2_b64 v[93:96], v10 offset0:64 offset1:96
	;; [unrolled: 4-line block ×3, first 2 shown]
	ds_read2_b64 v[113:116], v9 offset0:128 offset1:160
	ds_read2_b64 v[117:120], v9 offset0:192 offset1:224
	s_waitcnt lgkmcnt(0)
	s_barrier
	buffer_gl0_inv
	buffer_store_dword v25, off, s[0:3], 0
	buffer_store_dword v25, off, s[0:3], 0 offset:4
	buffer_store_dword v25, off, s[0:3], 0 offset:8
	;; [unrolled: 1-line block ×3, first 2 shown]
	flat_load_dwordx4 v[1:4], v[121:122]
	buffer_store_dword v25, off, s[0:3], 0
	buffer_store_dword v25, off, s[0:3], 0 offset:4
	buffer_store_dword v25, off, s[0:3], 0 offset:8
	;; [unrolled: 1-line block ×3, first 2 shown]
	s_waitcnt vmcnt(0) lgkmcnt(0)
	ds_write_b128 v28, v[1:4]
	flat_load_dwordx4 v[1:4], v[5:6]
	v_add_co_u32 v5, vcc_lo, s6, v7
	v_add_co_ci_u32_e64 v6, null, s8, v8, vcc_lo
	buffer_store_dword v25, off, s[0:3], 0
	buffer_store_dword v25, off, s[0:3], 0 offset:4
	buffer_store_dword v25, off, s[0:3], 0 offset:8
	;; [unrolled: 1-line block ×3, first 2 shown]
	v_add_co_u32 v5, vcc_lo, v5, v26
	v_add_co_ci_u32_e64 v6, null, 0, v6, vcc_lo
	v_cmp_gt_i32_e32 vcc_lo, s9, v31
	v_cndmask_b32_e32 v5, 0, v5, vcc_lo
	v_cndmask_b32_e32 v6, s7, v6, vcc_lo
	s_waitcnt vmcnt(0) lgkmcnt(0)
	ds_write_b128 v30, v[1:4]
	flat_load_dwordx4 v[1:4], v[5:6]
	v_add_co_u32 v5, vcc_lo, s6, v11
	v_add_co_ci_u32_e64 v6, null, s8, v12, vcc_lo
	buffer_store_dword v25, off, s[0:3], 0
	buffer_store_dword v25, off, s[0:3], 0 offset:4
	buffer_store_dword v25, off, s[0:3], 0 offset:8
	;; [unrolled: 1-line block ×3, first 2 shown]
	v_add_co_u32 v5, vcc_lo, v5, v26
	v_add_co_ci_u32_e64 v6, null, 0, v6, vcc_lo
	v_cmp_gt_i32_e32 vcc_lo, s9, v36
	v_cndmask_b32_e32 v5, 0, v5, vcc_lo
	v_cndmask_b32_e32 v6, s7, v6, vcc_lo
	s_waitcnt vmcnt(0) lgkmcnt(0)
	ds_write_b128 v32, v[1:4]
	flat_load_dwordx4 v[3:6], v[5:6]
	v_sub_f32_e32 v1, v15, v21
	v_mul_f32_e32 v2, 0x3fb8aa3b, v1
	v_cmp_ngt_f32_e32 vcc_lo, 0xc2ce8ed0, v1
	v_fma_f32 v7, 0x3fb8aa3b, v1, -v2
	v_rndne_f32_e32 v8, v2
	v_fmac_f32_e32 v7, 0x32a5705f, v1
	v_sub_f32_e32 v2, v2, v8
	v_add_f32_e32 v2, v2, v7
	v_cvt_i32_f32_e32 v7, v8
	v_exp_f32_e32 v2, v2
	v_ldexp_f32 v2, v2, v7
	v_cndmask_b32_e32 v2, 0, v2, vcc_lo
	v_cmp_nlt_f32_e32 vcc_lo, 0x42b17218, v1
	v_cndmask_b32_e32 v1, 0x7f800000, v2, vcc_lo
	v_mov_b32_e32 v2, 0x10001
	v_cvt_f16_f32_e32 v7, v1
	v_mul_u32_u24_sdwa v8, v49, v2 dst_sel:DWORD dst_unused:UNUSED_PAD src0_sel:WORD_0 src1_sel:DWORD
	v_mul_u32_u24_sdwa v12, v49, v2 dst_sel:DWORD dst_unused:UNUSED_PAD src0_sel:WORD_1 src1_sel:DWORD
	v_mul_u32_u24_sdwa v15, v50, v2 dst_sel:DWORD dst_unused:UNUSED_PAD src0_sel:WORD_0 src1_sel:DWORD
	v_mul_u32_u24_sdwa v7, v7, v2 dst_sel:DWORD dst_unused:UNUSED_PAD src0_sel:WORD_0 src1_sel:DWORD
	v_pk_mul_f16 v11, v41, v8
	v_pk_mul_f16 v8, v42, v8
	v_pk_fma_f16 v11, v37, v7, v11
	v_pk_fma_f16 v7, v40, v7, v8
	;; [unrolled: 1-line block ×4, first 2 shown]
	v_mul_u32_u24_sdwa v11, v50, v2 dst_sel:DWORD dst_unused:UNUSED_PAD src0_sel:WORD_1 src1_sel:DWORD
	v_mul_u32_u24_sdwa v12, v51, v2 dst_sel:DWORD dst_unused:UNUSED_PAD src0_sel:WORD_0 src1_sel:DWORD
	v_pk_fma_f16 v8, v45, v15, v8
	v_pk_fma_f16 v7, v46, v15, v7
	v_mul_u32_u24_sdwa v15, v51, v2 dst_sel:DWORD dst_unused:UNUSED_PAD src0_sel:WORD_1 src1_sel:DWORD
	v_pk_fma_f16 v8, v47, v11, v8
	v_pk_fma_f16 v7, v48, v11, v7
	v_mul_u32_u24_sdwa v11, v52, v2 dst_sel:DWORD dst_unused:UNUSED_PAD src0_sel:WORD_0 src1_sel:DWORD
	v_pk_fma_f16 v8, v65, v12, v8
	v_pk_fma_f16 v7, v66, v12, v7
	v_mul_u32_u24_sdwa v12, v52, v2 dst_sel:DWORD dst_unused:UNUSED_PAD src0_sel:WORD_1 src1_sel:DWORD
	v_pk_fma_f16 v8, v67, v15, v8
	v_pk_fma_f16 v7, v68, v15, v7
	;; [unrolled: 6-line block ×12, first 2 shown]
	v_mul_u32_u24_sdwa v12, v63, v2 dst_sel:DWORD dst_unused:UNUSED_PAD src0_sel:WORD_0 src1_sel:DWORD
	v_pk_fma_f16 v8, v109, v15, v8
	v_pk_fma_f16 v7, v110, v15, v7
	v_mov_b32_e32 v15, v21
	v_pk_fma_f16 v8, v111, v11, v8
	v_pk_fma_f16 v7, v112, v11, v7
	v_mul_u32_u24_sdwa v11, v63, v2 dst_sel:DWORD dst_unused:UNUSED_PAD src0_sel:WORD_1 src1_sel:DWORD
	v_pk_fma_f16 v8, v113, v12, v8
	v_pk_fma_f16 v7, v114, v12, v7
	v_mul_u32_u24_sdwa v12, v64, v2 dst_sel:DWORD dst_unused:UNUSED_PAD src0_sel:WORD_0 src1_sel:DWORD
	v_pk_fma_f16 v8, v115, v11, v8
	v_pk_fma_f16 v7, v116, v11, v7
	v_mul_u32_u24_sdwa v11, v64, v2 dst_sel:DWORD dst_unused:UNUSED_PAD src0_sel:WORD_1 src1_sel:DWORD
	v_pk_fma_f16 v8, v117, v12, v8
	v_pk_fma_f16 v7, v118, v12, v7
	;; [unrolled: 1-line block ×4, first 2 shown]
	s_waitcnt vmcnt(0) lgkmcnt(0)
	ds_write_b128 v27, v[3:6]
	s_waitcnt lgkmcnt(0)
	s_waitcnt_vscnt null, 0x0
	s_barrier
	buffer_gl0_inv
	ds_read_b128 v[3:6], v22 offset:10304
	ds_read_b128 v[39:42], v22 offset:10320
	ds_read2_b64 v[25:28], v35 offset1:32
	ds_read2_b64 v[29:32], v35 offset0:64 offset1:96
	ds_read2_b64 v[43:46], v35 offset0:128 offset1:160
	s_waitcnt lgkmcnt(4)
	v_mul_u32_u24_sdwa v12, v3, v2 dst_sel:DWORD dst_unused:UNUSED_PAD src0_sel:WORD_0 src1_sel:DWORD
	v_mul_u32_u24_sdwa v3, v3, v2 dst_sel:DWORD dst_unused:UNUSED_PAD src0_sel:WORD_1 src1_sel:DWORD
	v_mul_u32_u24_sdwa v11, v4, v2 dst_sel:DWORD dst_unused:UNUSED_PAD src0_sel:WORD_0 src1_sel:DWORD
	v_mul_u32_u24_sdwa v4, v4, v2 dst_sel:DWORD dst_unused:UNUSED_PAD src0_sel:WORD_1 src1_sel:DWORD
	s_waitcnt lgkmcnt(2)
	v_pk_fma_f16 v8, v25, v12, v8
	v_pk_fma_f16 v7, v26, v12, v7
	v_mul_u32_u24_sdwa v12, v39, v2 dst_sel:DWORD dst_unused:UNUSED_PAD src0_sel:WORD_1 src1_sel:DWORD
	v_pk_fma_f16 v8, v27, v3, v8
	v_pk_fma_f16 v3, v28, v3, v7
	ds_read2_b64 v[25:28], v35 offset0:192 offset1:224
	s_waitcnt lgkmcnt(2)
	v_pk_fma_f16 v7, v29, v11, v8
	v_pk_fma_f16 v3, v30, v11, v3
	v_mul_u32_u24_sdwa v8, v5, v2 dst_sel:DWORD dst_unused:UNUSED_PAD src0_sel:WORD_0 src1_sel:DWORD
	v_pk_fma_f16 v7, v31, v4, v7
	v_pk_fma_f16 v3, v32, v4, v3
	ds_read2_b64 v[29:32], v38 offset1:32
	v_mul_u32_u24_sdwa v4, v5, v2 dst_sel:DWORD dst_unused:UNUSED_PAD src0_sel:WORD_1 src1_sel:DWORD
	s_waitcnt lgkmcnt(2)
	v_pk_fma_f16 v5, v43, v8, v7
	v_pk_fma_f16 v3, v44, v8, v3
	v_mul_u32_u24_sdwa v7, v6, v2 dst_sel:DWORD dst_unused:UNUSED_PAD src0_sel:WORD_0 src1_sel:DWORD
	v_pk_fma_f16 v5, v45, v4, v5
	v_pk_fma_f16 v3, v46, v4, v3
	ds_read2_b64 v[43:46], v38 offset0:64 offset1:96
	v_mul_u32_u24_sdwa v4, v6, v2 dst_sel:DWORD dst_unused:UNUSED_PAD src0_sel:WORD_1 src1_sel:DWORD
	s_waitcnt lgkmcnt(2)
	v_pk_fma_f16 v5, v25, v7, v5
	v_pk_fma_f16 v3, v26, v7, v3
	v_mul_u32_u24_sdwa v7, v39, v2 dst_sel:DWORD dst_unused:UNUSED_PAD src0_sel:WORD_0 src1_sel:DWORD
	v_pk_fma_f16 v8, v27, v4, v5
	v_pk_fma_f16 v11, v28, v4, v3
	ds_read2_b64 v[3:6], v38 offset0:128 offset1:160
	ds_read2_b64 v[25:28], v38 offset0:192 offset1:224
	ds_read2_b64 v[35:38], v10 offset1:32
	s_waitcnt lgkmcnt(4)
	v_pk_fma_f16 v8, v29, v7, v8
	v_pk_fma_f16 v7, v30, v7, v11
	v_mul_u32_u24_sdwa v11, v40, v2 dst_sel:DWORD dst_unused:UNUSED_PAD src0_sel:WORD_0 src1_sel:DWORD
	v_pk_fma_f16 v8, v31, v12, v8
	v_pk_fma_f16 v7, v32, v12, v7
	v_mul_u32_u24_sdwa v12, v40, v2 dst_sel:DWORD dst_unused:UNUSED_PAD src0_sel:WORD_1 src1_sel:DWORD
	ds_read_b128 v[29:32], v22 offset:10336
	s_waitcnt lgkmcnt(4)
	v_pk_fma_f16 v8, v43, v11, v8
	v_pk_fma_f16 v7, v44, v11, v7
	v_mul_u32_u24_sdwa v11, v41, v2 dst_sel:DWORD dst_unused:UNUSED_PAD src0_sel:WORD_0 src1_sel:DWORD
	v_pk_fma_f16 v8, v45, v12, v8
	v_pk_fma_f16 v7, v46, v12, v7
	v_mul_u32_u24_sdwa v12, v41, v2 dst_sel:DWORD dst_unused:UNUSED_PAD src0_sel:WORD_1 src1_sel:DWORD
	s_waitcnt lgkmcnt(3)
	v_pk_fma_f16 v3, v3, v11, v8
	v_pk_fma_f16 v4, v4, v11, v7
	v_mul_u32_u24_sdwa v7, v42, v2 dst_sel:DWORD dst_unused:UNUSED_PAD src0_sel:WORD_0 src1_sel:DWORD
	v_pk_fma_f16 v8, v5, v12, v3
	v_pk_fma_f16 v11, v6, v12, v4
	ds_read2_b64 v[3:6], v10 offset0:64 offset1:96
	v_mul_u32_u24_sdwa v12, v42, v2 dst_sel:DWORD dst_unused:UNUSED_PAD src0_sel:WORD_1 src1_sel:DWORD
	ds_read_b128 v[39:42], v22 offset:10352
	s_waitcnt lgkmcnt(4)
	v_pk_fma_f16 v8, v25, v7, v8
	v_pk_fma_f16 v7, v26, v7, v11
	s_waitcnt lgkmcnt(2)
	v_mul_u32_u24_sdwa v11, v29, v2 dst_sel:DWORD dst_unused:UNUSED_PAD src0_sel:WORD_0 src1_sel:DWORD
	v_pk_fma_f16 v8, v27, v12, v8
	v_pk_fma_f16 v7, v28, v12, v7
	ds_read2_b64 v[25:28], v10 offset0:128 offset1:160
	v_mul_u32_u24_sdwa v12, v29, v2 dst_sel:DWORD dst_unused:UNUSED_PAD src0_sel:WORD_1 src1_sel:DWORD
	v_pk_fma_f16 v8, v35, v11, v8
	v_pk_fma_f16 v7, v36, v11, v7
	v_mul_u32_u24_sdwa v11, v30, v2 dst_sel:DWORD dst_unused:UNUSED_PAD src0_sel:WORD_0 src1_sel:DWORD
	v_pk_fma_f16 v8, v37, v12, v8
	v_pk_fma_f16 v7, v38, v12, v7
	ds_read2_b64 v[35:38], v10 offset0:192 offset1:224
	v_mul_u32_u24_sdwa v10, v30, v2 dst_sel:DWORD dst_unused:UNUSED_PAD src0_sel:WORD_1 src1_sel:DWORD
	s_waitcnt lgkmcnt(3)
	v_pk_fma_f16 v3, v3, v11, v8
	v_pk_fma_f16 v4, v4, v11, v7
	v_mul_u32_u24_sdwa v7, v31, v2 dst_sel:DWORD dst_unused:UNUSED_PAD src0_sel:WORD_0 src1_sel:DWORD
	v_mul_u32_u24_sdwa v11, v31, v2 dst_sel:DWORD dst_unused:UNUSED_PAD src0_sel:WORD_1 src1_sel:DWORD
	v_pk_fma_f16 v8, v5, v10, v3
	v_pk_fma_f16 v10, v6, v10, v4
	ds_read2_b64 v[3:6], v9 offset1:32
	s_waitcnt lgkmcnt(2)
	v_pk_fma_f16 v8, v25, v7, v8
	v_pk_fma_f16 v7, v26, v7, v10
	v_mul_u32_u24_sdwa v10, v32, v2 dst_sel:DWORD dst_unused:UNUSED_PAD src0_sel:WORD_0 src1_sel:DWORD
	v_pk_fma_f16 v8, v27, v11, v8
	v_pk_fma_f16 v7, v28, v11, v7
	ds_read2_b64 v[25:28], v9 offset0:64 offset1:96
	v_mul_u32_u24_sdwa v11, v32, v2 dst_sel:DWORD dst_unused:UNUSED_PAD src0_sel:WORD_1 src1_sel:DWORD
	ds_read2_b64 v[29:32], v9 offset0:128 offset1:160
	s_waitcnt lgkmcnt(3)
	v_pk_fma_f16 v8, v35, v10, v8
	v_pk_fma_f16 v7, v36, v10, v7
	v_mul_u32_u24_sdwa v10, v39, v2 dst_sel:DWORD dst_unused:UNUSED_PAD src0_sel:WORD_0 src1_sel:DWORD
	v_pk_fma_f16 v8, v37, v11, v8
	v_pk_fma_f16 v7, v38, v11, v7
	v_mul_u32_u24_sdwa v11, v39, v2 dst_sel:DWORD dst_unused:UNUSED_PAD src0_sel:WORD_1 src1_sel:DWORD
	s_waitcnt lgkmcnt(2)
	v_pk_fma_f16 v3, v3, v10, v8
	v_pk_fma_f16 v4, v4, v10, v7
	v_mul_u32_u24_sdwa v7, v40, v2 dst_sel:DWORD dst_unused:UNUSED_PAD src0_sel:WORD_0 src1_sel:DWORD
	v_pk_fma_f16 v8, v5, v11, v3
	v_pk_fma_f16 v10, v6, v11, v4
	ds_read2_b64 v[3:6], v9 offset0:192 offset1:224
	v_mul_u32_u24_sdwa v9, v40, v2 dst_sel:DWORD dst_unused:UNUSED_PAD src0_sel:WORD_1 src1_sel:DWORD
	v_mul_u32_u24_sdwa v11, v42, v2 dst_sel:DWORD dst_unused:UNUSED_PAD src0_sel:WORD_1 src1_sel:DWORD
	s_waitcnt lgkmcnt(2)
	v_pk_fma_f16 v8, v25, v7, v8
	v_pk_fma_f16 v7, v26, v7, v10
	v_mul_u32_u24_sdwa v10, v41, v2 dst_sel:DWORD dst_unused:UNUSED_PAD src0_sel:WORD_0 src1_sel:DWORD
	s_waitcnt lgkmcnt(0)
	s_barrier
	v_pk_fma_f16 v8, v27, v9, v8
	v_pk_fma_f16 v7, v28, v9, v7
	v_mul_u32_u24_sdwa v9, v41, v2 dst_sel:DWORD dst_unused:UNUSED_PAD src0_sel:WORD_1 src1_sel:DWORD
	buffer_gl0_inv
	v_pk_fma_f16 v8, v29, v10, v8
	v_pk_fma_f16 v7, v30, v10, v7
	v_mul_u32_u24_sdwa v10, v42, v2 dst_sel:DWORD dst_unused:UNUSED_PAD src0_sel:WORD_0 src1_sel:DWORD
	v_mov_b32_e32 v2, 32
	v_pk_fma_f16 v8, v31, v9, v8
	v_pk_fma_f16 v7, v32, v9, v7
	v_add_f32_e32 v9, v23, v24
	v_pk_fma_f16 v3, v3, v10, v8
	v_pk_fma_f16 v4, v4, v10, v7
	v_fmac_f32_e32 v9, v13, v1
	v_pk_fma_f16 v37, v5, v11, v3
	v_pk_fma_f16 v40, v6, v11, v4
	v_mov_b32_e32 v13, v9
.LBB65_30:
	v_cmp_lt_i32_e32 vcc_lo, v17, v2
	s_cmp_eq_u64 s[20:21], 0
	s_cselect_b32 s6, -1, 0
	s_cmp_lg_u32 s34, 0
	v_cndmask_b32_e32 v1, v34, v17, vcc_lo
	v_cmp_lt_i32_e32 vcc_lo, v16, v2
	s_cselect_b32 s7, -1, 0
	s_or_b32 s6, s7, s6
	v_lshlrev_b32_e32 v1, 2, v1
	v_cndmask_b32_e32 v3, v34, v16, vcc_lo
	v_cmp_lt_i32_e32 vcc_lo, v18, v2
	ds_bpermute_b32 v1, v1, v13
	v_lshlrev_b32_e32 v3, 2, v3
	v_cndmask_b32_e32 v4, v34, v18, vcc_lo
	v_cmp_lt_i32_e32 vcc_lo, v19, v2
	v_lshlrev_b32_e32 v4, 2, v4
	s_waitcnt lgkmcnt(0)
	v_add_f32_e32 v1, v13, v1
	ds_bpermute_b32 v3, v3, v1
	s_waitcnt lgkmcnt(0)
	v_add_f32_e32 v1, v1, v3
	ds_bpermute_b32 v3, v4, v1
	v_cndmask_b32_e32 v4, v34, v19, vcc_lo
	v_cmp_lt_i32_e32 vcc_lo, v20, v2
	v_lshlrev_b32_e32 v4, 2, v4
	v_cndmask_b32_e32 v2, v34, v20, vcc_lo
	s_and_b32 vcc_lo, exec_lo, s6
	v_lshlrev_b32_e32 v2, 2, v2
	s_waitcnt lgkmcnt(0)
	v_add_f32_e32 v1, v1, v3
	ds_bpermute_b32 v3, v4, v1
	s_waitcnt lgkmcnt(0)
	v_add_f32_e32 v1, v1, v3
	ds_bpermute_b32 v2, v2, v1
	s_waitcnt lgkmcnt(0)
	v_add_f32_e32 v16, v1, v2
	s_cbranch_vccnz .LBB65_32
; %bb.31:
	s_lshl_b64 s[6:7], s[40:41], 2
	v_mov_b32_e32 v1, 0
	s_add_u32 s6, s20, s6
	s_addc_u32 s7, s21, s7
	v_max_f32_e32 v2, v15, v15
	global_load_dword v1, v1, s[6:7]
	s_waitcnt vmcnt(0)
	v_max_f32_e32 v3, v1, v1
	v_max_f32_e32 v2, v2, v3
	v_sub_f32_e32 v3, v15, v2
	v_sub_f32_e32 v1, v1, v2
	v_mov_b32_e32 v15, v2
	v_mul_f32_e32 v4, 0x3fb8aa3b, v3
	v_mul_f32_e32 v5, 0x3fb8aa3b, v1
	v_cmp_ngt_f32_e32 vcc_lo, 0xc2ce8ed0, v3
	v_fma_f32 v6, 0x3fb8aa3b, v3, -v4
	v_rndne_f32_e32 v7, v4
	v_fma_f32 v8, 0x3fb8aa3b, v1, -v5
	v_rndne_f32_e32 v9, v5
	v_fmac_f32_e32 v6, 0x32a5705f, v3
	v_sub_f32_e32 v4, v4, v7
	v_fmac_f32_e32 v8, 0x32a5705f, v1
	v_sub_f32_e32 v5, v5, v9
	v_add_f32_e32 v4, v4, v6
	v_cvt_i32_f32_e32 v6, v7
	v_add_f32_e32 v5, v5, v8
	v_cvt_i32_f32_e32 v7, v9
	v_exp_f32_e32 v4, v4
	v_exp_f32_e32 v5, v5
	v_ldexp_f32 v4, v4, v6
	v_ldexp_f32 v5, v5, v7
	v_cndmask_b32_e32 v4, 0, v4, vcc_lo
	v_cmp_ngt_f32_e32 vcc_lo, 0xc2ce8ed0, v1
	v_cndmask_b32_e32 v5, 0, v5, vcc_lo
	v_cmp_nlt_f32_e32 vcc_lo, 0x42b17218, v3
	v_cndmask_b32_e32 v3, 0x7f800000, v4, vcc_lo
	v_cmp_nlt_f32_e32 vcc_lo, 0x42b17218, v1
	v_mov_b32_e32 v4, 0x10001
	v_cndmask_b32_e32 v1, 0x7f800000, v5, vcc_lo
	v_cvt_f16_f32_e32 v5, v3
	v_fmac_f32_e32 v1, v16, v3
	v_mul_u32_u24_sdwa v3, v5, v4 dst_sel:DWORD dst_unused:UNUSED_PAD src0_sel:WORD_0 src1_sel:DWORD
	v_mov_b32_e32 v16, v1
	v_pk_mul_f16 v37, v37, v3
	v_pk_mul_f16 v40, v40, v3
.LBB65_32:
	s_mov_b32 s6, exec_lo
	v_cmpx_gt_i32_e64 s30, v14
	s_cbranch_execz .LBB65_35
; %bb.33:
	v_div_scale_f32 v3, null, v16, v16, 1.0
	s_load_dword s5, s[4:5], 0xd4
	v_div_scale_f32 v5, vcc_lo, 1.0, v16, 1.0
	v_rcp_f32_e32 v4, v3
	v_cmp_eq_u32_e64 s4, 0, v0
	v_cvt_f32_f16_e32 v8, v40
	v_cvt_f32_f16_sdwa v9, v40 dst_sel:DWORD dst_unused:UNUSED_PAD src0_sel:WORD_1
	v_fma_f32 v1, -v3, v4, 1.0
	v_fmac_f32_e32 v4, v1, v4
	v_mad_u64_u32 v[1:2], null, s33, s30, v[14:15]
	s_waitcnt lgkmcnt(0)
	s_cmp_lg_u32 s5, 1
	v_mul_f32_e32 v6, v5, v4
	v_mad_u64_u32 v[1:2], null, v1, s31, s[40:41]
	v_fma_f32 v7, -v3, v6, v5
	v_fmac_f32_e32 v6, v7, v4
	v_mad_u64_u32 v[1:2], null, s5, v1, s[34:35]
	s_cselect_b32 s5, -1, 0
	v_fma_f32 v2, -v3, v6, v5
	v_mov_b32_e32 v3, 0
	v_cvt_f32_f16_sdwa v5, v37 dst_sel:DWORD dst_unused:UNUSED_PAD src0_sel:WORD_1
	s_and_b32 s4, s4, s5
	v_div_fmas_f32 v0, v2, v4, v6
	v_lshl_add_u32 v2, v1, 7, v33
	v_cvt_f32_f16_e32 v4, v37
	v_div_fixup_f32 v0, v0, v16, 1.0
	v_lshlrev_b64 v[2:3], 2, v[2:3]
	v_cndmask_b32_e64 v0, v0, 1.0, s5
	v_add_co_u32 v6, vcc_lo, s24, v2
	v_add_co_ci_u32_e64 v7, null, s25, v3, vcc_lo
	v_mul_f32_e32 v2, v0, v4
	v_mul_f32_e32 v3, v0, v5
	;; [unrolled: 1-line block ×4, first 2 shown]
	global_store_dwordx4 v[6:7], v[2:5], off
	s_and_b32 exec_lo, exec_lo, s4
	s_cbranch_execz .LBB65_35
; %bb.34:
	v_ashrrev_i32_e32 v2, 31, v1
	v_lshlrev_b64 v[0:1], 3, v[1:2]
	v_add_co_u32 v0, vcc_lo, s26, v0
	v_add_co_ci_u32_e64 v1, null, s27, v1, vcc_lo
	global_store_dwordx2 v[0:1], v[15:16], off
.LBB65_35:
	s_endpgm
	.section	.rodata,"a",@progbits
	.p2align	6, 0x0
	.amdhsa_kernel _ZL15flash_attn_tileILi128ELi128ELi4ELi1ELb0EEvPKcS1_S1_S1_S1_PKiPfP15HIP_vector_typeIfLj2EEffffjfiS5_IjLj3EEiiiiiiiiiiiliiliiiiil
		.amdhsa_group_segment_fixed_size 10752
		.amdhsa_private_segment_fixed_size 32
		.amdhsa_kernarg_size 464
		.amdhsa_user_sgpr_count 8
		.amdhsa_user_sgpr_private_segment_buffer 1
		.amdhsa_user_sgpr_dispatch_ptr 0
		.amdhsa_user_sgpr_queue_ptr 0
		.amdhsa_user_sgpr_kernarg_segment_ptr 1
		.amdhsa_user_sgpr_dispatch_id 0
		.amdhsa_user_sgpr_flat_scratch_init 1
		.amdhsa_user_sgpr_private_segment_size 0
		.amdhsa_wavefront_size32 1
		.amdhsa_uses_dynamic_stack 0
		.amdhsa_system_sgpr_private_segment_wavefront_offset 1
		.amdhsa_system_sgpr_workgroup_id_x 1
		.amdhsa_system_sgpr_workgroup_id_y 1
		.amdhsa_system_sgpr_workgroup_id_z 1
		.amdhsa_system_sgpr_workgroup_info 0
		.amdhsa_system_vgpr_workitem_id 1
		.amdhsa_next_free_vgpr 123
		.amdhsa_next_free_sgpr 52
		.amdhsa_reserve_vcc 1
		.amdhsa_reserve_flat_scratch 1
		.amdhsa_float_round_mode_32 0
		.amdhsa_float_round_mode_16_64 0
		.amdhsa_float_denorm_mode_32 3
		.amdhsa_float_denorm_mode_16_64 3
		.amdhsa_dx10_clamp 1
		.amdhsa_ieee_mode 1
		.amdhsa_fp16_overflow 0
		.amdhsa_workgroup_processor_mode 1
		.amdhsa_memory_ordered 1
		.amdhsa_forward_progress 1
		.amdhsa_shared_vgpr_count 0
		.amdhsa_exception_fp_ieee_invalid_op 0
		.amdhsa_exception_fp_denorm_src 0
		.amdhsa_exception_fp_ieee_div_zero 0
		.amdhsa_exception_fp_ieee_overflow 0
		.amdhsa_exception_fp_ieee_underflow 0
		.amdhsa_exception_fp_ieee_inexact 0
		.amdhsa_exception_int_div_zero 0
	.end_amdhsa_kernel
	.section	.text._ZL15flash_attn_tileILi128ELi128ELi4ELi1ELb0EEvPKcS1_S1_S1_S1_PKiPfP15HIP_vector_typeIfLj2EEffffjfiS5_IjLj3EEiiiiiiiiiiiliiliiiiil,"axG",@progbits,_ZL15flash_attn_tileILi128ELi128ELi4ELi1ELb0EEvPKcS1_S1_S1_S1_PKiPfP15HIP_vector_typeIfLj2EEffffjfiS5_IjLj3EEiiiiiiiiiiiliiliiiiil,comdat
.Lfunc_end65:
	.size	_ZL15flash_attn_tileILi128ELi128ELi4ELi1ELb0EEvPKcS1_S1_S1_S1_PKiPfP15HIP_vector_typeIfLj2EEffffjfiS5_IjLj3EEiiiiiiiiiiiliiliiiiil, .Lfunc_end65-_ZL15flash_attn_tileILi128ELi128ELi4ELi1ELb0EEvPKcS1_S1_S1_S1_PKiPfP15HIP_vector_typeIfLj2EEffffjfiS5_IjLj3EEiiiiiiiiiiiliiliiiiil
                                        ; -- End function
	.set _ZL15flash_attn_tileILi128ELi128ELi4ELi1ELb0EEvPKcS1_S1_S1_S1_PKiPfP15HIP_vector_typeIfLj2EEffffjfiS5_IjLj3EEiiiiiiiiiiiliiliiiiil.num_vgpr, 123
	.set _ZL15flash_attn_tileILi128ELi128ELi4ELi1ELb0EEvPKcS1_S1_S1_S1_PKiPfP15HIP_vector_typeIfLj2EEffffjfiS5_IjLj3EEiiiiiiiiiiiliiliiiiil.num_agpr, 0
	.set _ZL15flash_attn_tileILi128ELi128ELi4ELi1ELb0EEvPKcS1_S1_S1_S1_PKiPfP15HIP_vector_typeIfLj2EEffffjfiS5_IjLj3EEiiiiiiiiiiiliiliiiiil.numbered_sgpr, 52
	.set _ZL15flash_attn_tileILi128ELi128ELi4ELi1ELb0EEvPKcS1_S1_S1_S1_PKiPfP15HIP_vector_typeIfLj2EEffffjfiS5_IjLj3EEiiiiiiiiiiiliiliiiiil.num_named_barrier, 0
	.set _ZL15flash_attn_tileILi128ELi128ELi4ELi1ELb0EEvPKcS1_S1_S1_S1_PKiPfP15HIP_vector_typeIfLj2EEffffjfiS5_IjLj3EEiiiiiiiiiiiliiliiiiil.private_seg_size, 32
	.set _ZL15flash_attn_tileILi128ELi128ELi4ELi1ELb0EEvPKcS1_S1_S1_S1_PKiPfP15HIP_vector_typeIfLj2EEffffjfiS5_IjLj3EEiiiiiiiiiiiliiliiiiil.uses_vcc, 1
	.set _ZL15flash_attn_tileILi128ELi128ELi4ELi1ELb0EEvPKcS1_S1_S1_S1_PKiPfP15HIP_vector_typeIfLj2EEffffjfiS5_IjLj3EEiiiiiiiiiiiliiliiiiil.uses_flat_scratch, 1
	.set _ZL15flash_attn_tileILi128ELi128ELi4ELi1ELb0EEvPKcS1_S1_S1_S1_PKiPfP15HIP_vector_typeIfLj2EEffffjfiS5_IjLj3EEiiiiiiiiiiiliiliiiiil.has_dyn_sized_stack, 0
	.set _ZL15flash_attn_tileILi128ELi128ELi4ELi1ELb0EEvPKcS1_S1_S1_S1_PKiPfP15HIP_vector_typeIfLj2EEffffjfiS5_IjLj3EEiiiiiiiiiiiliiliiiiil.has_recursion, 0
	.set _ZL15flash_attn_tileILi128ELi128ELi4ELi1ELb0EEvPKcS1_S1_S1_S1_PKiPfP15HIP_vector_typeIfLj2EEffffjfiS5_IjLj3EEiiiiiiiiiiiliiliiiiil.has_indirect_call, 0
	.section	.AMDGPU.csdata,"",@progbits
; Kernel info:
; codeLenInByte = 17644
; TotalNumSgprs: 54
; NumVgprs: 123
; ScratchSize: 32
; MemoryBound: 0
; FloatMode: 240
; IeeeMode: 1
; LDSByteSize: 10752 bytes/workgroup (compile time only)
; SGPRBlocks: 0
; VGPRBlocks: 15
; NumSGPRsForWavesPerEU: 54
; NumVGPRsForWavesPerEU: 123
; Occupancy: 8
; WaveLimiterHint : 1
; COMPUTE_PGM_RSRC2:SCRATCH_EN: 1
; COMPUTE_PGM_RSRC2:USER_SGPR: 8
; COMPUTE_PGM_RSRC2:TRAP_HANDLER: 0
; COMPUTE_PGM_RSRC2:TGID_X_EN: 1
; COMPUTE_PGM_RSRC2:TGID_Y_EN: 1
; COMPUTE_PGM_RSRC2:TGID_Z_EN: 1
; COMPUTE_PGM_RSRC2:TIDIG_COMP_CNT: 1
	.section	.text._ZL33flash_attn_stream_k_fixup_uniformILi128ELi4ELi1EEvPfPK15HIP_vector_typeIfLj2EEiiiiiiS1_IjLj3EES5_S5_,"axG",@progbits,_ZL33flash_attn_stream_k_fixup_uniformILi128ELi4ELi1EEvPfPK15HIP_vector_typeIfLj2EEiiiiiiS1_IjLj3EES5_S5_,comdat
	.globl	_ZL33flash_attn_stream_k_fixup_uniformILi128ELi4ELi1EEvPfPK15HIP_vector_typeIfLj2EEiiiiiiS1_IjLj3EES5_S5_ ; -- Begin function _ZL33flash_attn_stream_k_fixup_uniformILi128ELi4ELi1EEvPfPK15HIP_vector_typeIfLj2EEiiiiiiS1_IjLj3EES5_S5_
	.p2align	8
	.type	_ZL33flash_attn_stream_k_fixup_uniformILi128ELi4ELi1EEvPfPK15HIP_vector_typeIfLj2EEiiiiiiS1_IjLj3EES5_S5_,@function
_ZL33flash_attn_stream_k_fixup_uniformILi128ELi4ELi1EEvPfPK15HIP_vector_typeIfLj2EEiiiiiiS1_IjLj3EES5_S5_: ; @_ZL33flash_attn_stream_k_fixup_uniformILi128ELi4ELi1EEvPfPK15HIP_vector_typeIfLj2EEiiiiiiS1_IjLj3EES5_S5_
; %bb.0:
	s_clause 0x2
	s_load_dwordx8 s[12:19], s[4:5], 0x1c
	s_load_dwordx4 s[20:23], s[4:5], 0x3c
	s_load_dwordx2 s[10:11], s[4:5], 0x10
	s_waitcnt lgkmcnt(0)
	s_mul_hi_u32 s0, s15, s6
	s_add_i32 s0, s6, s0
	s_lshr_b32 s0, s0, s16
	s_mul_i32 s1, s0, s17
	s_sub_i32 s2, s6, s1
	s_mul_hi_u32 s1, s2, s18
	s_add_i32 s1, s2, s1
	s_lshr_b32 s1, s1, s19
	s_mul_i32 s3, s1, s20
	s_sub_i32 s2, s2, s3
	;; [unrolled: 5-line block ×3, first 2 shown]
	s_lshl_b32 s2, s15, 2
	s_add_i32 s2, s2, s7
	s_cmp_lt_i32 s2, s10
	s_cselect_b32 s2, -1, 0
	s_add_i32 s3, s9, s8
	s_cmp_lt_i32 s3, s13
	s_cselect_b32 s3, -1, 0
	s_and_b32 s2, s2, s3
	s_andn2_b32 vcc_lo, exec_lo, s2
	s_cbranch_vccnz .LBB66_6
; %bb.1:
	s_mul_i32 s0, s0, s10
	s_mul_i32 s10, s1, s13
	s_add_i32 s0, s0, s7
	s_mul_i32 s0, s0, s11
	s_add_i32 s13, s0, s8
	s_load_dwordx4 s[0:3], s[4:5], 0x0
	s_add_i32 s4, s13, s10
	s_mul_i32 s5, s11, s15
	s_add_i32 s4, s4, s9
	s_lshl_b32 s5, s5, 9
	s_lshl_b32 s4, s4, 7
	s_add_i32 s8, s7, s8
	s_add_i32 s5, s5, s4
	s_mul_i32 s4, s14, s6
	v_or_b32_e32 v1, s5, v0
	s_add_i32 s9, s4, s14
	v_ashrrev_i32_e32 v2, 31, v1
	v_lshlrev_b64 v[1:2], 2, v[1:2]
	s_waitcnt lgkmcnt(0)
	v_add_co_u32 v1, vcc_lo, s0, v1
	v_add_co_ci_u32_e64 v2, null, s1, v2, vcc_lo
	s_lshl_b32 s0, s9, 2
	s_add_i32 s0, s8, s0
	global_load_dword v5, v[1:2], off
	s_add_i32 s0, s0, -4
	s_ashr_i32 s1, s0, 31
	s_lshl_b64 s[0:1], s[0:1], 3
	s_add_u32 s0, s2, s0
	s_addc_u32 s1, s3, s1
	s_add_i32 s5, s9, -2
	s_load_dword s10, s[0:1], 0x4
	s_cmp_lt_i32 s5, s4
	s_cbranch_scc1 .LBB66_4
; %bb.2:
	s_lshl_b32 s16, s12, 4
	s_load_dword s11, s[0:1], 0x0
	s_ashr_i32 s17, s16, 31
	s_waitcnt lgkmcnt(0)
	v_mov_b32_e32 v6, s10
	s_lshl_b64 s[0:1], s[16:17], 2
	s_add_u32 s5, s2, s0
	s_addc_u32 s7, s3, s1
	s_add_i32 s6, s6, 1
	s_lshl_b32 s1, s8, 7
	s_mul_i32 s0, s14, s6
	s_lshl_b32 s6, s0, 9
	s_lshl_b32 s0, s0, 2
	s_add_i32 s1, s1, s6
	s_add_i32 s0, s8, s0
	v_or_b32_e32 v0, s1, v0
	s_lshl_b32 s1, s12, 2
	s_add_i32 s6, s9, -1
	s_add_i32 s0, s0, s1
	v_add_nc_u32_e32 v3, 0xfffffc00, v0
	v_mov_b32_e32 v0, s11
	s_add_i32 s0, s0, -8
.LBB66_3:                               ; =>This Inner Loop Header: Depth=1
	v_ashrrev_i32_e32 v4, 31, v3
	s_ashr_i32 s1, s0, 31
	s_lshl_b64 s[8:9], s[0:1], 3
	s_add_u32 s8, s2, s8
	v_lshlrev_b64 v[7:8], 2, v[3:4]
	s_addc_u32 s9, s3, s9
	v_add_nc_u32_e32 v3, 0xfffffe00, v3
	s_add_i32 s6, s6, -1
	s_add_i32 s0, s0, -4
	s_cmp_le_i32 s6, s4
	v_add_co_u32 v7, vcc_lo, s5, v7
	v_add_co_ci_u32_e64 v8, null, s7, v8, vcc_lo
	s_load_dwordx2 s[8:9], s[8:9], 0x0
	global_load_dword v4, v[7:8], off
	v_max_f32_e32 v7, v0, v0
	s_waitcnt lgkmcnt(0)
	v_max_f32_e64 v8, s8, s8
	v_max_f32_e32 v7, v7, v8
	v_sub_f32_e32 v8, s8, v7
	v_sub_f32_e32 v0, v0, v7
	v_mul_f32_e32 v9, 0x3fb8aa3b, v8
	v_mul_f32_e32 v12, 0x3fb8aa3b, v0
	v_cmp_ngt_f32_e32 vcc_lo, 0xc2ce8ed0, v8
	v_fma_f32 v10, 0x3fb8aa3b, v8, -v9
	v_rndne_f32_e32 v11, v9
	v_fma_f32 v13, 0x3fb8aa3b, v0, -v12
	v_rndne_f32_e32 v14, v12
	v_fmac_f32_e32 v10, 0x32a5705f, v8
	v_sub_f32_e32 v9, v9, v11
	v_fmac_f32_e32 v13, 0x32a5705f, v0
	v_cvt_i32_f32_e32 v11, v11
	v_add_f32_e32 v9, v9, v10
	v_sub_f32_e32 v10, v12, v14
	v_exp_f32_e32 v9, v9
	v_add_f32_e32 v10, v10, v13
	v_exp_f32_e32 v10, v10
	v_ldexp_f32 v9, v9, v11
	v_cvt_i32_f32_e32 v11, v14
	v_cndmask_b32_e32 v9, 0, v9, vcc_lo
	v_cmp_nlt_f32_e32 vcc_lo, 0x42b17218, v8
	v_ldexp_f32 v10, v10, v11
	v_mov_b32_e32 v11, v6
	v_cndmask_b32_e32 v9, 0x7f800000, v9, vcc_lo
	v_cmp_ngt_f32_e32 vcc_lo, 0xc2ce8ed0, v0
	v_cndmask_b32_e32 v10, 0, v10, vcc_lo
	v_cmp_le_f32_e32 vcc_lo, 0xc1a00000, v8
	v_cndmask_b32_e32 v8, 0, v9, vcc_lo
	v_cmp_nlt_f32_e32 vcc_lo, 0x42b17218, v0
	s_waitcnt vmcnt(1)
	v_mov_b32_e32 v9, v5
	v_cndmask_b32_e32 v5, 0x7f800000, v10, vcc_lo
	v_mul_f32_e32 v10, s9, v8
	v_cmp_le_f32_e32 vcc_lo, 0xc1a00000, v0
	v_mov_b32_e32 v0, v7
	v_mov_b32_e32 v6, v10
	v_cndmask_b32_e32 v12, 0, v5, vcc_lo
	v_fmac_f32_e32 v6, v11, v12
	s_waitcnt vmcnt(0)
	v_mul_f32_e32 v5, v4, v8
	v_fmac_f32_e32 v5, v9, v12
	s_cbranch_scc0 .LBB66_3
	s_branch .LBB66_5
.LBB66_4:
	s_waitcnt lgkmcnt(0)
	v_mov_b32_e32 v6, s10
.LBB66_5:
	s_waitcnt vmcnt(0)
	v_div_scale_f32 v0, null, v6, v6, v5
	v_rcp_f32_e32 v3, v0
	v_fma_f32 v4, -v0, v3, 1.0
	v_fmac_f32_e32 v3, v4, v3
	v_div_scale_f32 v4, vcc_lo, v5, v6, v5
	v_mul_f32_e32 v7, v4, v3
	v_fma_f32 v8, -v0, v7, v4
	v_fmac_f32_e32 v7, v8, v3
	v_fma_f32 v0, -v0, v7, v4
	v_div_fmas_f32 v0, v0, v3, v7
	v_div_fixup_f32 v0, v0, v6, v5
	global_store_dword v[1:2], v0, off
.LBB66_6:
	s_endpgm
	.section	.rodata,"a",@progbits
	.p2align	6, 0x0
	.amdhsa_kernel _ZL33flash_attn_stream_k_fixup_uniformILi128ELi4ELi1EEvPfPK15HIP_vector_typeIfLj2EEiiiiiiS1_IjLj3EES5_S5_
		.amdhsa_group_segment_fixed_size 0
		.amdhsa_private_segment_fixed_size 0
		.amdhsa_kernarg_size 76
		.amdhsa_user_sgpr_count 6
		.amdhsa_user_sgpr_private_segment_buffer 1
		.amdhsa_user_sgpr_dispatch_ptr 0
		.amdhsa_user_sgpr_queue_ptr 0
		.amdhsa_user_sgpr_kernarg_segment_ptr 1
		.amdhsa_user_sgpr_dispatch_id 0
		.amdhsa_user_sgpr_flat_scratch_init 0
		.amdhsa_user_sgpr_private_segment_size 0
		.amdhsa_wavefront_size32 1
		.amdhsa_uses_dynamic_stack 0
		.amdhsa_system_sgpr_private_segment_wavefront_offset 0
		.amdhsa_system_sgpr_workgroup_id_x 1
		.amdhsa_system_sgpr_workgroup_id_y 1
		.amdhsa_system_sgpr_workgroup_id_z 1
		.amdhsa_system_sgpr_workgroup_info 0
		.amdhsa_system_vgpr_workitem_id 0
		.amdhsa_next_free_vgpr 15
		.amdhsa_next_free_sgpr 24
		.amdhsa_reserve_vcc 1
		.amdhsa_reserve_flat_scratch 0
		.amdhsa_float_round_mode_32 0
		.amdhsa_float_round_mode_16_64 0
		.amdhsa_float_denorm_mode_32 3
		.amdhsa_float_denorm_mode_16_64 3
		.amdhsa_dx10_clamp 1
		.amdhsa_ieee_mode 1
		.amdhsa_fp16_overflow 0
		.amdhsa_workgroup_processor_mode 1
		.amdhsa_memory_ordered 1
		.amdhsa_forward_progress 1
		.amdhsa_shared_vgpr_count 0
		.amdhsa_exception_fp_ieee_invalid_op 0
		.amdhsa_exception_fp_denorm_src 0
		.amdhsa_exception_fp_ieee_div_zero 0
		.amdhsa_exception_fp_ieee_overflow 0
		.amdhsa_exception_fp_ieee_underflow 0
		.amdhsa_exception_fp_ieee_inexact 0
		.amdhsa_exception_int_div_zero 0
	.end_amdhsa_kernel
	.section	.text._ZL33flash_attn_stream_k_fixup_uniformILi128ELi4ELi1EEvPfPK15HIP_vector_typeIfLj2EEiiiiiiS1_IjLj3EES5_S5_,"axG",@progbits,_ZL33flash_attn_stream_k_fixup_uniformILi128ELi4ELi1EEvPfPK15HIP_vector_typeIfLj2EEiiiiiiS1_IjLj3EES5_S5_,comdat
.Lfunc_end66:
	.size	_ZL33flash_attn_stream_k_fixup_uniformILi128ELi4ELi1EEvPfPK15HIP_vector_typeIfLj2EEiiiiiiS1_IjLj3EES5_S5_, .Lfunc_end66-_ZL33flash_attn_stream_k_fixup_uniformILi128ELi4ELi1EEvPfPK15HIP_vector_typeIfLj2EEiiiiiiS1_IjLj3EES5_S5_
                                        ; -- End function
	.set _ZL33flash_attn_stream_k_fixup_uniformILi128ELi4ELi1EEvPfPK15HIP_vector_typeIfLj2EEiiiiiiS1_IjLj3EES5_S5_.num_vgpr, 15
	.set _ZL33flash_attn_stream_k_fixup_uniformILi128ELi4ELi1EEvPfPK15HIP_vector_typeIfLj2EEiiiiiiS1_IjLj3EES5_S5_.num_agpr, 0
	.set _ZL33flash_attn_stream_k_fixup_uniformILi128ELi4ELi1EEvPfPK15HIP_vector_typeIfLj2EEiiiiiiS1_IjLj3EES5_S5_.numbered_sgpr, 24
	.set _ZL33flash_attn_stream_k_fixup_uniformILi128ELi4ELi1EEvPfPK15HIP_vector_typeIfLj2EEiiiiiiS1_IjLj3EES5_S5_.num_named_barrier, 0
	.set _ZL33flash_attn_stream_k_fixup_uniformILi128ELi4ELi1EEvPfPK15HIP_vector_typeIfLj2EEiiiiiiS1_IjLj3EES5_S5_.private_seg_size, 0
	.set _ZL33flash_attn_stream_k_fixup_uniformILi128ELi4ELi1EEvPfPK15HIP_vector_typeIfLj2EEiiiiiiS1_IjLj3EES5_S5_.uses_vcc, 1
	.set _ZL33flash_attn_stream_k_fixup_uniformILi128ELi4ELi1EEvPfPK15HIP_vector_typeIfLj2EEiiiiiiS1_IjLj3EES5_S5_.uses_flat_scratch, 0
	.set _ZL33flash_attn_stream_k_fixup_uniformILi128ELi4ELi1EEvPfPK15HIP_vector_typeIfLj2EEiiiiiiS1_IjLj3EES5_S5_.has_dyn_sized_stack, 0
	.set _ZL33flash_attn_stream_k_fixup_uniformILi128ELi4ELi1EEvPfPK15HIP_vector_typeIfLj2EEiiiiiiS1_IjLj3EES5_S5_.has_recursion, 0
	.set _ZL33flash_attn_stream_k_fixup_uniformILi128ELi4ELi1EEvPfPK15HIP_vector_typeIfLj2EEiiiiiiS1_IjLj3EES5_S5_.has_indirect_call, 0
	.section	.AMDGPU.csdata,"",@progbits
; Kernel info:
; codeLenInByte = 828
; TotalNumSgprs: 26
; NumVgprs: 15
; ScratchSize: 0
; MemoryBound: 0
; FloatMode: 240
; IeeeMode: 1
; LDSByteSize: 0 bytes/workgroup (compile time only)
; SGPRBlocks: 0
; VGPRBlocks: 1
; NumSGPRsForWavesPerEU: 26
; NumVGPRsForWavesPerEU: 15
; Occupancy: 16
; WaveLimiterHint : 0
; COMPUTE_PGM_RSRC2:SCRATCH_EN: 0
; COMPUTE_PGM_RSRC2:USER_SGPR: 6
; COMPUTE_PGM_RSRC2:TRAP_HANDLER: 0
; COMPUTE_PGM_RSRC2:TGID_X_EN: 1
; COMPUTE_PGM_RSRC2:TGID_Y_EN: 1
; COMPUTE_PGM_RSRC2:TGID_Z_EN: 1
; COMPUTE_PGM_RSRC2:TIDIG_COMP_CNT: 0
	.section	.text._ZL33flash_attn_stream_k_fixup_generalILi128ELi4ELi1EEvPfPK15HIP_vector_typeIfLj2EEiiiiS1_IjLj3EES5_S5_S5_,"axG",@progbits,_ZL33flash_attn_stream_k_fixup_generalILi128ELi4ELi1EEvPfPK15HIP_vector_typeIfLj2EEiiiiS1_IjLj3EES5_S5_S5_,comdat
	.globl	_ZL33flash_attn_stream_k_fixup_generalILi128ELi4ELi1EEvPfPK15HIP_vector_typeIfLj2EEiiiiS1_IjLj3EES5_S5_S5_ ; -- Begin function _ZL33flash_attn_stream_k_fixup_generalILi128ELi4ELi1EEvPfPK15HIP_vector_typeIfLj2EEiiiiS1_IjLj3EES5_S5_S5_
	.p2align	8
	.type	_ZL33flash_attn_stream_k_fixup_generalILi128ELi4ELi1EEvPfPK15HIP_vector_typeIfLj2EEiiiiS1_IjLj3EES5_S5_S5_,@function
_ZL33flash_attn_stream_k_fixup_generalILi128ELi4ELi1EEvPfPK15HIP_vector_typeIfLj2EEiiiiS1_IjLj3EES5_S5_S5_: ; @_ZL33flash_attn_stream_k_fixup_generalILi128ELi4ELi1EEvPfPK15HIP_vector_typeIfLj2EEiiiiS1_IjLj3EES5_S5_S5_
; %bb.0:
	s_clause 0x1
	s_load_dwordx4 s[0:3], s[4:5], 0x10
	s_load_dword s9, s[4:5], 0x50
	s_mov_b32 s16, 0
	s_waitcnt lgkmcnt(0)
	s_mul_hi_i32 s17, s3, s6
	s_mul_i32 s18, s3, s6
	s_cmp_lg_u64 s[16:17], 0
	s_cbranch_scc0 .LBB67_21
; %bb.1:
	s_add_u32 s10, s9, 0
	s_addc_u32 s11, 0, 0
	s_xor_b64 s[10:11], s[10:11], 0
	v_cvt_f32_u32_e32 v1, s10
	v_cvt_f32_u32_e32 v2, s11
	s_sub_u32 s14, 0, s10
	s_subb_u32 s15, 0, s11
	v_fmamk_f32 v1, v2, 0x4f800000, v1
	v_rcp_f32_e32 v1, v1
	v_mul_f32_e32 v1, 0x5f7ffffc, v1
	v_mul_f32_e32 v2, 0x2f800000, v1
	v_trunc_f32_e32 v2, v2
	v_fmamk_f32 v1, v2, 0xcf800000, v1
	v_cvt_u32_f32_e32 v2, v2
	v_cvt_u32_f32_e32 v1, v1
	v_readfirstlane_b32 s12, v2
	v_readfirstlane_b32 s13, v1
	s_mul_i32 s19, s14, s12
	s_mul_hi_u32 s21, s14, s13
	s_mul_i32 s20, s15, s13
	s_add_i32 s19, s21, s19
	s_mul_i32 s22, s14, s13
	s_add_i32 s19, s19, s20
	s_mul_hi_u32 s21, s13, s22
	s_mul_i32 s24, s13, s19
	s_mul_hi_u32 s23, s12, s22
	s_mul_i32 s20, s12, s22
	s_mul_hi_u32 s22, s13, s19
	s_add_u32 s21, s21, s24
	s_addc_u32 s22, 0, s22
	s_mul_hi_u32 s25, s12, s19
	s_add_u32 s20, s21, s20
	s_mul_i32 s19, s12, s19
	s_addc_u32 s20, s22, s23
	s_addc_u32 s21, s25, 0
	s_add_u32 s19, s20, s19
	s_addc_u32 s20, 0, s21
	s_add_u32 s13, s13, s19
	s_cselect_b32 s19, -1, 0
	s_mul_hi_u32 s21, s14, s13
	s_cmp_lg_u32 s19, 0
	s_mul_i32 s19, s14, s13
	s_addc_u32 s12, s12, s20
	s_mul_i32 s15, s15, s13
	s_mul_i32 s14, s14, s12
	s_mul_hi_u32 s20, s13, s19
	s_add_i32 s14, s21, s14
	s_mul_hi_u32 s21, s12, s19
	s_add_i32 s14, s14, s15
	s_mul_i32 s15, s12, s19
	s_mul_i32 s23, s13, s14
	s_mul_hi_u32 s22, s13, s14
	s_add_u32 s20, s20, s23
	s_addc_u32 s22, 0, s22
	s_mul_hi_u32 s19, s12, s14
	s_add_u32 s15, s20, s15
	s_mul_i32 s14, s12, s14
	s_addc_u32 s15, s22, s21
	s_addc_u32 s19, s19, 0
	s_add_u32 s14, s15, s14
	s_addc_u32 s15, 0, s19
	s_add_u32 s19, s13, s14
	s_cselect_b32 s13, -1, 0
	s_cmp_lg_u32 s13, 0
	s_addc_u32 s20, s12, s15
	s_ashr_i32 s12, s17, 31
	s_add_u32 s14, s18, s12
	s_mov_b32 s13, s12
	s_addc_u32 s15, s17, s12
	s_xor_b64 s[14:15], s[14:15], s[12:13]
	s_mul_i32 s21, s14, s20
	s_mul_hi_u32 s22, s14, s19
	s_mul_hi_u32 s17, s14, s20
	;; [unrolled: 1-line block ×3, first 2 shown]
	s_mul_i32 s19, s15, s19
	s_add_u32 s21, s22, s21
	s_addc_u32 s17, 0, s17
	s_mul_hi_u32 s23, s15, s20
	s_add_u32 s19, s21, s19
	s_mul_i32 s20, s15, s20
	s_addc_u32 s17, s17, s24
	s_addc_u32 s19, s23, 0
	s_add_u32 s17, s17, s20
	s_addc_u32 s19, 0, s19
	s_mul_hi_u32 s20, s10, s17
	s_mul_i32 s21, s10, s19
	s_mul_i32 s22, s11, s17
	s_add_i32 s20, s20, s21
	s_mul_i32 s21, s10, s17
	s_add_i32 s20, s20, s22
	s_sub_i32 s22, s15, s20
	s_sub_u32 s14, s14, s21
	s_cselect_b32 s21, -1, 0
	s_cmp_lg_u32 s21, 0
	s_subb_u32 s22, s22, s11
	s_sub_u32 s23, s14, s10
	s_cselect_b32 s24, -1, 0
	s_cmp_lg_u32 s24, 0
	s_subb_u32 s22, s22, 0
	s_cmp_ge_u32 s22, s11
	s_cselect_b32 s24, -1, 0
	s_cmp_ge_u32 s23, s10
	s_cselect_b32 s23, -1, 0
	s_cmp_eq_u32 s22, s11
	s_cselect_b32 s22, s23, s24
	s_add_u32 s23, s17, 1
	s_addc_u32 s24, s19, 0
	s_add_u32 s25, s17, 2
	s_addc_u32 s26, s19, 0
	s_cmp_lg_u32 s22, 0
	s_cselect_b32 s22, s25, s23
	s_cselect_b32 s23, s26, s24
	s_cmp_lg_u32 s21, 0
	s_subb_u32 s15, s15, s20
	s_cmp_ge_u32 s15, s11
	s_cselect_b32 s20, -1, 0
	s_cmp_ge_u32 s14, s10
	s_cselect_b32 s10, -1, 0
	s_cmp_eq_u32 s15, s11
	s_cselect_b32 s10, s10, s20
	s_cmp_lg_u32 s10, 0
	s_cselect_b32 s11, s23, s19
	s_cselect_b32 s10, s22, s17
	s_xor_b64 s[12:13], s[12:13], 0
	s_xor_b64 s[10:11], s[10:11], s[12:13]
	s_sub_u32 s10, s10, s12
	s_load_dwordx4 s[12:15], s[4:5], 0x44
	s_andn2_b32 vcc_lo, exec_lo, s16
	s_cbranch_vccnz .LBB67_3
.LBB67_2:
	v_cvt_f32_u32_e32 v1, s9
	s_sub_i32 s11, 0, s9
	v_rcp_iflag_f32_e32 v1, v1
	v_mul_f32_e32 v1, 0x4f7ffffe, v1
	v_cvt_u32_f32_e32 v1, v1
	v_readfirstlane_b32 s10, v1
	s_mul_i32 s11, s11, s10
	s_mul_hi_u32 s11, s10, s11
	s_add_i32 s10, s10, s11
	s_mul_hi_u32 s10, s18, s10
	s_mul_i32 s11, s10, s9
	s_waitcnt lgkmcnt(0)
	s_add_i32 s15, s10, 1
	s_sub_i32 s11, s18, s11
	s_sub_i32 s16, s11, s9
	s_cmp_ge_u32 s11, s9
	s_cselect_b32 s10, s15, s10
	s_cselect_b32 s11, s16, s11
	s_add_i32 s15, s10, 1
	s_cmp_ge_u32 s11, s9
	s_cselect_b32 s10, s15, s10
.LBB67_3:
	s_add_i32 s11, s6, 1
	s_mov_b32 s16, 0
	s_mul_hi_i32 s17, s3, s11
	s_mul_i32 s11, s3, s11
	s_cmp_lg_u64 s[16:17], 0
	s_cbranch_scc0 .LBB67_22
; %bb.4:
	s_add_u32 s18, s9, 0
	s_addc_u32 s19, 0, 0
	s_xor_b64 s[18:19], s[18:19], 0
	v_cvt_f32_u32_e32 v1, s18
	v_cvt_f32_u32_e32 v2, s19
	s_sub_u32 s21, 0, s18
	s_subb_u32 s22, 0, s19
	v_fmamk_f32 v1, v2, 0x4f800000, v1
	v_rcp_f32_e32 v1, v1
	v_mul_f32_e32 v1, 0x5f7ffffc, v1
	v_mul_f32_e32 v2, 0x2f800000, v1
	v_trunc_f32_e32 v2, v2
	v_fmamk_f32 v1, v2, 0xcf800000, v1
	v_cvt_u32_f32_e32 v2, v2
	v_cvt_u32_f32_e32 v1, v1
	s_waitcnt lgkmcnt(0)
	v_readfirstlane_b32 s15, v2
	v_readfirstlane_b32 s20, v1
	s_mul_i32 s23, s21, s15
	s_mul_hi_u32 s25, s21, s20
	s_mul_i32 s24, s22, s20
	s_add_i32 s23, s25, s23
	s_mul_i32 s26, s21, s20
	s_add_i32 s23, s23, s24
	s_mul_hi_u32 s25, s20, s26
	s_mul_i32 s28, s20, s23
	s_mul_hi_u32 s27, s15, s26
	s_mul_i32 s24, s15, s26
	s_mul_hi_u32 s26, s20, s23
	s_add_u32 s25, s25, s28
	s_addc_u32 s26, 0, s26
	s_mul_hi_u32 s29, s15, s23
	s_add_u32 s24, s25, s24
	s_mul_i32 s23, s15, s23
	s_addc_u32 s24, s26, s27
	s_addc_u32 s25, s29, 0
	s_add_u32 s23, s24, s23
	s_addc_u32 s24, 0, s25
	s_add_u32 s20, s20, s23
	s_cselect_b32 s23, -1, 0
	s_mul_hi_u32 s25, s21, s20
	s_cmp_lg_u32 s23, 0
	s_mul_i32 s23, s21, s20
	s_addc_u32 s15, s15, s24
	s_mul_i32 s22, s22, s20
	s_mul_i32 s21, s21, s15
	s_mul_hi_u32 s24, s20, s23
	s_add_i32 s21, s25, s21
	s_mul_hi_u32 s25, s15, s23
	s_add_i32 s21, s21, s22
	s_mul_i32 s22, s15, s23
	s_mul_i32 s27, s20, s21
	s_mul_hi_u32 s26, s20, s21
	s_add_u32 s24, s24, s27
	s_addc_u32 s26, 0, s26
	s_mul_hi_u32 s23, s15, s21
	s_add_u32 s22, s24, s22
	s_mul_i32 s21, s15, s21
	s_addc_u32 s22, s26, s25
	s_addc_u32 s23, s23, 0
	s_add_u32 s21, s22, s21
	s_addc_u32 s22, 0, s23
	s_add_u32 s24, s20, s21
	s_cselect_b32 s20, -1, 0
	s_cmp_lg_u32 s20, 0
	s_addc_u32 s15, s15, s22
	s_ashr_i32 s20, s17, 31
	s_add_u32 s22, s11, s20
	s_mov_b32 s21, s20
	s_addc_u32 s23, s17, s20
	s_xor_b64 s[22:23], s[22:23], s[20:21]
	s_mul_i32 s25, s22, s15
	s_mul_hi_u32 s26, s22, s24
	s_mul_hi_u32 s17, s22, s15
	;; [unrolled: 1-line block ×3, first 2 shown]
	s_mul_i32 s24, s23, s24
	s_add_u32 s25, s26, s25
	s_addc_u32 s17, 0, s17
	s_mul_hi_u32 s27, s23, s15
	s_add_u32 s24, s25, s24
	s_mul_i32 s15, s23, s15
	s_addc_u32 s17, s17, s28
	s_addc_u32 s24, s27, 0
	s_add_u32 s15, s17, s15
	s_addc_u32 s17, 0, s24
	s_mul_hi_u32 s24, s18, s15
	s_mul_i32 s25, s18, s17
	s_mul_i32 s26, s19, s15
	s_add_i32 s24, s24, s25
	s_mul_i32 s25, s18, s15
	s_add_i32 s24, s24, s26
	s_sub_i32 s26, s23, s24
	s_sub_u32 s22, s22, s25
	s_cselect_b32 s25, -1, 0
	s_cmp_lg_u32 s25, 0
	s_subb_u32 s26, s26, s19
	s_sub_u32 s27, s22, s18
	s_cselect_b32 s28, -1, 0
	s_cmp_lg_u32 s28, 0
	s_subb_u32 s26, s26, 0
	s_cmp_ge_u32 s26, s19
	s_cselect_b32 s28, -1, 0
	s_cmp_ge_u32 s27, s18
	s_cselect_b32 s27, -1, 0
	s_cmp_eq_u32 s26, s19
	s_cselect_b32 s26, s27, s28
	s_add_u32 s27, s15, 1
	s_addc_u32 s28, s17, 0
	s_add_u32 s29, s15, 2
	s_addc_u32 s30, s17, 0
	s_cmp_lg_u32 s26, 0
	s_cselect_b32 s26, s29, s27
	s_cselect_b32 s27, s30, s28
	s_cmp_lg_u32 s25, 0
	s_subb_u32 s23, s23, s24
	s_cmp_ge_u32 s23, s19
	s_cselect_b32 s24, -1, 0
	s_cmp_ge_u32 s22, s18
	s_cselect_b32 s18, -1, 0
	s_cmp_eq_u32 s23, s19
	s_cselect_b32 s18, s18, s24
	s_cmp_lg_u32 s18, 0
	s_cselect_b32 s19, s27, s17
	s_cselect_b32 s18, s26, s15
	s_xor_b64 s[20:21], s[20:21], 0
	s_xor_b64 s[18:19], s[18:19], s[20:21]
	s_sub_u32 s18, s18, s20
	s_andn2_b32 vcc_lo, exec_lo, s16
	s_cbranch_vccnz .LBB67_6
.LBB67_5:
	v_cvt_f32_u32_e32 v1, s9
	s_sub_i32 s16, 0, s9
	v_rcp_iflag_f32_e32 v1, v1
	v_mul_f32_e32 v1, 0x4f7ffffe, v1
	v_cvt_u32_f32_e32 v1, v1
	s_waitcnt lgkmcnt(0)
	v_readfirstlane_b32 s15, v1
	s_mul_i32 s16, s16, s15
	s_mul_hi_u32 s16, s15, s16
	s_add_i32 s15, s15, s16
	s_mul_hi_u32 s15, s11, s15
	s_mul_i32 s16, s15, s9
	s_sub_i32 s11, s11, s16
	s_add_i32 s16, s15, 1
	s_sub_i32 s17, s11, s9
	s_cmp_ge_u32 s11, s9
	s_cselect_b32 s15, s16, s15
	s_cselect_b32 s11, s17, s11
	s_add_i32 s16, s15, 1
	s_cmp_ge_u32 s11, s9
	s_cselect_b32 s18, s16, s15
.LBB67_6:
	s_cmp_eq_u32 s10, s18
	s_waitcnt lgkmcnt(0)
	s_mul_hi_u32 s11, s10, s12
	s_cselect_b32 s15, -1, 0
	s_add_i32 s11, s11, s10
	s_lshr_b32 s11, s11, s13
	s_mul_i32 s16, s11, s14
	s_cmp_eq_u32 s16, s10
	s_mul_hi_u32 s16, s18, s12
	s_cselect_b32 s17, -1, 0
	s_add_i32 s16, s16, s18
	s_lshr_b32 s16, s16, s13
	s_cmp_eq_u32 s11, s16
	s_mul_i32 s16, s16, s14
	s_cselect_b32 s19, -1, 0
	s_cmp_lg_u32 s16, s18
	s_cselect_b32 s16, -1, 0
	s_or_b32 s15, s15, s17
	s_and_b32 s16, s19, s16
	s_or_b32 s15, s15, s16
	s_and_b32 vcc_lo, exec_lo, s15
	s_cbranch_vccnz .LBB67_24
; %bb.7:
	s_load_dwordx8 s[20:27], s[4:5], 0x20
	s_waitcnt lgkmcnt(0)
	s_mul_hi_u32 s15, s10, s20
	s_add_i32 s15, s15, s10
	s_lshr_b32 s20, s15, s21
	s_load_dword s15, s[4:5], 0x40
	s_mul_i32 s16, s20, s22
	s_sub_i32 s16, s10, s16
	s_mul_hi_u32 s17, s16, s23
	s_add_i32 s17, s16, s17
	s_lshr_b32 s22, s17, s24
	s_mul_i32 s17, s22, s25
	s_sub_i32 s16, s16, s17
	s_mul_hi_u32 s17, s16, s26
	s_add_i32 s17, s16, s17
	s_lshr_b32 s23, s17, s27
	s_waitcnt lgkmcnt(0)
	s_mul_i32 s15, s23, s15
	s_sub_i32 s15, s16, s15
	s_mul_hi_u32 s16, s15, s12
	s_add_i32 s15, s15, s16
	s_lshr_b32 s24, s15, s13
	s_lshl_b32 s15, s24, 2
	s_add_i32 s15, s15, s7
	s_cmp_lt_i32 s15, s0
	s_cselect_b32 s15, -1, 0
	s_add_i32 s16, s23, s8
	s_cmp_lt_i32 s16, s2
	s_cselect_b32 s16, -1, 0
	s_and_b32 s15, s15, s16
	s_andn2_b32 vcc_lo, exec_lo, s15
	s_cbranch_vccnz .LBB67_24
; %bb.8:
	s_load_dwordx4 s[16:19], s[4:5], 0x0
	s_mov_b32 s4, 0
	s_lshl_b32 s26, s9, 4
	s_mov_b32 s27, s4
	s_add_i32 s15, s7, s8
	s_lshl_b64 s[26:27], s[26:27], 2
	s_mul_i32 s0, s20, s0
	s_mul_i32 s22, s22, s2
	v_cvt_f32_u32_e32 v4, s9
	v_rcp_iflag_f32_e32 v4, v4
	s_waitcnt lgkmcnt(0)
	s_add_u32 s20, s18, s26
	s_addc_u32 s21, s19, s27
	s_add_i32 s0, s0, s7
	v_mul_f32_e32 v4, 0x4f7ffffe, v4
	s_mul_i32 s0, s0, s1
	s_mul_i32 s1, s1, s24
	s_add_i32 s0, s0, s8
	s_lshl_b32 s1, s1, 9
	s_add_i32 s0, s0, s22
	v_cvt_u32_f32_e32 v4, v4
	s_add_i32 s0, s0, s23
	s_lshl_b32 s0, s0, 7
	s_add_i32 s1, s1, s0
	s_lshl_b32 s0, s6, 2
	v_or_b32_e32 v1, s1, v0
	s_add_i32 s0, s0, s15
	v_lshl_or_b32 v0, s15, 7, v0
	s_ashr_i32 s1, s0, 31
	v_ashrrev_i32_e32 v2, 31, v1
	s_lshl_b64 s[0:1], s[0:1], 3
	s_add_u32 s0, s18, s0
	s_addc_u32 s1, s19, s1
	v_lshlrev_b64 v[1:2], 2, v[1:2]
	s_load_dwordx2 s[0:1], s[0:1], 0x0
	s_add_i32 s8, s6, -1
	s_sub_i32 s2, 0, s9
	v_add_co_u32 v1, vcc_lo, s16, v1
	v_add_co_ci_u32_e64 v2, null, s17, v2, vcc_lo
	global_load_dword v3, v[1:2], off
	s_waitcnt lgkmcnt(0)
	v_mov_b32_e32 v5, s1
	v_mov_b32_e32 v6, s0
.LBB67_9:                               ; =>This Inner Loop Header: Depth=1
	s_mul_hi_i32 s5, s8, s3
	s_mul_i32 s6, s8, s3
	s_cmp_lg_u64 s[4:5], 0
	s_mov_b32 s7, -1
                                        ; implicit-def: $sgpr0_sgpr1
	s_cbranch_scc0 .LBB67_11
; %bb.10:                               ;   in Loop: Header=BB67_9 Depth=1
	s_add_u32 s0, s9, 0
	s_addc_u32 s1, 0, 0
	s_xor_b64 s[0:1], s[0:1], 0
	v_cvt_f32_u32_e32 v7, s0
	v_cvt_f32_u32_e32 v8, s1
	s_sub_u32 s17, 0, s0
	s_subb_u32 s22, 0, s1
	v_fmac_f32_e32 v7, 0x4f800000, v8
	v_rcp_f32_e32 v7, v7
	v_mul_f32_e32 v7, 0x5f7ffffc, v7
	v_mul_f32_e32 v8, 0x2f800000, v7
	v_trunc_f32_e32 v8, v8
	v_fmac_f32_e32 v7, 0xcf800000, v8
	v_cvt_u32_f32_e32 v8, v8
	v_cvt_u32_f32_e32 v7, v7
	v_readfirstlane_b32 s7, v8
	v_readfirstlane_b32 s16, v7
	s_mul_i32 s23, s17, s7
	s_mul_hi_u32 s25, s17, s16
	s_mul_i32 s24, s22, s16
	s_add_i32 s23, s25, s23
	s_mul_i32 s26, s17, s16
	s_add_i32 s23, s23, s24
	s_mul_hi_u32 s25, s16, s26
	s_mul_i32 s28, s16, s23
	s_mul_hi_u32 s27, s7, s26
	s_mul_i32 s24, s7, s26
	s_mul_hi_u32 s26, s16, s23
	s_add_u32 s25, s25, s28
	s_addc_u32 s26, 0, s26
	s_mul_hi_u32 s29, s7, s23
	s_add_u32 s24, s25, s24
	s_mul_i32 s23, s7, s23
	s_addc_u32 s24, s26, s27
	s_addc_u32 s25, s29, 0
	s_add_u32 s23, s24, s23
	s_addc_u32 s24, 0, s25
	s_add_u32 s16, s16, s23
	s_cselect_b32 s23, -1, 0
	s_mul_hi_u32 s25, s17, s16
	s_cmp_lg_u32 s23, 0
	s_mul_i32 s23, s17, s16
	s_addc_u32 s7, s7, s24
	s_mul_i32 s22, s22, s16
	s_mul_i32 s17, s17, s7
	s_mul_hi_u32 s24, s16, s23
	s_add_i32 s17, s25, s17
	s_mul_hi_u32 s25, s7, s23
	s_add_i32 s17, s17, s22
	s_mul_i32 s22, s7, s23
	s_mul_i32 s27, s16, s17
	s_mul_hi_u32 s26, s16, s17
	s_add_u32 s24, s24, s27
	s_addc_u32 s26, 0, s26
	s_mul_hi_u32 s23, s7, s17
	s_add_u32 s22, s24, s22
	s_mul_i32 s17, s7, s17
	s_addc_u32 s22, s26, s25
	s_addc_u32 s23, s23, 0
	s_add_u32 s17, s22, s17
	s_addc_u32 s22, 0, s23
	s_add_u32 s24, s16, s17
	s_cselect_b32 s16, -1, 0
	s_cmp_lg_u32 s16, 0
	s_addc_u32 s7, s7, s22
	s_ashr_i32 s16, s5, 31
	s_add_u32 s22, s6, s16
	s_mov_b32 s17, s16
	s_addc_u32 s23, s5, s16
	s_xor_b64 s[22:23], s[22:23], s[16:17]
	s_mul_i32 s25, s22, s7
	s_mul_hi_u32 s26, s22, s24
	s_mul_hi_u32 s5, s22, s7
	;; [unrolled: 1-line block ×3, first 2 shown]
	s_mul_i32 s24, s23, s24
	s_add_u32 s25, s26, s25
	s_addc_u32 s5, 0, s5
	s_mul_hi_u32 s27, s23, s7
	s_add_u32 s24, s25, s24
	s_mul_i32 s7, s23, s7
	s_addc_u32 s5, s5, s28
	s_addc_u32 s24, s27, 0
	s_add_u32 s5, s5, s7
	s_addc_u32 s7, 0, s24
	s_mul_hi_u32 s24, s0, s5
	s_mul_i32 s25, s0, s7
	s_mul_i32 s26, s1, s5
	s_add_i32 s24, s24, s25
	s_mul_i32 s25, s0, s5
	s_add_i32 s24, s24, s26
	s_sub_i32 s26, s23, s24
	s_sub_u32 s22, s22, s25
	s_cselect_b32 s25, -1, 0
	s_cmp_lg_u32 s25, 0
	s_subb_u32 s26, s26, s1
	s_sub_u32 s27, s22, s0
	s_cselect_b32 s28, -1, 0
	s_cmp_lg_u32 s28, 0
	s_subb_u32 s26, s26, 0
	s_cmp_ge_u32 s26, s1
	s_cselect_b32 s28, -1, 0
	s_cmp_ge_u32 s27, s0
	s_cselect_b32 s27, -1, 0
	s_cmp_eq_u32 s26, s1
	s_cselect_b32 s26, s27, s28
	s_add_u32 s27, s5, 1
	s_addc_u32 s28, s7, 0
	s_add_u32 s29, s5, 2
	s_addc_u32 s30, s7, 0
	s_cmp_lg_u32 s26, 0
	s_cselect_b32 s26, s29, s27
	s_cselect_b32 s27, s30, s28
	s_cmp_lg_u32 s25, 0
	s_subb_u32 s23, s23, s24
	s_cmp_ge_u32 s23, s1
	s_cselect_b32 s24, -1, 0
	s_cmp_ge_u32 s22, s0
	s_cselect_b32 s0, -1, 0
	s_cmp_eq_u32 s23, s1
	s_cselect_b32 s0, s0, s24
	s_cmp_lg_u32 s0, 0
	s_cselect_b32 s1, s27, s7
	s_cselect_b32 s0, s26, s5
	s_xor_b64 s[16:17], s[16:17], 0
	s_mov_b32 s7, 0
	s_xor_b64 s[0:1], s[0:1], s[16:17]
	s_sub_u32 s0, s0, s16
.LBB67_11:                              ;   in Loop: Header=BB67_9 Depth=1
	s_andn2_b32 vcc_lo, exec_lo, s7
	s_cbranch_vccnz .LBB67_13
; %bb.12:                               ;   in Loop: Header=BB67_9 Depth=1
	v_readfirstlane_b32 s0, v4
	s_mul_i32 s1, s2, s0
	s_mul_hi_u32 s1, s0, s1
	s_add_i32 s0, s0, s1
	s_mul_hi_u32 s0, s6, s0
	s_mul_i32 s1, s0, s9
	s_add_i32 s5, s0, 1
	s_sub_i32 s1, s6, s1
	s_sub_i32 s6, s1, s9
	s_cmp_ge_u32 s1, s9
	s_cselect_b32 s0, s5, s0
	s_cselect_b32 s1, s6, s1
	s_add_i32 s5, s0, 1
	s_cmp_ge_u32 s1, s9
	s_cselect_b32 s0, s5, s0
.LBB67_13:                              ;   in Loop: Header=BB67_9 Depth=1
	s_cmp_lg_u32 s10, s0
	s_mov_b32 s6, -1
                                        ; implicit-def: $sgpr5
                                        ; implicit-def: $vgpr8
                                        ; implicit-def: $vgpr7
                                        ; implicit-def: $vgpr9
                                        ; implicit-def: $sgpr1
                                        ; implicit-def: $sgpr16
	s_cbranch_scc0 .LBB67_18
; %bb.14:                               ;   in Loop: Header=BB67_9 Depth=1
	s_add_i32 s1, s8, s9
	s_mov_b32 s7, s4
	s_lshl_b32 s1, s1, 2
	s_mov_b32 s16, s10
	s_add_i32 s6, s1, s15
	s_mul_hi_u32 s1, s0, s12
	s_lshl_b64 s[6:7], s[6:7], 3
	s_add_u32 s6, s18, s6
	s_addc_u32 s7, s19, s7
	s_add_i32 s1, s1, s0
	s_lshr_b32 s1, s1, s13
	s_mul_i32 s5, s1, s14
	s_cmp_eq_u32 s5, s0
	s_cselect_b32 s5, -1, 0
	s_cmp_lt_u32 s1, s11
	s_cselect_b32 s1, -1, 0
	s_or_b32 s1, s1, s5
	s_mov_b32 s5, -1
	s_and_b32 vcc_lo, exec_lo, s1
	s_mov_b32 s1, s8
	s_cbranch_vccnz .LBB67_16
; %bb.15:                               ;   in Loop: Header=BB67_9 Depth=1
	s_add_i32 s1, s8, -1
	s_mov_b32 s5, 0
	s_mov_b32 s16, s0
.LBB67_16:                              ;   in Loop: Header=BB67_9 Depth=1
	v_lshl_add_u32 v7, s8, 9, v0
	s_load_dwordx2 s[6:7], s[6:7], 0x0
	v_ashrrev_i32_e32 v8, 31, v7
	v_lshlrev_b64 v[7:8], 2, v[7:8]
	v_add_co_u32 v7, vcc_lo, s20, v7
	v_add_co_ci_u32_e64 v8, null, s21, v8, vcc_lo
	s_waitcnt lgkmcnt(0)
	v_max_f32_e64 v9, s6, s6
	global_load_dword v8, v[7:8], off
	v_max_f32_e32 v7, v6, v6
	v_max_f32_e32 v7, v7, v9
	v_sub_f32_e32 v9, s6, v7
	v_sub_f32_e32 v10, v6, v7
	v_mul_f32_e32 v11, 0x3fb8aa3b, v9
	v_mul_f32_e32 v12, 0x3fb8aa3b, v10
	v_cmp_ngt_f32_e32 vcc_lo, 0xc2ce8ed0, v9
	v_fma_f32 v13, 0x3fb8aa3b, v9, -v11
	v_rndne_f32_e32 v14, v11
	v_fma_f32 v15, 0x3fb8aa3b, v10, -v12
	v_rndne_f32_e32 v16, v12
	v_fmac_f32_e32 v13, 0x32a5705f, v9
	v_sub_f32_e32 v11, v11, v14
	v_fmac_f32_e32 v15, 0x32a5705f, v10
	v_sub_f32_e32 v12, v12, v16
	v_add_f32_e32 v11, v11, v13
	v_cvt_i32_f32_e32 v13, v14
	v_add_f32_e32 v12, v12, v15
	v_cvt_i32_f32_e32 v14, v16
	v_exp_f32_e32 v11, v11
	v_exp_f32_e32 v12, v12
	v_ldexp_f32 v11, v11, v13
	v_ldexp_f32 v12, v12, v14
	v_cndmask_b32_e32 v11, 0, v11, vcc_lo
	v_cmp_ngt_f32_e32 vcc_lo, 0xc2ce8ed0, v10
	v_cndmask_b32_e32 v12, 0, v12, vcc_lo
	v_cmp_nlt_f32_e32 vcc_lo, 0x42b17218, v9
	v_cndmask_b32_e32 v11, 0x7f800000, v11, vcc_lo
	v_cmp_nlt_f32_e32 vcc_lo, 0x42b17218, v10
	v_cndmask_b32_e32 v12, 0x7f800000, v12, vcc_lo
	v_cmp_le_f32_e32 vcc_lo, 0xc1a00000, v9
	v_cndmask_b32_e32 v9, 0, v11, vcc_lo
	v_cmp_le_f32_e32 vcc_lo, 0xc1a00000, v10
	v_cndmask_b32_e32 v10, 0, v12, vcc_lo
	s_waitcnt vmcnt(0)
	v_mul_f32_e32 v8, v8, v9
	v_mul_f32_e32 v9, s7, v9
	v_fmac_f32_e32 v8, v3, v10
	v_fmac_f32_e32 v9, v5, v10
	s_cbranch_execz .LBB67_19
.LBB67_17:                              ;   in Loop: Header=BB67_9 Depth=1
	s_andn2_b32 vcc_lo, exec_lo, s5
	s_cbranch_vccnz .LBB67_20
	s_branch .LBB67_23
.LBB67_18:                              ;   in Loop: Header=BB67_9 Depth=1
	s_andn2_b32 vcc_lo, exec_lo, s6
	s_cbranch_vccnz .LBB67_17
.LBB67_19:                              ;   in Loop: Header=BB67_9 Depth=1
	v_mov_b32_e32 v9, v5
	v_mov_b32_e32 v7, v6
	s_waitcnt vmcnt(0)
	v_mov_b32_e32 v8, v3
	s_add_i32 s1, s8, -1
	s_mov_b32 s16, s10
	s_cbranch_execz .LBB67_23
.LBB67_20:                              ;   in Loop: Header=BB67_9 Depth=1
	v_mov_b32_e32 v5, v9
	v_mov_b32_e32 v6, v7
	s_waitcnt vmcnt(0)
	v_mov_b32_e32 v3, v8
	s_mov_b32 s10, s16
	s_mov_b32 s8, s1
	s_branch .LBB67_9
.LBB67_21:
                                        ; implicit-def: $sgpr10_sgpr11
	s_load_dwordx4 s[12:15], s[4:5], 0x44
	s_branch .LBB67_2
.LBB67_22:
                                        ; implicit-def: $sgpr18_sgpr19
	s_branch .LBB67_5
.LBB67_23:
	v_div_scale_f32 v0, null, v9, v9, v8
	s_waitcnt vmcnt(0)
	v_rcp_f32_e32 v3, v0
	v_fma_f32 v4, -v0, v3, 1.0
	v_fmac_f32_e32 v3, v4, v3
	v_div_scale_f32 v4, vcc_lo, v8, v9, v8
	v_mul_f32_e32 v5, v4, v3
	v_fma_f32 v6, -v0, v5, v4
	v_fmac_f32_e32 v5, v6, v3
	v_fma_f32 v0, -v0, v5, v4
	v_div_fmas_f32 v0, v0, v3, v5
	v_div_fixup_f32 v0, v0, v9, v8
	global_store_dword v[1:2], v0, off
.LBB67_24:
	s_endpgm
	.section	.rodata,"a",@progbits
	.p2align	6, 0x0
	.amdhsa_kernel _ZL33flash_attn_stream_k_fixup_generalILi128ELi4ELi1EEvPfPK15HIP_vector_typeIfLj2EEiiiiS1_IjLj3EES5_S5_S5_
		.amdhsa_group_segment_fixed_size 0
		.amdhsa_private_segment_fixed_size 0
		.amdhsa_kernarg_size 336
		.amdhsa_user_sgpr_count 6
		.amdhsa_user_sgpr_private_segment_buffer 1
		.amdhsa_user_sgpr_dispatch_ptr 0
		.amdhsa_user_sgpr_queue_ptr 0
		.amdhsa_user_sgpr_kernarg_segment_ptr 1
		.amdhsa_user_sgpr_dispatch_id 0
		.amdhsa_user_sgpr_flat_scratch_init 0
		.amdhsa_user_sgpr_private_segment_size 0
		.amdhsa_wavefront_size32 1
		.amdhsa_uses_dynamic_stack 0
		.amdhsa_system_sgpr_private_segment_wavefront_offset 0
		.amdhsa_system_sgpr_workgroup_id_x 1
		.amdhsa_system_sgpr_workgroup_id_y 1
		.amdhsa_system_sgpr_workgroup_id_z 1
		.amdhsa_system_sgpr_workgroup_info 0
		.amdhsa_system_vgpr_workitem_id 0
		.amdhsa_next_free_vgpr 17
		.amdhsa_next_free_sgpr 31
		.amdhsa_reserve_vcc 1
		.amdhsa_reserve_flat_scratch 0
		.amdhsa_float_round_mode_32 0
		.amdhsa_float_round_mode_16_64 0
		.amdhsa_float_denorm_mode_32 3
		.amdhsa_float_denorm_mode_16_64 3
		.amdhsa_dx10_clamp 1
		.amdhsa_ieee_mode 1
		.amdhsa_fp16_overflow 0
		.amdhsa_workgroup_processor_mode 1
		.amdhsa_memory_ordered 1
		.amdhsa_forward_progress 1
		.amdhsa_shared_vgpr_count 0
		.amdhsa_exception_fp_ieee_invalid_op 0
		.amdhsa_exception_fp_denorm_src 0
		.amdhsa_exception_fp_ieee_div_zero 0
		.amdhsa_exception_fp_ieee_overflow 0
		.amdhsa_exception_fp_ieee_underflow 0
		.amdhsa_exception_fp_ieee_inexact 0
		.amdhsa_exception_int_div_zero 0
	.end_amdhsa_kernel
	.section	.text._ZL33flash_attn_stream_k_fixup_generalILi128ELi4ELi1EEvPfPK15HIP_vector_typeIfLj2EEiiiiS1_IjLj3EES5_S5_S5_,"axG",@progbits,_ZL33flash_attn_stream_k_fixup_generalILi128ELi4ELi1EEvPfPK15HIP_vector_typeIfLj2EEiiiiS1_IjLj3EES5_S5_S5_,comdat
.Lfunc_end67:
	.size	_ZL33flash_attn_stream_k_fixup_generalILi128ELi4ELi1EEvPfPK15HIP_vector_typeIfLj2EEiiiiS1_IjLj3EES5_S5_S5_, .Lfunc_end67-_ZL33flash_attn_stream_k_fixup_generalILi128ELi4ELi1EEvPfPK15HIP_vector_typeIfLj2EEiiiiS1_IjLj3EES5_S5_S5_
                                        ; -- End function
	.set _ZL33flash_attn_stream_k_fixup_generalILi128ELi4ELi1EEvPfPK15HIP_vector_typeIfLj2EEiiiiS1_IjLj3EES5_S5_S5_.num_vgpr, 17
	.set _ZL33flash_attn_stream_k_fixup_generalILi128ELi4ELi1EEvPfPK15HIP_vector_typeIfLj2EEiiiiS1_IjLj3EES5_S5_S5_.num_agpr, 0
	.set _ZL33flash_attn_stream_k_fixup_generalILi128ELi4ELi1EEvPfPK15HIP_vector_typeIfLj2EEiiiiS1_IjLj3EES5_S5_S5_.numbered_sgpr, 31
	.set _ZL33flash_attn_stream_k_fixup_generalILi128ELi4ELi1EEvPfPK15HIP_vector_typeIfLj2EEiiiiS1_IjLj3EES5_S5_S5_.num_named_barrier, 0
	.set _ZL33flash_attn_stream_k_fixup_generalILi128ELi4ELi1EEvPfPK15HIP_vector_typeIfLj2EEiiiiS1_IjLj3EES5_S5_S5_.private_seg_size, 0
	.set _ZL33flash_attn_stream_k_fixup_generalILi128ELi4ELi1EEvPfPK15HIP_vector_typeIfLj2EEiiiiS1_IjLj3EES5_S5_S5_.uses_vcc, 1
	.set _ZL33flash_attn_stream_k_fixup_generalILi128ELi4ELi1EEvPfPK15HIP_vector_typeIfLj2EEiiiiS1_IjLj3EES5_S5_S5_.uses_flat_scratch, 0
	.set _ZL33flash_attn_stream_k_fixup_generalILi128ELi4ELi1EEvPfPK15HIP_vector_typeIfLj2EEiiiiS1_IjLj3EES5_S5_S5_.has_dyn_sized_stack, 0
	.set _ZL33flash_attn_stream_k_fixup_generalILi128ELi4ELi1EEvPfPK15HIP_vector_typeIfLj2EEiiiiS1_IjLj3EES5_S5_S5_.has_recursion, 0
	.set _ZL33flash_attn_stream_k_fixup_generalILi128ELi4ELi1EEvPfPK15HIP_vector_typeIfLj2EEiiiiS1_IjLj3EES5_S5_S5_.has_indirect_call, 0
	.section	.AMDGPU.csdata,"",@progbits
; Kernel info:
; codeLenInByte = 2936
; TotalNumSgprs: 33
; NumVgprs: 17
; ScratchSize: 0
; MemoryBound: 0
; FloatMode: 240
; IeeeMode: 1
; LDSByteSize: 0 bytes/workgroup (compile time only)
; SGPRBlocks: 0
; VGPRBlocks: 2
; NumSGPRsForWavesPerEU: 33
; NumVGPRsForWavesPerEU: 17
; Occupancy: 16
; WaveLimiterHint : 0
; COMPUTE_PGM_RSRC2:SCRATCH_EN: 0
; COMPUTE_PGM_RSRC2:USER_SGPR: 6
; COMPUTE_PGM_RSRC2:TRAP_HANDLER: 0
; COMPUTE_PGM_RSRC2:TGID_X_EN: 1
; COMPUTE_PGM_RSRC2:TGID_Y_EN: 1
; COMPUTE_PGM_RSRC2:TGID_Z_EN: 1
; COMPUTE_PGM_RSRC2:TIDIG_COMP_CNT: 0
	.section	.text._ZL15flash_attn_tileILi128ELi128ELi2ELi1ELb0EEvPKcS1_S1_S1_S1_PKiPfP15HIP_vector_typeIfLj2EEffffjfiS5_IjLj3EEiiiiiiiiiiiliiliiiiil,"axG",@progbits,_ZL15flash_attn_tileILi128ELi128ELi2ELi1ELb0EEvPKcS1_S1_S1_S1_PKiPfP15HIP_vector_typeIfLj2EEffffjfiS5_IjLj3EEiiiiiiiiiiiliiliiiiil,comdat
	.globl	_ZL15flash_attn_tileILi128ELi128ELi2ELi1ELb0EEvPKcS1_S1_S1_S1_PKiPfP15HIP_vector_typeIfLj2EEffffjfiS5_IjLj3EEiiiiiiiiiiiliiliiiiil ; -- Begin function _ZL15flash_attn_tileILi128ELi128ELi2ELi1ELb0EEvPKcS1_S1_S1_S1_PKiPfP15HIP_vector_typeIfLj2EEffffjfiS5_IjLj3EEiiiiiiiiiiiliiliiiiil
	.p2align	8
	.type	_ZL15flash_attn_tileILi128ELi128ELi2ELi1ELb0EEvPKcS1_S1_S1_S1_PKiPfP15HIP_vector_typeIfLj2EEffffjfiS5_IjLj3EEiiiiiiiiiiiliiliiiiil,@function
_ZL15flash_attn_tileILi128ELi128ELi2ELi1ELb0EEvPKcS1_S1_S1_S1_PKiPfP15HIP_vector_typeIfLj2EEffffjfiS5_IjLj3EEiiiiiiiiiiiliiliiiiil: ; @_ZL15flash_attn_tileILi128ELi128ELi2ELi1ELb0EEvPKcS1_S1_S1_S1_PKiPfP15HIP_vector_typeIfLj2EEffffjfiS5_IjLj3EEiiiiiiiiiiiliiliiiiil
; %bb.0:
	s_add_u32 s6, s6, s11
	s_addc_u32 s7, s7, 0
	s_setreg_b32 hwreg(HW_REG_FLAT_SCR_LO), s6
	s_setreg_b32 hwreg(HW_REG_FLAT_SCR_HI), s7
	s_clause 0x1
	s_load_dwordx4 s[28:31], s[4:5], 0x5c
	s_load_dwordx2 s[44:45], s[4:5], 0x80
	s_add_u32 s0, s0, s11
	s_addc_u32 s1, s1, 0
	s_mov_b32 s34, s9
	s_load_dwordx2 s[46:47], s[4:5], 0xb8
	s_mov_b64 s[42:43], 0
	s_waitcnt lgkmcnt(0)
	v_cvt_f32_u32_e32 v2, s31
	s_sub_i32 s7, 0, s31
	v_rcp_iflag_f32_e32 v2, v2
	v_mul_f32_e32 v2, 0x4f7ffffe, v2
	v_cvt_u32_f32_e32 v2, v2
	v_readfirstlane_b32 s6, v2
	s_mul_i32 s7, s7, s6
	s_mul_hi_u32 s7, s6, s7
	s_add_i32 s6, s6, s7
	s_mul_hi_u32 s6, s10, s6
	s_mul_i32 s7, s6, s31
	s_add_i32 s9, s6, 1
	s_sub_i32 s7, s10, s7
	s_sub_i32 s11, s7, s31
	s_cmp_ge_u32 s7, s31
	s_cselect_b32 s6, s9, s6
	s_cselect_b32 s7, s11, s7
	s_add_i32 s9, s6, 1
	s_cmp_ge_u32 s7, s31
	s_cselect_b32 s33, s9, s6
	s_abs_i32 s6, s45
	s_abs_i32 s12, s31
	v_cvt_f32_u32_e32 v2, s6
	s_sub_i32 s9, 0, s6
	s_mul_i32 s11, s33, s31
	s_sub_i32 s40, s10, s11
	v_rcp_iflag_f32_e32 v2, v2
	v_mul_f32_e32 v2, 0x4f7ffffe, v2
	v_cvt_u32_f32_e32 v2, v2
	v_readfirstlane_b32 s7, v2
	s_mul_i32 s9, s9, s7
	s_mul_hi_u32 s9, s7, s9
	s_add_i32 s7, s7, s9
	s_xor_b32 s9, s31, s45
	s_mul_hi_u32 s7, s12, s7
	s_ashr_i32 s9, s9, 31
	s_mul_i32 s10, s7, s6
	s_add_i32 s11, s7, 1
	s_sub_i32 s10, s12, s10
	s_sub_i32 s12, s10, s6
	s_cmp_ge_u32 s10, s6
	s_cselect_b32 s7, s11, s7
	s_cselect_b32 s10, s12, s10
	s_add_i32 s11, s7, 1
	s_cmp_ge_u32 s10, s6
	s_load_dwordx16 s[12:27], s[4:5], 0x0
	s_cselect_b32 s6, s11, s7
	s_abs_i32 s45, s40
	s_xor_b32 s6, s6, s9
	s_sub_i32 s10, s6, s9
	s_abs_i32 s35, s10
	v_cvt_f32_u32_e32 v2, s35
	s_sub_i32 s7, 0, s35
	v_rcp_iflag_f32_e32 v2, v2
	v_mul_f32_e32 v2, 0x4f7ffffe, v2
	v_cvt_u32_f32_e32 v2, v2
	v_readfirstlane_b32 s6, v2
	s_mul_i32 s7, s7, s6
	s_mul_hi_u32 s7, s6, s7
	s_add_i32 s6, s6, s7
	s_waitcnt lgkmcnt(0)
	s_cmp_eq_u64 s[18:19], 0
	s_cbranch_scc1 .LBB68_2
; %bb.1:
	s_abs_i32 s7, s46
	s_abs_i32 s38, s33
	v_cvt_f32_u32_e32 v2, s7
	s_sub_i32 s11, 0, s7
	s_load_dwordx2 s[36:37], s[4:5], 0xc8
	v_rcp_iflag_f32_e32 v2, v2
	v_mul_f32_e32 v2, 0x4f7ffffe, v2
	v_cvt_u32_f32_e32 v2, v2
	v_readfirstlane_b32 s9, v2
	s_mul_i32 s11, s11, s9
	s_mul_hi_u32 s11, s9, s11
	s_add_i32 s9, s9, s11
	s_ashr_i32 s11, s33, 31
	s_mul_hi_u32 s9, s38, s9
	s_mul_i32 s9, s9, s7
	s_sub_i32 s9, s38, s9
	s_sub_i32 s38, s9, s7
	s_cmp_ge_u32 s9, s7
	s_cselect_b32 s9, s38, s9
	s_sub_i32 s38, s9, s7
	s_cmp_ge_u32 s9, s7
	s_cselect_b32 s7, s38, s9
	s_xor_b32 s7, s7, s11
	s_sub_i32 s7, s7, s11
	s_ashr_i32 s9, s7, 31
	s_waitcnt lgkmcnt(0)
	s_mul_hi_u32 s11, s36, s7
	s_mul_i32 s9, s36, s9
	s_add_i32 s9, s11, s9
	s_mul_i32 s11, s37, s7
	s_mul_i32 s7, s36, s7
	s_add_i32 s9, s9, s11
	s_add_u32 s42, s18, s7
	s_addc_u32 s43, s19, s9
.LBB68_2:
	s_clause 0x1
	s_load_dwordx4 s[36:39], s[4:5], 0x40
	s_load_dword s7, s[4:5], 0x50
	v_mov_b32_e32 v42, 1.0
	s_waitcnt lgkmcnt(0)
	v_cmp_le_f32_e64 s9, s37, 0
	s_mul_hi_u32 s37, s45, s6
	s_and_b32 vcc_lo, exec_lo, s9
	s_cbranch_vccnz .LBB68_4
; %bb.3:
	v_sub_co_u32 v3, vcc_lo, s40, s7
	v_mov_b32_e32 v2, s38
	s_add_i32 s6, s40, 1
	v_lshlrev_b32_e32 v3, 1, v3
	v_cndmask_b32_e32 v2, s39, v2, vcc_lo
	v_or_b32_e32 v3, 1, v3
	v_cndmask_b32_e64 v3, v3, s6, vcc_lo
	v_cmp_neq_f32_e32 vcc_lo, 1.0, v2
	s_mov_b32 s6, 0x3e76c4e1
	v_cvt_f32_i32_e32 v3, v3
	v_cndmask_b32_e32 v4, 1.0, v3, vcc_lo
	v_cmp_neq_f32_e32 vcc_lo, 0, v4
	v_cndmask_b32_e32 v5, 1.0, v2, vcc_lo
	v_frexp_mant_f32_e64 v2, |v5|
	v_cmp_eq_f32_e64 s9, 0, v5
	v_cmp_gt_f32_e32 vcc_lo, 0x3f2aaaab, v2
	v_cndmask_b32_e64 v3, 1.0, 2.0, vcc_lo
	v_mul_f32_e32 v2, v2, v3
	v_add_f32_e32 v3, 1.0, v2
	v_add_f32_e32 v7, -1.0, v2
	v_rcp_f32_e32 v6, v3
	v_add_f32_e32 v9, -1.0, v3
	v_sub_f32_e32 v2, v2, v9
	v_mul_f32_e32 v8, v7, v6
	v_mul_f32_e32 v10, v3, v8
	v_fma_f32 v3, v8, v3, -v10
	v_fmac_f32_e32 v3, v8, v2
	v_add_f32_e32 v2, v10, v3
	v_sub_f32_e32 v9, v7, v2
	v_sub_f32_e32 v10, v2, v10
	;; [unrolled: 1-line block ×5, first 2 shown]
	v_add_f32_e32 v2, v3, v2
	v_add_f32_e32 v2, v9, v2
	v_mul_f32_e32 v2, v6, v2
	v_add_f32_e32 v6, v8, v2
	v_sub_f32_e32 v3, v6, v8
	v_mul_f32_e32 v7, v6, v6
	v_sub_f32_e32 v8, v2, v3
	v_fma_f32 v2, v6, v6, -v7
	v_add_f32_e32 v3, v8, v8
	v_fmac_f32_e32 v2, v6, v3
	v_add_f32_e32 v9, v7, v2
	v_fmaak_f32 v3, s6, v9, 0x3e91f4c4
	v_sub_f32_e32 v7, v9, v7
	v_mul_f32_e32 v14, v6, v9
	v_fmaak_f32 v3, v9, v3, 0x3ecccdef
	v_sub_f32_e32 v7, v2, v7
	v_fma_f32 v15, v9, v6, -v14
	v_mul_f32_e32 v10, v9, v3
	v_fmac_f32_e32 v15, v9, v8
	v_ldexp_f32 v8, v8, 1
	v_fma_f32 v11, v9, v3, -v10
	v_fmac_f32_e32 v15, v7, v6
	v_fmac_f32_e32 v11, v7, v3
	v_cvt_f64_f32_e64 v[2:3], |v5|
	v_add_f32_e32 v12, v10, v11
	v_sub_f32_e32 v10, v12, v10
	v_add_f32_e32 v13, 0x3f2aaaaa, v12
	v_sub_f32_e32 v10, v11, v10
	v_add_f32_e32 v11, 0xbf2aaaaa, v13
	v_add_f32_e32 v10, 0x31739010, v10
	v_sub_f32_e32 v11, v12, v11
	v_frexp_exp_i32_f64_e32 v2, v[2:3]
	v_add_f32_e32 v9, v10, v11
	v_add_f32_e32 v10, v14, v15
	;; [unrolled: 1-line block ×3, first 2 shown]
	v_sub_f32_e32 v12, v10, v14
	v_sub_f32_e32 v3, v13, v7
	v_mul_f32_e32 v11, v10, v7
	v_sub_f32_e32 v12, v15, v12
	v_add_f32_e32 v3, v9, v3
	v_fma_f32 v9, v10, v7, -v11
	v_subrev_co_ci_u32_e64 v2, null, 0, v2, vcc_lo
	v_fmac_f32_e32 v9, v10, v3
	v_ldexp_f32 v3, v6, 1
	v_cvt_f32_i32_e32 v2, v2
	v_fmac_f32_e32 v9, v12, v7
	v_add_f32_e32 v6, v11, v9
	v_add_f32_e32 v7, v3, v6
	v_sub_f32_e32 v10, v6, v11
	v_mul_f32_e32 v11, 0x3f317218, v2
	v_sub_f32_e32 v3, v7, v3
	v_sub_f32_e32 v9, v9, v10
	v_fma_f32 v10, 0x3f317218, v2, -v11
	v_sub_f32_e32 v3, v6, v3
	v_add_f32_e32 v6, v8, v9
	v_fmamk_f32 v2, v2, 0xb102e308, v10
	v_add_f32_e32 v3, v6, v3
	v_add_f32_e32 v6, v11, v2
	;; [unrolled: 1-line block ×3, first 2 shown]
	v_sub_f32_e32 v11, v6, v11
	v_add_f32_e32 v9, v6, v8
	v_sub_f32_e32 v7, v8, v7
	v_sub_f32_e32 v2, v2, v11
	v_sub_f32_e32 v10, v9, v6
	v_sub_f32_e32 v3, v3, v7
	v_sub_f32_e32 v12, v9, v10
	v_sub_f32_e32 v7, v8, v10
	v_add_f32_e32 v8, v2, v3
	v_sub_f32_e32 v6, v6, v12
	v_add_f32_e32 v6, v7, v6
	v_sub_f32_e32 v7, v8, v2
	;; [unrolled: 2-line block ×3, first 2 shown]
	v_sub_f32_e32 v3, v3, v7
	v_add_f32_e32 v10, v9, v6
	v_sub_f32_e32 v2, v2, v8
	v_sub_f32_e32 v7, v10, v9
	v_add_f32_e32 v2, v3, v2
	v_sub_f32_e32 v3, v6, v7
	v_add_f32_e32 v2, v2, v3
	v_add_f32_e32 v3, v10, v2
	v_sub_f32_e32 v6, v3, v10
	v_mul_f32_e32 v7, v4, v3
	v_sub_f32_e32 v2, v2, v6
	v_fma_f32 v3, v4, v3, -v7
	v_cmp_class_f32_e64 vcc_lo, v7, 0x204
	v_fmac_f32_e32 v3, v4, v2
	v_add_f32_e32 v2, v7, v3
	v_cndmask_b32_e32 v6, v2, v7, vcc_lo
	v_sub_f32_e32 v2, v2, v7
	v_cmp_eq_f32_e32 vcc_lo, 0x42b17218, v6
	v_sub_f32_e32 v2, v3, v2
	v_cndmask_b32_e64 v8, 0, 0x37000000, vcc_lo
	v_cmp_neq_f32_e64 vcc_lo, 0x7f800000, |v6|
	v_sub_f32_e32 v9, v6, v8
	v_cndmask_b32_e32 v2, 0, v2, vcc_lo
	v_trunc_f32_e32 v6, v4
	v_mul_f32_e32 v10, 0x3fb8aa3b, v9
	v_cmp_ngt_f32_e32 vcc_lo, 0xc2ce8ed0, v9
	v_add_f32_e32 v2, v8, v2
	v_fma_f32 v11, 0x3fb8aa3b, v9, -v10
	v_rndne_f32_e32 v12, v10
	v_fmamk_f32 v11, v9, 0x32a5705f, v11
	v_sub_f32_e32 v10, v10, v12
	v_cvt_i32_f32_e32 v7, v12
	v_add_f32_e32 v10, v10, v11
	v_exp_f32_e32 v10, v10
	v_ldexp_f32 v3, v10, v7
	v_mul_f32_e32 v7, 0.5, v4
	v_cndmask_b32_e32 v3, 0, v3, vcc_lo
	v_cmp_nlt_f32_e32 vcc_lo, 0x42b17218, v9
	v_trunc_f32_e32 v10, v7
	v_cndmask_b32_e32 v3, 0x7f800000, v3, vcc_lo
	v_cmp_eq_f32_e32 vcc_lo, v6, v4
	v_cmp_neq_f32_e64 s6, v10, v7
	v_fma_f32 v2, v3, v2, v3
	v_cmp_class_f32_e64 s7, v3, 0x204
	s_and_b32 s6, vcc_lo, s6
	v_cndmask_b32_e64 v6, 1.0, v5, s6
	v_cndmask_b32_e64 v2, v2, v3, s7
	v_cmp_gt_f32_e64 s7, 0, v4
	v_bfi_b32 v2, 0x7fffffff, v2, v6
	s_xor_b32 s7, s7, s9
	v_cndmask_b32_e64 v6, 0, v5, s6
	v_cndmask_b32_e64 v3, 0x7f800000, 0, s7
	v_cmp_class_f32_e64 s6, v5, 0x204
	v_cndmask_b32_e32 v4, 0x7fc00000, v2, vcc_lo
	v_cmp_gt_f32_e32 vcc_lo, 0, v5
	v_bfi_b32 v3, 0x7fffffff, v3, v6
	v_cndmask_b32_e32 v2, v2, v4, vcc_lo
	s_or_b32 vcc_lo, s9, s6
	v_cndmask_b32_e32 v2, v2, v3, vcc_lo
	v_cmp_o_f32_e32 vcc_lo, v5, v5
	v_cndmask_b32_e32 v42, 0x7fc00000, v2, vcc_lo
.LBB68_4:
	v_lshl_add_u32 v18, s8, 1, v1
	s_load_dwordx4 s[48:51], s[4:5], 0x70
	s_ashr_i32 s41, s40, 31
	v_lshlrev_b32_e32 v39, 3, v0
	v_lshl_add_u32 v46, v1, 8, 0x1200
	v_mul_hi_u32 v2, s28, v18
	s_ashr_i32 s28, s10, 31
	v_mov_b32_e32 v48, 0
	v_add_nc_u32_e32 v6, v46, v39
	v_add_nc_u32_e32 v2, v18, v2
	v_lshrrev_b32_e32 v2, s29, v2
	s_waitcnt lgkmcnt(0)
	s_mul_i32 s6, s33, s50
	s_mul_i32 s7, s40, s49
	v_mul_lo_u32 v2, v2, s30
	s_ashr_i32 s9, s6, 31
	s_add_u32 s6, s12, s6
	s_addc_u32 s9, s13, s9
	s_ashr_i32 s10, s7, 31
	s_add_u32 s11, s6, s7
	s_addc_u32 s9, s9, s10
	s_ashr_i32 s49, s48, 31
	v_sub_nc_u32_e32 v43, v18, v2
	s_lshr_b64 s[6:7], s[48:49], 2
	s_mov_b32 s7, 0
	v_mad_u64_u32 v[2:3], null, s6, v43, 0
	s_lshr_b32 s6, s49, 2
	s_cmp_eq_u64 s[22:23], 0
	v_mad_u64_u32 v[3:4], null, s6, v43, v[3:4]
	v_lshlrev_b32_e32 v4, 4, v0
	v_lshlrev_b64 v[2:3], 2, v[2:3]
	v_add_co_u32 v2, vcc_lo, s11, v2
	v_add_co_ci_u32_e64 v3, null, s9, v3, vcc_lo
	v_add_co_u32 v2, vcc_lo, v2, v4
	v_add_co_ci_u32_e64 v3, null, 0, v3, vcc_lo
	global_load_dwordx4 v[2:5], v[2:3], off
	s_waitcnt vmcnt(0)
	v_fma_mixlo_f16 v3, s36, v3, 0
	v_fma_mixlo_f16 v2, s36, v2, 0
	;; [unrolled: 1-line block ×4, first 2 shown]
	v_lshlrev_b32_e32 v3, 16, v3
	v_and_b32_e32 v2, 0xffff, v2
	v_and_b32_e32 v4, 0xffff, v4
	v_lshlrev_b32_e32 v5, 16, v5
	v_or_b32_e32 v2, v3, v2
	v_or3_b32 v3, v5, v4, 0
	v_or3_b32 v2, 0, 0, v2
	ds_write_b64 v6, v[2:3]
	s_waitcnt lgkmcnt(0)
	s_barrier
	buffer_gl0_inv
	s_cbranch_scc1 .LBB68_6
; %bb.5:
	s_load_dword s6, s[4:5], 0xd0
	s_waitcnt lgkmcnt(0)
	s_mul_i32 s6, s6, s33
	s_add_i32 s6, s6, s8
	s_lshl_b64 s[6:7], s[6:7], 2
	s_add_u32 s6, s22, s6
	s_addc_u32 s7, s23, s7
	s_load_dword s44, s[6:7], 0x0
.LBB68_6:
	s_clause 0x1
	s_load_dwordx2 s[6:7], s[4:5], 0x8c
	s_load_dwordx4 s[8:11], s[4:5], 0x98
	s_ashr_i32 s13, s33, 31
	s_load_dwordx2 s[22:23], s[4:5], 0xa8
	s_ashr_i32 s18, s47, 1
	s_mul_i32 s29, s37, s35
	v_lshlrev_b32_e32 v37, 2, v0
	v_lshrrev_b32_e32 v50, 3, v0
	v_mul_u32_u24_e32 v47, 0x90, v0
	v_lshrrev_b32_e32 v44, 4, v0
	v_mbcnt_lo_u32_b32 v38, -1, 0
	v_and_b32_e32 v49, 28, v37
	v_and_b32_e32 v45, 60, v37
	s_waitcnt lgkmcnt(0)
	s_ashr_i32 s19, s6, 2
	s_ashr_i32 s12, s10, 2
	s_mul_hi_u32 s6, s8, s33
	s_mul_i32 s10, s8, s13
	s_mul_i32 s9, s9, s33
	s_add_i32 s6, s6, s10
	s_mul_i32 s8, s8, s33
	s_add_i32 s6, s6, s9
	s_add_u32 s8, s14, s8
	s_addc_u32 s6, s15, s6
	s_sub_i32 s10, s45, s29
	s_xor_b32 s9, s41, s28
	s_add_i32 s14, s37, 1
	s_sub_i32 s15, s10, s35
	s_cmp_ge_u32 s10, s35
	s_mul_i32 s13, s22, s13
	s_cselect_b32 s14, s14, s37
	s_cselect_b32 s10, s15, s10
	s_add_i32 s15, s14, 1
	s_cmp_ge_u32 s10, s35
	s_cselect_b32 s10, s15, s14
	s_mul_hi_u32 s14, s22, s33
	s_xor_b32 s10, s10, s9
	s_mul_i32 s15, s22, s33
	s_sub_i32 s9, s10, s9
	s_mul_i32 s10, s23, s33
	s_mul_i32 s7, s9, s7
	;; [unrolled: 1-line block ×3, first 2 shown]
	s_ashr_i32 s23, s7, 31
	s_add_u32 s22, s8, s7
	s_addc_u32 s23, s6, s23
	s_add_i32 s6, s14, s13
	s_add_i32 s6, s6, s10
	s_add_u32 s7, s16, s15
	s_addc_u32 s6, s17, s6
	s_ashr_i32 s8, s9, 31
	s_add_u32 s13, s7, s9
	s_addc_u32 s14, s6, s8
	s_lshl_b32 s15, s34, 5
	s_sub_i32 s10, s44, 32
	s_cmp_ge_i32 s15, s10
	s_cbranch_scc1 .LBB68_12
; %bb.7:
	v_lshl_add_u32 v3, v1, 2, v50
	v_lshl_add_u32 v7, v1, 1, v44
	s_lshl_b32 s6, s19, 3
	s_cmp_lg_u64 s[42:43], 0
	v_lshlrev_b32_e32 v8, 2, v45
	v_mul_lo_u32 v2, s19, v3
	v_mul_lo_u32 v4, s12, v7
	s_cselect_b32 s11, -1, 0
	s_lshl_b32 s7, s12, 2
	v_lshl_or_b32 v53, v7, 8, v8
	v_lshlrev_b32_e32 v5, 2, v49
	v_mad_u64_u32 v[20:21], null, v43, s18, v[0:1]
	v_add_nc_u32_e32 v6, s6, v2
	v_add_nc_u32_e32 v10, s7, v4
	v_mad_u32_u24 v52, 0x90, v3, v5
	v_ashrrev_i32_e32 v3, 31, v2
	v_ashrrev_i32_e32 v5, 31, v4
	v_add_nc_u32_e32 v8, s6, v6
	v_add_nc_u32_e32 v14, s7, v10
	v_ashrrev_i32_e32 v7, 31, v6
	v_ashrrev_i32_e32 v11, 31, v10
	v_lshlrev_b64 v[21:22], 2, v[2:3]
	v_add_nc_u32_e32 v12, s6, v8
	v_add_nc_u32_e32 v16, s7, v14
	v_ashrrev_i32_e32 v9, 31, v8
	v_ashrrev_i32_e32 v15, 31, v14
	v_lshlrev_b64 v[23:24], 2, v[6:7]
	v_ashrrev_i32_e32 v13, 31, v12
	v_ashrrev_i32_e32 v17, 31, v16
	v_lshlrev_b64 v[25:26], 2, v[8:9]
	v_lshlrev_b64 v[29:30], 2, v[4:5]
	;; [unrolled: 1-line block ×6, first 2 shown]
	v_mov_b32_e32 v40, 0
	v_lshl_add_u32 v51, v1, 6, 0x1400
	v_add_nc_u32_e32 v54, 0x480, v52
	v_add_nc_u32_e32 v55, 0x900, v52
	;; [unrolled: 1-line block ×6, first 2 shown]
	v_mov_b32_e32 v65, 0xfeffffff
	v_lshlrev_b32_e32 v60, 2, v49
	v_lshlrev_b32_e32 v61, 2, v45
	v_mbcnt_lo_u32_b32 v62, -1, 0
	v_mov_b32_e32 v63, 0x10001
	v_mov_b32_e32 v41, 0
	;; [unrolled: 1-line block ×3, first 2 shown]
	s_add_u32 s6, s4, 0xd0
	s_addc_u32 s7, s5, 0
.LBB68_8:                               ; =>This Inner Loop Header: Depth=1
	s_mul_hi_i32 s9, s15, s19
	s_mul_i32 s8, s15, s19
	v_mov_b32_e32 v19, 0
	s_lshl_b64 s[8:9], s[8:9], 2
	v_mov_b32_e32 v48, 0
	s_add_u32 s8, s22, s8
	s_addc_u32 s9, s23, s9
	v_add_co_u32 v2, vcc_lo, s8, v21
	v_add_co_ci_u32_e64 v3, null, s9, v22, vcc_lo
	v_add_co_u32 v4, vcc_lo, s8, v23
	v_add_co_ci_u32_e64 v5, null, s9, v24, vcc_lo
	;; [unrolled: 2-line block ×8, first 2 shown]
	s_clause 0x3
	global_load_dwordx4 v[2:5], v[66:67], off
	global_load_dwordx4 v[6:9], v[68:69], off
	;; [unrolled: 1-line block ×4, first 2 shown]
	s_andn2_b32 vcc_lo, exec_lo, s11
	s_waitcnt vmcnt(3)
	ds_write_b128 v52, v[2:5]
	s_waitcnt vmcnt(2)
	ds_write_b128 v54, v[6:9]
	s_waitcnt vmcnt(1)
	ds_write_b128 v55, v[10:13]
	s_waitcnt vmcnt(0)
	ds_write_b128 v56, v[14:17]
	s_waitcnt lgkmcnt(0)
	s_barrier
	buffer_gl0_inv
	ds_read_b128 v[2:5], v47
	ds_read_b128 v[6:9], v46
	s_waitcnt lgkmcnt(0)
	;;#ASMSTART
	v_dot2_f32_f16 v19, v2, v6, v19
	;;#ASMEND
	;;#ASMSTART
	v_dot2_f32_f16 v19, v3, v7, v19
	;;#ASMEND
	;;#ASMSTART
	v_dot2_f32_f16 v19, v4, v8, v19
	;;#ASMEND
	;;#ASMSTART
	v_dot2_f32_f16 v19, v5, v9, v19
	;;#ASMEND
	ds_read_b128 v[2:5], v47 offset:16
	ds_read_b128 v[6:9], v46 offset:16
	s_waitcnt lgkmcnt(0)
	;;#ASMSTART
	v_dot2_f32_f16 v19, v2, v6, v19
	;;#ASMEND
	;;#ASMSTART
	v_dot2_f32_f16 v19, v3, v7, v19
	;;#ASMEND
	;;#ASMSTART
	v_dot2_f32_f16 v19, v4, v8, v19
	;;#ASMEND
	;;#ASMSTART
	v_dot2_f32_f16 v19, v5, v9, v19
	;;#ASMEND
	ds_read_b128 v[2:5], v47 offset:32
	ds_read_b128 v[6:9], v46 offset:32
	;; [unrolled: 15-line block ×7, first 2 shown]
	s_waitcnt lgkmcnt(0)
	;;#ASMSTART
	v_dot2_f32_f16 v19, v2, v6, v19
	;;#ASMEND
	;;#ASMSTART
	v_dot2_f32_f16 v19, v3, v7, v19
	;;#ASMEND
	;; [unrolled: 3-line block ×4, first 2 shown]
	s_barrier
	buffer_gl0_inv
	s_clause 0x3
	global_load_dwordx4 v[2:5], v[66:67], off offset:128
	global_load_dwordx4 v[6:9], v[68:69], off offset:128
	;; [unrolled: 1-line block ×4, first 2 shown]
	s_waitcnt vmcnt(3)
	ds_write_b128 v52, v[2:5]
	s_waitcnt vmcnt(2)
	ds_write_b128 v54, v[6:9]
	s_waitcnt vmcnt(1)
	ds_write_b128 v55, v[10:13]
	s_waitcnt vmcnt(0)
	ds_write_b128 v56, v[14:17]
	s_waitcnt lgkmcnt(0)
	s_barrier
	buffer_gl0_inv
	ds_read_b128 v[2:5], v47
	ds_read_b128 v[6:9], v46 offset:128
	s_waitcnt lgkmcnt(0)
	;;#ASMSTART
	v_dot2_f32_f16 v19, v2, v6, v19
	;;#ASMEND
	;;#ASMSTART
	v_dot2_f32_f16 v19, v3, v7, v19
	;;#ASMEND
	;;#ASMSTART
	v_dot2_f32_f16 v19, v4, v8, v19
	;;#ASMEND
	;;#ASMSTART
	v_dot2_f32_f16 v19, v5, v9, v19
	;;#ASMEND
	ds_read_b128 v[2:5], v47 offset:16
	ds_read_b128 v[6:9], v46 offset:144
	s_waitcnt lgkmcnt(0)
	;;#ASMSTART
	v_dot2_f32_f16 v19, v2, v6, v19
	;;#ASMEND
	;;#ASMSTART
	v_dot2_f32_f16 v19, v3, v7, v19
	;;#ASMEND
	;;#ASMSTART
	v_dot2_f32_f16 v19, v4, v8, v19
	;;#ASMEND
	;;#ASMSTART
	v_dot2_f32_f16 v19, v5, v9, v19
	;;#ASMEND
	ds_read_b128 v[2:5], v47 offset:32
	ds_read_b128 v[6:9], v46 offset:160
	s_waitcnt lgkmcnt(0)
	;;#ASMSTART
	v_dot2_f32_f16 v19, v2, v6, v19
	;;#ASMEND
	;;#ASMSTART
	v_dot2_f32_f16 v19, v3, v7, v19
	;;#ASMEND
	;;#ASMSTART
	v_dot2_f32_f16 v19, v4, v8, v19
	;;#ASMEND
	;;#ASMSTART
	v_dot2_f32_f16 v19, v5, v9, v19
	;;#ASMEND
	ds_read_b128 v[2:5], v47 offset:48
	ds_read_b128 v[6:9], v46 offset:176
	s_waitcnt lgkmcnt(0)
	;;#ASMSTART
	v_dot2_f32_f16 v19, v2, v6, v19
	;;#ASMEND
	;;#ASMSTART
	v_dot2_f32_f16 v19, v3, v7, v19
	;;#ASMEND
	;;#ASMSTART
	v_dot2_f32_f16 v19, v4, v8, v19
	;;#ASMEND
	;;#ASMSTART
	v_dot2_f32_f16 v19, v5, v9, v19
	;;#ASMEND
	ds_read_b128 v[2:5], v47 offset:64
	ds_read_b128 v[6:9], v46 offset:192
	s_waitcnt lgkmcnt(0)
	;;#ASMSTART
	v_dot2_f32_f16 v19, v2, v6, v19
	;;#ASMEND
	;;#ASMSTART
	v_dot2_f32_f16 v19, v3, v7, v19
	;;#ASMEND
	;;#ASMSTART
	v_dot2_f32_f16 v19, v4, v8, v19
	;;#ASMEND
	;;#ASMSTART
	v_dot2_f32_f16 v19, v5, v9, v19
	;;#ASMEND
	ds_read_b128 v[2:5], v47 offset:80
	ds_read_b128 v[6:9], v46 offset:208
	s_waitcnt lgkmcnt(0)
	;;#ASMSTART
	v_dot2_f32_f16 v19, v2, v6, v19
	;;#ASMEND
	;;#ASMSTART
	v_dot2_f32_f16 v19, v3, v7, v19
	;;#ASMEND
	;;#ASMSTART
	v_dot2_f32_f16 v19, v4, v8, v19
	;;#ASMEND
	;;#ASMSTART
	v_dot2_f32_f16 v19, v5, v9, v19
	;;#ASMEND
	ds_read_b128 v[2:5], v47 offset:96
	ds_read_b128 v[6:9], v46 offset:224
	s_waitcnt lgkmcnt(0)
	;;#ASMSTART
	v_dot2_f32_f16 v19, v2, v6, v19
	;;#ASMEND
	;;#ASMSTART
	v_dot2_f32_f16 v19, v3, v7, v19
	;;#ASMEND
	;;#ASMSTART
	v_dot2_f32_f16 v19, v4, v8, v19
	;;#ASMEND
	;;#ASMSTART
	v_dot2_f32_f16 v19, v5, v9, v19
	;;#ASMEND
	ds_read_b128 v[2:5], v47 offset:112
	ds_read_b128 v[6:9], v46 offset:240
	s_waitcnt lgkmcnt(0)
	;;#ASMSTART
	v_dot2_f32_f16 v19, v2, v6, v19
	;;#ASMEND
	;;#ASMSTART
	v_dot2_f32_f16 v19, v3, v7, v19
	;;#ASMEND
	;; [unrolled: 3-line block ×4, first 2 shown]
	s_cbranch_vccnz .LBB68_10
; %bb.9:                                ;   in Loop: Header=BB68_8 Depth=1
	v_add_nc_u32_e32 v2, s15, v20
	v_ashrrev_i32_e32 v3, 31, v2
	v_lshlrev_b64 v[2:3], 1, v[2:3]
	v_add_co_u32 v2, vcc_lo, s42, v2
	v_add_co_ci_u32_e64 v3, null, s43, v3, vcc_lo
	global_load_ushort v2, v[2:3], off
	s_waitcnt vmcnt(0)
	v_cvt_f32_f16_e32 v2, v2
	v_mul_f32_e32 v48, v42, v2
.LBB68_10:                              ;   in Loop: Header=BB68_8 Depth=1
	s_mul_hi_i32 s9, s15, s12
	s_mul_i32 s8, s15, s12
	s_lshl_b64 s[8:9], s[8:9], 2
	s_barrier
	s_add_u32 s8, s13, s8
	s_addc_u32 s9, s14, s9
	v_add_co_u32 v2, vcc_lo, s8, v29
	v_add_co_ci_u32_e64 v3, null, s9, v30, vcc_lo
	v_add_co_u32 v4, vcc_lo, s8, v31
	v_add_co_ci_u32_e64 v5, null, s9, v32, vcc_lo
	v_add_co_u32 v2, vcc_lo, v2, v61
	v_add_co_ci_u32_e64 v3, null, 0, v3, vcc_lo
	v_add_co_u32 v6, vcc_lo, v4, v61
	v_add_co_ci_u32_e64 v7, null, 0, v5, vcc_lo
	v_add_co_u32 v4, vcc_lo, s8, v33
	v_add_co_ci_u32_e64 v5, null, s9, v34, vcc_lo
	v_add_co_u32 v8, vcc_lo, s8, v35
	v_add_co_ci_u32_e64 v9, null, s9, v36, vcc_lo
	v_add_co_u32 v10, vcc_lo, v4, v61
	v_add_co_ci_u32_e64 v11, null, 0, v5, vcc_lo
	v_add_co_u32 v14, vcc_lo, v8, v61
	v_add_co_ci_u32_e64 v15, null, 0, v9, vcc_lo
	buffer_gl0_inv
	s_clause 0x3
	global_load_dwordx4 v[2:5], v[2:3], off
	global_load_dwordx4 v[6:9], v[6:7], off
	;; [unrolled: 1-line block ×4, first 2 shown]
	v_add_f32_e32 v48, v19, v48
	v_xor_b32_e32 v19, 16, v62
	v_max_f32_e32 v66, v65, v65
	s_or_b32 s8, s15, 16
	v_lshl_add_u32 v70, v0, 1, v51
	v_add_f32_e32 v67, 0x40051340, v48
	v_cmp_gt_i32_e32 vcc_lo, 32, v19
	s_mul_hi_i32 s9, s8, s12
	s_mul_i32 s8, s8, s12
	v_max_f32_e32 v66, v66, v67
	v_cndmask_b32_e32 v19, v62, v19, vcc_lo
	v_xor_b32_e32 v67, 8, v62
	s_lshl_b64 s[8:9], s[8:9], 2
	s_add_u32 s8, s13, s8
	v_lshlrev_b32_e32 v19, 2, v19
	v_cmp_gt_i32_e32 vcc_lo, 32, v67
	s_addc_u32 s9, s14, s9
	ds_bpermute_b32 v19, v19, v66
	v_cndmask_b32_e32 v67, v62, v67, vcc_lo
	v_lshlrev_b32_e32 v67, 2, v67
	s_waitcnt lgkmcnt(0)
	v_max_f32_e32 v19, v19, v19
	v_max_f32_e32 v19, v66, v19
	ds_bpermute_b32 v66, v67, v19
	v_xor_b32_e32 v67, 4, v62
	v_cmp_gt_i32_e32 vcc_lo, 32, v67
	v_cndmask_b32_e32 v67, v62, v67, vcc_lo
	v_lshlrev_b32_e32 v67, 2, v67
	s_waitcnt lgkmcnt(0)
	v_max_f32_e32 v66, v66, v66
	v_max_f32_e32 v19, v19, v66
	ds_bpermute_b32 v66, v67, v19
	v_xor_b32_e32 v67, 2, v62
	v_cmp_gt_i32_e32 vcc_lo, 32, v67
	;; [unrolled: 8-line block ×3, first 2 shown]
	v_cndmask_b32_e32 v67, v62, v67, vcc_lo
	v_add_co_u32 v71, vcc_lo, s8, v29
	v_add_co_ci_u32_e64 v72, null, s9, v30, vcc_lo
	v_lshlrev_b32_e32 v67, 2, v67
	s_waitcnt lgkmcnt(0)
	v_max_f32_e32 v66, v66, v66
	v_max_f32_e32 v19, v19, v66
	ds_bpermute_b32 v66, v67, v19
	s_waitcnt lgkmcnt(0)
	v_max_f32_e32 v66, v66, v66
	v_max_f32_e32 v19, v19, v66
	v_add_nc_u32_e32 v66, 0x800, v39
	v_sub_f32_e32 v48, v48, v19
	v_sub_f32_e32 v65, v65, v19
	v_mul_f32_e32 v67, 0x3fb8aa3b, v48
	v_mul_f32_e32 v107, 0x3fb8aa3b, v65
	v_fma_f32 v68, 0x3fb8aa3b, v48, -v67
	v_rndne_f32_e32 v69, v67
	v_fma_f32 v108, 0x3fb8aa3b, v65, -v107
	v_rndne_f32_e32 v109, v107
	v_fmac_f32_e32 v68, 0x32a5705f, v48
	v_sub_f32_e32 v67, v67, v69
	v_cvt_i32_f32_e32 v69, v69
	v_fmac_f32_e32 v108, 0x32a5705f, v65
	v_sub_f32_e32 v107, v107, v109
	v_add_f32_e32 v67, v67, v68
	v_add_co_u32 v68, vcc_lo, s8, v31
	v_add_co_ci_u32_e64 v73, null, s9, v32, vcc_lo
	v_exp_f32_e32 v67, v67
	v_add_co_u32 v74, vcc_lo, s8, v33
	v_add_co_ci_u32_e64 v75, null, s9, v34, vcc_lo
	v_add_co_u32 v76, vcc_lo, s8, v35
	v_add_co_ci_u32_e64 v77, null, s9, v36, vcc_lo
	v_add_co_u32 v91, vcc_lo, v71, v61
	v_ldexp_f32 v67, v67, v69
	v_add_co_ci_u32_e64 v92, null, 0, v72, vcc_lo
	v_cmp_ngt_f32_e32 vcc_lo, 0xc2ce8ed0, v48
	v_add_f32_e32 v107, v107, v108
	v_cvt_i32_f32_e32 v108, v109
	v_cndmask_b32_e32 v67, 0, v67, vcc_lo
	v_add_co_u32 v95, vcc_lo, v68, v61
	v_add_co_ci_u32_e64 v96, null, 0, v73, vcc_lo
	v_cmp_nlt_f32_e32 vcc_lo, 0x42b17218, v48
	v_exp_f32_e32 v107, v107
	v_cndmask_b32_e32 v48, 0x7f800000, v67, vcc_lo
	v_add_co_u32 v99, vcc_lo, v74, v61
	v_add_co_ci_u32_e64 v100, null, 0, v75, vcc_lo
	v_cvt_f16_f32_e32 v67, v48
	v_add_co_u32 v103, vcc_lo, v76, v61
	v_add_co_ci_u32_e64 v104, null, 0, v77, vcc_lo
	v_ldexp_f32 v107, v107, v108
	v_cmp_ngt_f32_e32 vcc_lo, 0xc2ce8ed0, v65
	ds_write_b16 v70, v67
	s_waitcnt vmcnt(3)
	ds_write_b128 v53, v[2:5]
	s_waitcnt vmcnt(2)
	ds_write_b128 v57, v[6:9]
	s_waitcnt vmcnt(1)
	ds_write_b128 v58, v[10:13]
	s_waitcnt vmcnt(0)
	ds_write_b128 v59, v[14:17]
	s_waitcnt lgkmcnt(0)
	s_barrier
	buffer_gl0_inv
	ds_read2_b64 v[2:5], v39 offset1:32
	ds_read_b128 v[6:9], v51
	ds_read_b128 v[10:13], v51 offset:16
	ds_read2_b64 v[14:17], v39 offset0:64 offset1:96
	ds_read2_b64 v[67:70], v39 offset0:128 offset1:160
	;; [unrolled: 1-line block ×3, first 2 shown]
	ds_read2_b64 v[75:78], v66 offset1:32
	ds_read2_b64 v[79:82], v66 offset0:64 offset1:96
	ds_read2_b64 v[83:86], v66 offset0:128 offset1:160
	;; [unrolled: 1-line block ×3, first 2 shown]
	s_waitcnt lgkmcnt(0)
	s_barrier
	buffer_gl0_inv
	s_clause 0x3
	global_load_dwordx4 v[91:94], v[91:92], off
	global_load_dwordx4 v[95:98], v[95:96], off
	;; [unrolled: 1-line block ×4, first 2 shown]
	v_cndmask_b32_e32 v107, 0, v107, vcc_lo
	v_cmp_nlt_f32_e32 vcc_lo, 0x42b17218, v65
	s_waitcnt vmcnt(3)
	ds_write_b128 v53, v[91:94]
	s_waitcnt vmcnt(2)
	ds_write_b128 v57, v[95:98]
	;; [unrolled: 2-line block ×4, first 2 shown]
	v_cndmask_b32_e32 v65, 0x7f800000, v107, vcc_lo
	v_mul_u32_u24_sdwa v108, v6, v63 dst_sel:DWORD dst_unused:UNUSED_PAD src0_sel:WORD_0 src1_sel:DWORD
	v_mul_u32_u24_sdwa v6, v6, v63 dst_sel:DWORD dst_unused:UNUSED_PAD src0_sel:WORD_1 src1_sel:DWORD
	s_waitcnt lgkmcnt(0)
	s_barrier
	v_cvt_f16_f32_e32 v107, v65
	v_pk_mul_f16 v2, v2, v108
	v_pk_mul_f16 v3, v3, v108
	buffer_gl0_inv
	v_fmac_f32_e32 v48, v64, v65
	v_mul_u32_u24_sdwa v107, v107, v63 dst_sel:DWORD dst_unused:UNUSED_PAD src0_sel:WORD_0 src1_sel:DWORD
	v_pk_fma_f16 v2, v40, v107, v2
	v_pk_fma_f16 v3, v41, v107, v3
	v_mul_u32_u24_sdwa v40, v7, v63 dst_sel:DWORD dst_unused:UNUSED_PAD src0_sel:WORD_0 src1_sel:DWORD
	v_pk_fma_f16 v2, v4, v6, v2
	v_pk_fma_f16 v3, v5, v6, v3
	v_mul_u32_u24_sdwa v4, v7, v63 dst_sel:DWORD dst_unused:UNUSED_PAD src0_sel:WORD_1 src1_sel:DWORD
	v_mul_u32_u24_sdwa v5, v8, v63 dst_sel:DWORD dst_unused:UNUSED_PAD src0_sel:WORD_0 src1_sel:DWORD
	v_mul_u32_u24_sdwa v6, v8, v63 dst_sel:DWORD dst_unused:UNUSED_PAD src0_sel:WORD_1 src1_sel:DWORD
	v_pk_fma_f16 v2, v14, v40, v2
	v_pk_fma_f16 v3, v15, v40, v3
	v_mul_u32_u24_sdwa v15, v13, v63 dst_sel:DWORD dst_unused:UNUSED_PAD src0_sel:WORD_0 src1_sel:DWORD
	v_mul_u32_u24_sdwa v40, v13, v63 dst_sel:DWORD dst_unused:UNUSED_PAD src0_sel:WORD_1 src1_sel:DWORD
	v_pk_fma_f16 v2, v16, v4, v2
	v_pk_fma_f16 v3, v17, v4, v3
	v_mul_u32_u24_sdwa v4, v9, v63 dst_sel:DWORD dst_unused:UNUSED_PAD src0_sel:WORD_0 src1_sel:DWORD
	v_pk_fma_f16 v2, v67, v5, v2
	v_pk_fma_f16 v3, v68, v5, v3
	v_mul_u32_u24_sdwa v5, v9, v63 dst_sel:DWORD dst_unused:UNUSED_PAD src0_sel:WORD_1 src1_sel:DWORD
	v_pk_fma_f16 v2, v69, v6, v2
	v_pk_fma_f16 v3, v70, v6, v3
	v_mul_u32_u24_sdwa v6, v10, v63 dst_sel:DWORD dst_unused:UNUSED_PAD src0_sel:WORD_0 src1_sel:DWORD
	ds_read2_b64 v[67:70], v39 offset0:128 offset1:160
	v_pk_fma_f16 v2, v71, v4, v2
	v_pk_fma_f16 v3, v72, v4, v3
	v_mul_u32_u24_sdwa v4, v10, v63 dst_sel:DWORD dst_unused:UNUSED_PAD src0_sel:WORD_1 src1_sel:DWORD
	v_mul_u32_u24_sdwa v10, v12, v63 dst_sel:DWORD dst_unused:UNUSED_PAD src0_sel:WORD_0 src1_sel:DWORD
	v_mul_u32_u24_sdwa v12, v12, v63 dst_sel:DWORD dst_unused:UNUSED_PAD src0_sel:WORD_1 src1_sel:DWORD
	v_pk_fma_f16 v2, v73, v5, v2
	v_pk_fma_f16 v3, v74, v5, v3
	v_mul_u32_u24_sdwa v5, v11, v63 dst_sel:DWORD dst_unused:UNUSED_PAD src0_sel:WORD_0 src1_sel:DWORD
	v_pk_fma_f16 v2, v75, v6, v2
	v_pk_fma_f16 v3, v76, v6, v3
	v_mul_u32_u24_sdwa v6, v11, v63 dst_sel:DWORD dst_unused:UNUSED_PAD src0_sel:WORD_1 src1_sel:DWORD
	v_pk_fma_f16 v2, v77, v4, v2
	v_pk_fma_f16 v3, v78, v4, v3
	;; [unrolled: 1-line block ×5, first 2 shown]
	ds_read_b128 v[2:5], v51 offset:32
	v_pk_fma_f16 v11, v82, v6, v7
	v_pk_fma_f16 v14, v83, v10, v8
	ds_read2_b64 v[6:9], v39 offset1:32
	v_pk_fma_f16 v10, v84, v10, v11
	v_pk_fma_f16 v11, v85, v12, v14
	;; [unrolled: 1-line block ×4, first 2 shown]
	ds_read2_b64 v[10:13], v39 offset0:64 offset1:96
	v_pk_fma_f16 v41, v88, v15, v14
	v_pk_fma_f16 v71, v89, v40, v16
	ds_read_b128 v[14:17], v51 offset:48
	s_waitcnt lgkmcnt(3)
	v_mul_u32_u24_sdwa v72, v2, v63 dst_sel:DWORD dst_unused:UNUSED_PAD src0_sel:WORD_0 src1_sel:DWORD
	v_pk_fma_f16 v40, v90, v40, v41
	v_mul_u32_u24_sdwa v2, v2, v63 dst_sel:DWORD dst_unused:UNUSED_PAD src0_sel:WORD_1 src1_sel:DWORD
	s_waitcnt lgkmcnt(2)
	v_pk_fma_f16 v6, v6, v72, v71
	v_pk_fma_f16 v7, v7, v72, v40
	v_mul_u32_u24_sdwa v40, v3, v63 dst_sel:DWORD dst_unused:UNUSED_PAD src0_sel:WORD_0 src1_sel:DWORD
	v_mul_u32_u24_sdwa v3, v3, v63 dst_sel:DWORD dst_unused:UNUSED_PAD src0_sel:WORD_1 src1_sel:DWORD
	v_pk_fma_f16 v41, v8, v2, v6
	v_pk_fma_f16 v2, v9, v2, v7
	ds_read2_b64 v[6:9], v39 offset0:192 offset1:224
	s_waitcnt lgkmcnt(2)
	v_pk_fma_f16 v10, v10, v40, v41
	v_pk_fma_f16 v2, v11, v40, v2
	v_mul_u32_u24_sdwa v40, v4, v63 dst_sel:DWORD dst_unused:UNUSED_PAD src0_sel:WORD_0 src1_sel:DWORD
	v_pk_fma_f16 v41, v12, v3, v10
	v_pk_fma_f16 v2, v13, v3, v2
	ds_read2_b64 v[10:13], v66 offset1:32
	v_mul_u32_u24_sdwa v3, v4, v63 dst_sel:DWORD dst_unused:UNUSED_PAD src0_sel:WORD_1 src1_sel:DWORD
	v_pk_fma_f16 v4, v67, v40, v41
	v_pk_fma_f16 v2, v68, v40, v2
	v_mul_u32_u24_sdwa v40, v5, v63 dst_sel:DWORD dst_unused:UNUSED_PAD src0_sel:WORD_0 src1_sel:DWORD
	v_pk_fma_f16 v4, v69, v3, v4
	v_pk_fma_f16 v2, v70, v3, v2
	ds_read2_b64 v[67:70], v66 offset0:64 offset1:96
	v_mul_u32_u24_sdwa v3, v5, v63 dst_sel:DWORD dst_unused:UNUSED_PAD src0_sel:WORD_1 src1_sel:DWORD
	s_waitcnt lgkmcnt(2)
	v_pk_fma_f16 v4, v6, v40, v4
	v_pk_fma_f16 v2, v7, v40, v2
	v_mul_u32_u24_sdwa v6, v14, v63 dst_sel:DWORD dst_unused:UNUSED_PAD src0_sel:WORD_0 src1_sel:DWORD
	v_mul_u32_u24_sdwa v14, v14, v63 dst_sel:DWORD dst_unused:UNUSED_PAD src0_sel:WORD_1 src1_sel:DWORD
	v_mul_u32_u24_sdwa v40, v15, v63 dst_sel:DWORD dst_unused:UNUSED_PAD src0_sel:WORD_0 src1_sel:DWORD
	v_pk_fma_f16 v7, v8, v3, v4
	v_pk_fma_f16 v8, v9, v3, v2
	ds_read2_b64 v[2:5], v66 offset0:128 offset1:160
	s_waitcnt lgkmcnt(2)
	v_pk_fma_f16 v10, v10, v6, v7
	v_pk_fma_f16 v11, v11, v6, v8
	ds_read2_b64 v[6:9], v66 offset0:192 offset1:224
	s_waitcnt lgkmcnt(0)
	s_barrier
	v_pk_fma_f16 v10, v12, v14, v10
	v_pk_fma_f16 v11, v13, v14, v11
	v_mul_u32_u24_sdwa v12, v15, v63 dst_sel:DWORD dst_unused:UNUSED_PAD src0_sel:WORD_1 src1_sel:DWORD
	buffer_gl0_inv
	s_load_dword s8, s[6:7], 0x4
	v_pk_fma_f16 v10, v67, v40, v10
	v_pk_fma_f16 v11, v68, v40, v11
	v_mul_u32_u24_sdwa v13, v16, v63 dst_sel:DWORD dst_unused:UNUSED_PAD src0_sel:WORD_0 src1_sel:DWORD
	v_pk_fma_f16 v10, v69, v12, v10
	v_pk_fma_f16 v11, v70, v12, v11
	v_mul_u32_u24_sdwa v12, v16, v63 dst_sel:DWORD dst_unused:UNUSED_PAD src0_sel:WORD_1 src1_sel:DWORD
	v_pk_fma_f16 v2, v2, v13, v10
	v_pk_fma_f16 v3, v3, v13, v11
	v_mul_u32_u24_sdwa v10, v17, v63 dst_sel:DWORD dst_unused:UNUSED_PAD src0_sel:WORD_0 src1_sel:DWORD
	v_pk_fma_f16 v2, v4, v12, v2
	v_pk_fma_f16 v3, v5, v12, v3
	v_mul_u32_u24_sdwa v4, v17, v63 dst_sel:DWORD dst_unused:UNUSED_PAD src0_sel:WORD_1 src1_sel:DWORD
	s_waitcnt lgkmcnt(0)
	s_lshl_b32 s8, s8, 5
	v_pk_fma_f16 v2, v6, v10, v2
	v_pk_fma_f16 v3, v7, v10, v3
	s_add_i32 s15, s8, s15
	s_cmp_lt_i32 s15, s10
	v_pk_fma_f16 v40, v8, v4, v2
	v_pk_fma_f16 v41, v9, v4, v3
	s_cbranch_scc0 .LBB68_13
; %bb.11:                               ;   in Loop: Header=BB68_8 Depth=1
	v_mov_b32_e32 v65, v19
	v_mov_b32_e32 v64, v48
	s_branch .LBB68_8
.LBB68_12:
	v_mov_b32_e32 v41, 0
	v_mov_b32_e32 v19, 0xfeffffff
	;; [unrolled: 1-line block ×3, first 2 shown]
.LBB68_13:
	s_cmp_gt_i32 s44, s15
	s_cbranch_scc1 .LBB68_16
; %bb.14:
	v_mbcnt_lo_u32_b32 v7, -1, 0
	v_mov_b32_e32 v8, 32
	v_xor_b32_e32 v4, 16, v7
	v_xor_b32_e32 v2, 8, v7
	;; [unrolled: 1-line block ×5, first 2 shown]
	s_cbranch_execz .LBB68_17
; %bb.15:
	v_mov_b32_e32 v38, v7
	s_branch .LBB68_22
.LBB68_16:
                                        ; implicit-def: $vgpr7
                                        ; implicit-def: $vgpr8
                                        ; implicit-def: $vgpr4
                                        ; implicit-def: $vgpr2
                                        ; implicit-def: $vgpr3
                                        ; implicit-def: $vgpr5
                                        ; implicit-def: $vgpr6
.LBB68_17:
	v_lshl_add_u32 v11, v1, 2, v50
	s_mul_hi_i32 s7, s15, s19
	s_mul_i32 s6, s15, s19
	s_mov_b64 s[10:11], src_private_base
	s_lshl_b64 s[6:7], s[6:7], 2
	v_mul_lo_u32 v3, s19, v11
	s_sub_i32 s10, s44, s15
	s_add_u32 s8, s22, s6
	v_lshlrev_b32_e32 v12, 2, v49
	s_addc_u32 s9, s23, s7
	s_lshl_b32 s16, s19, 3
	v_add_nc_u32_e32 v17, 16, v11
	v_ashrrev_i32_e32 v4, 31, v3
	v_add_nc_u32_e32 v8, s16, v3
	v_lshlrev_b64 v[4:5], 2, v[3:4]
	v_ashrrev_i32_e32 v9, 31, v8
	v_lshlrev_b64 v[9:10], 2, v[8:9]
	v_add_co_u32 v2, vcc_lo, s8, v4
	v_add_co_ci_u32_e64 v4, null, s9, v5, vcc_lo
	v_add_nc_u32_e32 v8, s16, v8
	v_add_co_u32 v13, vcc_lo, v2, v12
	v_add_co_ci_u32_e64 v14, null, 0, v4, vcc_lo
	v_cmp_gt_i32_e32 vcc_lo, s10, v11
	v_mov_b32_e32 v2, 0
	buffer_store_dword v2, off, s[0:3], 0
	buffer_store_dword v2, off, s[0:3], 0 offset:4
	buffer_store_dword v2, off, s[0:3], 0 offset:8
	buffer_store_dword v2, off, s[0:3], 0 offset:12
	v_cndmask_b32_e32 v5, s11, v14, vcc_lo
	v_cndmask_b32_e32 v4, 0, v13, vcc_lo
	v_add_co_u32 v3, s6, s8, v9
	v_add_co_ci_u32_e64 v9, null, s9, v10, s6
	flat_load_dwordx4 v[4:7], v[4:5]
	v_add_nc_u32_e32 v10, 8, v11
	v_add_co_u32 v15, s6, v3, v12
	v_add_co_ci_u32_e64 v16, null, 0, v9, s6
	v_cmp_gt_i32_e64 s6, s10, v10
	v_mad_u32_u24 v3, 0x90, v11, v12
	buffer_store_dword v2, off, s[0:3], 0
	buffer_store_dword v2, off, s[0:3], 0 offset:4
	buffer_store_dword v2, off, s[0:3], 0 offset:8
	;; [unrolled: 1-line block ×3, first 2 shown]
	v_cndmask_b32_e64 v10, s11, v16, s6
	v_cndmask_b32_e64 v9, 0, v15, s6
	s_waitcnt vmcnt(0) lgkmcnt(0)
	ds_write_b128 v3, v[4:7]
	flat_load_dwordx4 v[4:7], v[9:10]
	v_ashrrev_i32_e32 v9, 31, v8
	buffer_store_dword v2, off, s[0:3], 0
	buffer_store_dword v2, off, s[0:3], 0 offset:4
	buffer_store_dword v2, off, s[0:3], 0 offset:8
	;; [unrolled: 1-line block ×3, first 2 shown]
	v_lshlrev_b64 v[9:10], 2, v[8:9]
	v_add_nc_u32_e32 v8, s16, v8
	v_add_co_u32 v9, s7, s8, v9
	v_add_co_ci_u32_e64 v10, null, s9, v10, s7
	v_add_co_u32 v20, s7, v9, v12
	v_add_co_ci_u32_e64 v21, null, 0, v10, s7
	v_cmp_gt_i32_e64 s7, s10, v17
	v_cndmask_b32_e64 v10, s11, v21, s7
	v_cndmask_b32_e64 v9, 0, v20, s7
	s_waitcnt vmcnt(0) lgkmcnt(0)
	ds_write_b128 v3, v[4:7] offset:1152
	flat_load_dwordx4 v[4:7], v[9:10]
	v_ashrrev_i32_e32 v9, 31, v8
	v_add_nc_u32_e32 v10, 24, v11
	buffer_store_dword v2, off, s[0:3], 0
	buffer_store_dword v2, off, s[0:3], 0 offset:4
	buffer_store_dword v2, off, s[0:3], 0 offset:8
	;; [unrolled: 1-line block ×3, first 2 shown]
	v_lshlrev_b64 v[8:9], 2, v[8:9]
	v_add_co_u32 v8, s8, s8, v8
	v_add_co_ci_u32_e64 v9, null, s9, v9, s8
	v_add_co_u32 v13, s9, 0x80, v13
	v_add_co_u32 v17, s8, v8, v12
	v_add_co_ci_u32_e64 v22, null, 0, v9, s8
	v_cmp_gt_i32_e64 s8, s10, v10
	v_add_co_ci_u32_e64 v14, null, 0, v14, s9
	v_cndmask_b32_e32 v13, 0, v13, vcc_lo
	v_cndmask_b32_e64 v9, s11, v22, s8
	v_cndmask_b32_e64 v8, 0, v17, s8
	v_cndmask_b32_e32 v14, s11, v14, vcc_lo
	s_waitcnt vmcnt(0) lgkmcnt(0)
	ds_write_b128 v3, v[4:7] offset:2304
	flat_load_dwordx4 v[4:7], v[8:9]
	v_mov_b32_e32 v8, 0
	s_waitcnt vmcnt(0) lgkmcnt(0)
	ds_write_b128 v3, v[4:7] offset:3456
	s_waitcnt lgkmcnt(0)
	s_waitcnt_vscnt null, 0x0
	s_barrier
	buffer_gl0_inv
	ds_read_b128 v[4:7], v47
	ds_read_b128 v[9:12], v46
	s_waitcnt lgkmcnt(0)
	;;#ASMSTART
	v_dot2_f32_f16 v8, v4, v9, v8
	;;#ASMEND
	;;#ASMSTART
	v_dot2_f32_f16 v8, v5, v10, v8
	;;#ASMEND
	;;#ASMSTART
	v_dot2_f32_f16 v8, v6, v11, v8
	;;#ASMEND
	;;#ASMSTART
	v_dot2_f32_f16 v8, v7, v12, v8
	;;#ASMEND
	ds_read_b128 v[4:7], v47 offset:16
	ds_read_b128 v[9:12], v46 offset:16
	s_waitcnt lgkmcnt(0)
	;;#ASMSTART
	v_dot2_f32_f16 v8, v4, v9, v8
	;;#ASMEND
	;;#ASMSTART
	v_dot2_f32_f16 v8, v5, v10, v8
	;;#ASMEND
	;;#ASMSTART
	v_dot2_f32_f16 v8, v6, v11, v8
	;;#ASMEND
	;;#ASMSTART
	v_dot2_f32_f16 v8, v7, v12, v8
	;;#ASMEND
	ds_read_b128 v[4:7], v47 offset:32
	ds_read_b128 v[9:12], v46 offset:32
	;; [unrolled: 15-line block ×7, first 2 shown]
	s_waitcnt lgkmcnt(0)
	;;#ASMSTART
	v_dot2_f32_f16 v8, v4, v9, v8
	;;#ASMEND
	;;#ASMSTART
	v_dot2_f32_f16 v8, v5, v10, v8
	;;#ASMEND
	;;#ASMSTART
	v_dot2_f32_f16 v8, v6, v11, v8
	;;#ASMEND
	;;#ASMSTART
	v_dot2_f32_f16 v8, v7, v12, v8
	;;#ASMEND
	s_barrier
	buffer_gl0_inv
	buffer_store_dword v2, off, s[0:3], 0
	buffer_store_dword v2, off, s[0:3], 0 offset:4
	buffer_store_dword v2, off, s[0:3], 0 offset:8
	buffer_store_dword v2, off, s[0:3], 0 offset:12
	flat_load_dwordx4 v[4:7], v[13:14]
	v_add_co_u32 v9, vcc_lo, 0x80, v15
	v_add_co_ci_u32_e64 v10, null, 0, v16, vcc_lo
	buffer_store_dword v2, off, s[0:3], 0
	buffer_store_dword v2, off, s[0:3], 0 offset:4
	buffer_store_dword v2, off, s[0:3], 0 offset:8
	;; [unrolled: 1-line block ×3, first 2 shown]
	v_cndmask_b32_e64 v9, 0, v9, s6
	v_cndmask_b32_e64 v10, s11, v10, s6
	s_mov_b32 s6, exec_lo
	s_waitcnt vmcnt(0) lgkmcnt(0)
	ds_write_b128 v3, v[4:7]
	flat_load_dwordx4 v[4:7], v[9:10]
	v_add_co_u32 v9, vcc_lo, 0x80, v20
	v_add_co_ci_u32_e64 v10, null, 0, v21, vcc_lo
	buffer_store_dword v2, off, s[0:3], 0
	buffer_store_dword v2, off, s[0:3], 0 offset:4
	buffer_store_dword v2, off, s[0:3], 0 offset:8
	;; [unrolled: 1-line block ×3, first 2 shown]
	v_cndmask_b32_e64 v9, 0, v9, s7
	v_cndmask_b32_e64 v10, s11, v10, s7
	s_waitcnt vmcnt(0) lgkmcnt(0)
	ds_write_b128 v3, v[4:7] offset:1152
	flat_load_dwordx4 v[4:7], v[9:10]
	v_add_co_u32 v9, vcc_lo, 0x80, v17
	v_add_co_ci_u32_e64 v10, null, 0, v22, vcc_lo
	buffer_store_dword v2, off, s[0:3], 0
	buffer_store_dword v2, off, s[0:3], 0 offset:4
	buffer_store_dword v2, off, s[0:3], 0 offset:8
	;; [unrolled: 1-line block ×3, first 2 shown]
	v_cndmask_b32_e64 v9, 0, v9, s8
	v_cndmask_b32_e64 v10, s11, v10, s8
	s_waitcnt vmcnt(0) lgkmcnt(0)
	ds_write_b128 v3, v[4:7] offset:2304
	flat_load_dwordx4 v[4:7], v[9:10]
	s_waitcnt vmcnt(0) lgkmcnt(0)
	ds_write_b128 v3, v[4:7] offset:3456
	s_waitcnt lgkmcnt(0)
	s_waitcnt_vscnt null, 0x0
	s_barrier
	buffer_gl0_inv
	ds_read_b128 v[3:6], v47
	ds_read_b128 v[9:12], v46 offset:128
	s_waitcnt lgkmcnt(0)
	;;#ASMSTART
	v_dot2_f32_f16 v8, v3, v9, v8
	;;#ASMEND
	;;#ASMSTART
	v_dot2_f32_f16 v8, v4, v10, v8
	;;#ASMEND
	;;#ASMSTART
	v_dot2_f32_f16 v8, v5, v11, v8
	;;#ASMEND
	;;#ASMSTART
	v_dot2_f32_f16 v8, v6, v12, v8
	;;#ASMEND
	ds_read_b128 v[3:6], v47 offset:16
	ds_read_b128 v[9:12], v46 offset:144
	s_waitcnt lgkmcnt(0)
	;;#ASMSTART
	v_dot2_f32_f16 v8, v3, v9, v8
	;;#ASMEND
	;;#ASMSTART
	v_dot2_f32_f16 v8, v4, v10, v8
	;;#ASMEND
	;;#ASMSTART
	v_dot2_f32_f16 v8, v5, v11, v8
	;;#ASMEND
	;;#ASMSTART
	v_dot2_f32_f16 v8, v6, v12, v8
	;;#ASMEND
	ds_read_b128 v[3:6], v47 offset:32
	;; [unrolled: 15-line block ×7, first 2 shown]
	ds_read_b128 v[9:12], v46 offset:240
	v_mov_b32_e32 v3, v19
	s_waitcnt lgkmcnt(0)
	;;#ASMSTART
	v_dot2_f32_f16 v8, v4, v9, v8
	;;#ASMEND
	;;#ASMSTART
	v_dot2_f32_f16 v8, v5, v10, v8
	;;#ASMEND
	;; [unrolled: 3-line block ×4, first 2 shown]
	v_cmpx_gt_i32_e64 s10, v0
	s_cbranch_execz .LBB68_21
; %bb.18:
	s_cmp_eq_u64 s[42:43], 0
	s_cbranch_scc1 .LBB68_20
; %bb.19:
	v_mul_lo_u32 v2, v43, s18
	v_add3_u32 v2, v2, v0, s15
	v_ashrrev_i32_e32 v3, 31, v2
	v_lshlrev_b64 v[2:3], 1, v[2:3]
	v_add_co_u32 v2, vcc_lo, s42, v2
	v_add_co_ci_u32_e64 v3, null, s43, v3, vcc_lo
	global_load_ushort v2, v[2:3], off
	s_waitcnt vmcnt(0)
	v_cvt_f32_f16_e32 v2, v2
	v_mul_f32_e32 v2, v42, v2
.LBB68_20:
	v_add_f32_e32 v8, v8, v2
	v_max_f32_e32 v3, v19, v19
	v_add_f32_e32 v2, 0x40051340, v8
	v_max_f32_e32 v3, v3, v2
.LBB68_21:
	s_or_b32 exec_lo, exec_lo, s6
	v_xor_b32_e32 v4, 16, v38
	v_lshl_add_u32 v11, v1, 1, v44
	s_mul_hi_i32 s9, s15, s12
	s_mul_i32 s8, s15, s12
	s_mov_b64 s[6:7], src_private_base
	v_cmp_gt_i32_e32 vcc_lo, 32, v4
	v_mul_lo_u32 v16, s12, v11
	s_lshl_b64 s[8:9], s[8:9], 2
	s_lshl_b32 s6, s12, 2
	s_add_u32 s8, s13, s8
	v_cndmask_b32_e32 v2, v38, v4, vcc_lo
	s_addc_u32 s9, s14, s9
	v_lshlrev_b32_e32 v15, 1, v0
	v_ashrrev_i32_e32 v17, 31, v16
	v_lshlrev_b32_e32 v2, 2, v2
	s_barrier
	buffer_gl0_inv
	v_add_nc_u32_e32 v36, 4, v11
	v_lshlrev_b64 v[20:21], 2, v[16:17]
	ds_bpermute_b32 v5, v2, v3
	v_xor_b32_e32 v2, 8, v38
	v_max_f32_e32 v3, v3, v3
	v_add_nc_u32_e32 v16, s6, v16
	v_add_nc_u32_e32 v72, 8, v11
	;; [unrolled: 1-line block ×3, first 2 shown]
	v_cmp_gt_i32_e32 vcc_lo, 32, v2
	v_ashrrev_i32_e32 v17, 31, v16
	v_cndmask_b32_e32 v6, v38, v2, vcc_lo
	v_lshlrev_b64 v[46:47], 2, v[16:17]
	v_add_nc_u32_e32 v16, s6, v16
	v_lshlrev_b32_e32 v6, 2, v6
	s_waitcnt lgkmcnt(0)
	v_max_f32_e32 v5, v5, v5
	v_max_f32_e32 v5, v3, v5
	v_xor_b32_e32 v3, 4, v38
	ds_bpermute_b32 v6, v6, v5
	v_cmp_gt_i32_e32 vcc_lo, 32, v3
	v_cndmask_b32_e32 v7, v38, v3, vcc_lo
	v_lshlrev_b32_e32 v7, 2, v7
	s_waitcnt lgkmcnt(0)
	v_max_f32_e32 v6, v6, v6
	v_max_f32_e32 v6, v5, v6
	v_xor_b32_e32 v5, 2, v38
	ds_bpermute_b32 v7, v7, v6
	v_cmp_gt_i32_e32 vcc_lo, 32, v5
	v_cndmask_b32_e32 v9, v38, v5, vcc_lo
	;; [unrolled: 8-line block ×3, first 2 shown]
	v_lshlrev_b32_e32 v10, 2, v10
	s_waitcnt lgkmcnt(0)
	v_max_f32_e32 v9, v9, v9
	v_max_f32_e32 v7, v7, v9
	ds_bpermute_b32 v9, v10, v7
	s_waitcnt lgkmcnt(0)
	v_max_f32_e32 v9, v9, v9
	v_max_f32_e32 v7, v7, v9
	v_mov_b32_e32 v9, 0
	v_sub_f32_e32 v12, v8, v7
	buffer_store_dword v9, off, s[0:3], 0
	buffer_store_dword v9, off, s[0:3], 0 offset:4
	buffer_store_dword v9, off, s[0:3], 0 offset:8
	;; [unrolled: 1-line block ×3, first 2 shown]
	v_mul_f32_e32 v8, 0x3fb8aa3b, v12
	v_cmp_ngt_f32_e32 vcc_lo, 0xc2ce8ed0, v12
	v_fma_f32 v10, 0x3fb8aa3b, v12, -v8
	v_rndne_f32_e32 v13, v8
	v_fmac_f32_e32 v10, 0x32a5705f, v12
	v_sub_f32_e32 v8, v8, v13
	v_add_f32_e32 v8, v8, v10
	v_lshlrev_b32_e32 v10, 2, v45
	v_exp_f32_e32 v14, v8
	v_lshlrev_b32_e32 v8, 6, v1
	v_cvt_i32_f32_e32 v1, v13
	v_lshl_or_b32 v71, v11, 8, v10
	v_lshl_or_b32 v73, v36, 8, v10
	;; [unrolled: 1-line block ×4, first 2 shown]
	v_ldexp_f32 v1, v14, v1
	v_cndmask_b32_e32 v1, 0, v1, vcc_lo
	v_add_co_u32 v13, vcc_lo, s8, v20
	v_add_co_ci_u32_e64 v14, null, s9, v21, vcc_lo
	v_cmp_nlt_f32_e32 vcc_lo, 0x42b17218, v12
	v_cndmask_b32_e32 v1, 0x7f800000, v1, vcc_lo
	v_add_co_u32 v12, vcc_lo, v13, v10
	v_add_co_ci_u32_e64 v13, null, 0, v14, vcc_lo
	v_cmp_gt_u32_e32 vcc_lo, s10, v0
	v_add3_u32 v14, 0x1400, v8, v15
	v_cndmask_b32_e32 v1, 0, v1, vcc_lo
	v_cmp_gt_i32_e32 vcc_lo, s10, v11
	v_cvt_f16_f32_e32 v15, v1
	v_cndmask_b32_e32 v13, s7, v13, vcc_lo
	v_cndmask_b32_e32 v12, 0, v12, vcc_lo
	v_add_co_u32 v17, vcc_lo, s8, v46
	ds_write_b16 v14, v15
	v_add_co_ci_u32_e64 v22, null, s9, v47, vcc_lo
	flat_load_dwordx4 v[12:15], v[12:13]
	v_add_co_u32 v17, vcc_lo, v17, v10
	v_add_co_ci_u32_e64 v22, null, 0, v22, vcc_lo
	v_cmp_gt_i32_e32 vcc_lo, s10, v36
	buffer_store_dword v9, off, s[0:3], 0
	buffer_store_dword v9, off, s[0:3], 0 offset:4
	buffer_store_dword v9, off, s[0:3], 0 offset:8
	;; [unrolled: 1-line block ×3, first 2 shown]
	v_cndmask_b32_e32 v23, s7, v22, vcc_lo
	v_cndmask_b32_e32 v22, 0, v17, vcc_lo
	v_ashrrev_i32_e32 v17, 31, v16
	v_lshlrev_b64 v[69:70], 2, v[16:17]
	v_add_nc_u32_e32 v16, s6, v16
	s_or_b32 s6, s15, 16
	v_add_co_u32 v17, vcc_lo, s8, v69
	s_waitcnt vmcnt(0) lgkmcnt(0)
	ds_write_b128 v71, v[12:15]
	flat_load_dwordx4 v[12:15], v[22:23]
	v_add_co_ci_u32_e64 v22, null, s9, v70, vcc_lo
	v_add_co_u32 v17, vcc_lo, v17, v10
	buffer_store_dword v9, off, s[0:3], 0
	buffer_store_dword v9, off, s[0:3], 0 offset:4
	buffer_store_dword v9, off, s[0:3], 0 offset:8
	;; [unrolled: 1-line block ×3, first 2 shown]
	v_add_co_ci_u32_e64 v22, null, 0, v22, vcc_lo
	v_cmp_gt_i32_e32 vcc_lo, s10, v72
	v_cndmask_b32_e32 v23, s7, v22, vcc_lo
	v_cndmask_b32_e32 v22, 0, v17, vcc_lo
	v_ashrrev_i32_e32 v17, 31, v16
	v_lshlrev_b64 v[16:17], 2, v[16:17]
	s_waitcnt vmcnt(0) lgkmcnt(0)
	ds_write_b128 v73, v[12:15]
	flat_load_dwordx4 v[12:15], v[22:23]
	v_add_co_u32 v22, vcc_lo, s8, v16
	v_add_co_ci_u32_e64 v23, null, s9, v17, vcc_lo
	buffer_store_dword v9, off, s[0:3], 0
	buffer_store_dword v9, off, s[0:3], 0 offset:4
	buffer_store_dword v9, off, s[0:3], 0 offset:8
	;; [unrolled: 1-line block ×3, first 2 shown]
	v_add_co_u32 v22, vcc_lo, v22, v10
	v_add_co_ci_u32_e64 v23, null, 0, v23, vcc_lo
	v_cmp_gt_i32_e32 vcc_lo, s10, v74
	s_mul_hi_i32 s9, s6, s12
	s_mul_i32 s8, s6, s12
	s_lshl_b64 s[8:9], s[8:9], 2
	v_cndmask_b32_e32 v23, s7, v23, vcc_lo
	v_cndmask_b32_e32 v22, 0, v22, vcc_lo
	s_add_u32 s6, s13, s8
	s_addc_u32 s8, s14, s9
	v_add_co_u32 v20, vcc_lo, s6, v20
	v_add_co_ci_u32_e64 v21, null, s8, v21, vcc_lo
	s_add_i32 s10, s10, -16
	v_add_co_u32 v20, vcc_lo, v20, v10
	v_add_co_ci_u32_e64 v21, null, 0, v21, vcc_lo
	v_cmp_gt_i32_e32 vcc_lo, s10, v11
	v_add_nc_u32_e32 v11, 0x800, v39
	v_cndmask_b32_e32 v66, s7, v21, vcc_lo
	v_cndmask_b32_e32 v65, 0, v20, vcc_lo
	v_add_co_u32 v46, vcc_lo, s6, v46
	v_add_co_ci_u32_e64 v47, null, s8, v47, vcc_lo
	v_add_co_u32 v46, vcc_lo, v46, v10
	v_add_co_ci_u32_e64 v47, null, 0, v47, vcc_lo
	v_cmp_gt_i32_e32 vcc_lo, s10, v36
	v_cndmask_b32_e32 v47, s7, v47, vcc_lo
	v_cndmask_b32_e32 v46, 0, v46, vcc_lo
	v_add_co_u32 v36, vcc_lo, s6, v69
	s_waitcnt vmcnt(0) lgkmcnt(0)
	ds_write_b128 v75, v[12:15]
	flat_load_dwordx4 v[12:15], v[22:23]
	s_waitcnt vmcnt(0) lgkmcnt(0)
	ds_write_b128 v76, v[12:15]
	s_waitcnt lgkmcnt(0)
	s_waitcnt_vscnt null, 0x0
	s_barrier
	buffer_gl0_inv
	ds_read2_b64 v[12:15], v39 offset1:32
	ds_read_b128 v[20:23], v8 offset:5120
	ds_read_b128 v[24:27], v8 offset:5136
	ds_read2_b64 v[28:31], v39 offset0:64 offset1:96
	ds_read2_b64 v[32:35], v39 offset0:128 offset1:160
	;; [unrolled: 1-line block ×3, first 2 shown]
	ds_read2_b64 v[49:52], v11 offset1:32
	ds_read2_b64 v[53:56], v11 offset0:64 offset1:96
	ds_read2_b64 v[57:60], v11 offset0:128 offset1:160
	;; [unrolled: 1-line block ×3, first 2 shown]
	s_waitcnt lgkmcnt(0)
	s_barrier
	buffer_gl0_inv
	buffer_store_dword v9, off, s[0:3], 0
	buffer_store_dword v9, off, s[0:3], 0 offset:4
	buffer_store_dword v9, off, s[0:3], 0 offset:8
	;; [unrolled: 1-line block ×3, first 2 shown]
	flat_load_dwordx4 v[65:68], v[65:66]
	buffer_store_dword v9, off, s[0:3], 0
	buffer_store_dword v9, off, s[0:3], 0 offset:4
	buffer_store_dword v9, off, s[0:3], 0 offset:8
	;; [unrolled: 1-line block ×3, first 2 shown]
	s_waitcnt vmcnt(0) lgkmcnt(0)
	ds_write_b128 v71, v[65:68]
	flat_load_dwordx4 v[65:68], v[46:47]
	v_add_co_ci_u32_e64 v46, null, s8, v70, vcc_lo
	v_add_co_u32 v36, vcc_lo, v36, v10
	buffer_store_dword v9, off, s[0:3], 0
	buffer_store_dword v9, off, s[0:3], 0 offset:4
	buffer_store_dword v9, off, s[0:3], 0 offset:8
	;; [unrolled: 1-line block ×3, first 2 shown]
	v_add_co_ci_u32_e64 v46, null, 0, v46, vcc_lo
	v_cmp_gt_i32_e32 vcc_lo, s10, v72
	v_cndmask_b32_e32 v47, s7, v46, vcc_lo
	v_cndmask_b32_e32 v46, 0, v36, vcc_lo
	v_add_co_u32 v16, vcc_lo, s6, v16
	v_add_co_ci_u32_e64 v17, null, s8, v17, vcc_lo
	v_add_co_u32 v10, vcc_lo, v16, v10
	v_add_co_ci_u32_e64 v16, null, 0, v17, vcc_lo
	v_cmp_gt_i32_e32 vcc_lo, s10, v74
	v_cndmask_b32_e32 v17, s7, v16, vcc_lo
	v_cndmask_b32_e32 v16, 0, v10, vcc_lo
	s_waitcnt vmcnt(0) lgkmcnt(0)
	ds_write_b128 v73, v[65:68]
	flat_load_dwordx4 v[65:68], v[46:47]
	buffer_store_dword v9, off, s[0:3], 0
	buffer_store_dword v9, off, s[0:3], 0 offset:4
	buffer_store_dword v9, off, s[0:3], 0 offset:8
	;; [unrolled: 1-line block ×3, first 2 shown]
	v_sub_f32_e32 v9, v19, v7
	v_mul_f32_e32 v10, 0x3fb8aa3b, v9
	v_cmp_ngt_f32_e32 vcc_lo, 0xc2ce8ed0, v9
	s_waitcnt vmcnt(0) lgkmcnt(0)
	ds_write_b128 v75, v[65:68]
	flat_load_dwordx4 v[65:68], v[16:17]
	v_fma_f32 v16, 0x3fb8aa3b, v9, -v10
	v_rndne_f32_e32 v17, v10
	v_fmac_f32_e32 v16, 0x32a5705f, v9
	v_sub_f32_e32 v10, v10, v17
	v_add_f32_e32 v10, v10, v16
	v_cvt_i32_f32_e32 v16, v17
	v_mov_b32_e32 v17, 0x10001
	v_exp_f32_e32 v10, v10
	v_mul_u32_u24_sdwa v19, v20, v17 dst_sel:DWORD dst_unused:UNUSED_PAD src0_sel:WORD_1 src1_sel:DWORD
	v_ldexp_f32 v10, v10, v16
	v_cndmask_b32_e32 v10, 0, v10, vcc_lo
	v_cmp_nlt_f32_e32 vcc_lo, 0x42b17218, v9
	v_cndmask_b32_e32 v16, 0x7f800000, v10, vcc_lo
	v_mul_u32_u24_sdwa v10, v20, v17 dst_sel:DWORD dst_unused:UNUSED_PAD src0_sel:WORD_0 src1_sel:DWORD
	v_cvt_f16_f32_e32 v9, v16
	v_pk_mul_f16 v12, v12, v10
	v_pk_mul_f16 v10, v13, v10
	v_mul_u32_u24_sdwa v13, v21, v17 dst_sel:DWORD dst_unused:UNUSED_PAD src0_sel:WORD_0 src1_sel:DWORD
	v_fmac_f32_e32 v1, v48, v16
	v_mul_u32_u24_sdwa v9, v9, v17 dst_sel:DWORD dst_unused:UNUSED_PAD src0_sel:WORD_0 src1_sel:DWORD
	v_mov_b32_e32 v48, v1
	v_pk_fma_f16 v12, v40, v9, v12
	v_pk_fma_f16 v9, v41, v9, v10
	;; [unrolled: 1-line block ×4, first 2 shown]
	v_mul_u32_u24_sdwa v12, v21, v17 dst_sel:DWORD dst_unused:UNUSED_PAD src0_sel:WORD_1 src1_sel:DWORD
	v_mul_u32_u24_sdwa v14, v22, v17 dst_sel:DWORD dst_unused:UNUSED_PAD src0_sel:WORD_0 src1_sel:DWORD
	v_mul_u32_u24_sdwa v19, v25, v17 dst_sel:DWORD dst_unused:UNUSED_PAD src0_sel:WORD_1 src1_sel:DWORD
	v_pk_fma_f16 v10, v28, v13, v10
	v_pk_fma_f16 v9, v29, v13, v9
	v_mul_u32_u24_sdwa v13, v22, v17 dst_sel:DWORD dst_unused:UNUSED_PAD src0_sel:WORD_1 src1_sel:DWORD
	v_mul_u32_u24_sdwa v28, v27, v17 dst_sel:DWORD dst_unused:UNUSED_PAD src0_sel:WORD_0 src1_sel:DWORD
	v_pk_fma_f16 v10, v30, v12, v10
	v_pk_fma_f16 v9, v31, v12, v9
	v_mul_u32_u24_sdwa v12, v23, v17 dst_sel:DWORD dst_unused:UNUSED_PAD src0_sel:WORD_0 src1_sel:DWORD
	v_mul_u32_u24_sdwa v31, v27, v17 dst_sel:DWORD dst_unused:UNUSED_PAD src0_sel:WORD_1 src1_sel:DWORD
	v_pk_fma_f16 v10, v32, v14, v10
	v_pk_fma_f16 v9, v33, v14, v9
	v_mul_u32_u24_sdwa v14, v23, v17 dst_sel:DWORD dst_unused:UNUSED_PAD src0_sel:WORD_1 src1_sel:DWORD
	v_mul_u32_u24_sdwa v23, v26, v17 dst_sel:DWORD dst_unused:UNUSED_PAD src0_sel:WORD_0 src1_sel:DWORD
	v_pk_fma_f16 v10, v34, v13, v10
	v_pk_fma_f16 v9, v35, v13, v9
	v_mul_u32_u24_sdwa v13, v24, v17 dst_sel:DWORD dst_unused:UNUSED_PAD src0_sel:WORD_0 src1_sel:DWORD
	v_pk_fma_f16 v10, v42, v12, v10
	v_pk_fma_f16 v9, v43, v12, v9
	v_mul_u32_u24_sdwa v12, v24, v17 dst_sel:DWORD dst_unused:UNUSED_PAD src0_sel:WORD_1 src1_sel:DWORD
	v_mul_u32_u24_sdwa v24, v26, v17 dst_sel:DWORD dst_unused:UNUSED_PAD src0_sel:WORD_1 src1_sel:DWORD
	v_pk_fma_f16 v10, v44, v14, v10
	v_pk_fma_f16 v9, v45, v14, v9
	v_mul_u32_u24_sdwa v14, v25, v17 dst_sel:DWORD dst_unused:UNUSED_PAD src0_sel:WORD_0 src1_sel:DWORD
	v_pk_fma_f16 v10, v49, v13, v10
	v_pk_fma_f16 v9, v50, v13, v9
	;; [unrolled: 1-line block ×16, first 2 shown]
	s_waitcnt vmcnt(0) lgkmcnt(0)
	ds_write_b128 v76, v[65:68]
	s_waitcnt lgkmcnt(0)
	s_waitcnt_vscnt null, 0x0
	s_barrier
	buffer_gl0_inv
	ds_read_b128 v[12:15], v8 offset:5152
	ds_read_b128 v[27:30], v8 offset:5168
	ds_read2_b64 v[19:22], v39 offset1:32
	ds_read2_b64 v[23:26], v39 offset0:64 offset1:96
	ds_read2_b64 v[31:34], v39 offset0:128 offset1:160
	s_waitcnt lgkmcnt(4)
	v_mul_u32_u24_sdwa v8, v12, v17 dst_sel:DWORD dst_unused:UNUSED_PAD src0_sel:WORD_0 src1_sel:DWORD
	v_mul_u32_u24_sdwa v12, v12, v17 dst_sel:DWORD dst_unused:UNUSED_PAD src0_sel:WORD_1 src1_sel:DWORD
	s_waitcnt lgkmcnt(2)
	v_pk_fma_f16 v10, v19, v8, v10
	v_pk_fma_f16 v8, v20, v8, v9
	v_mul_u32_u24_sdwa v9, v13, v17 dst_sel:DWORD dst_unused:UNUSED_PAD src0_sel:WORD_0 src1_sel:DWORD
	v_pk_fma_f16 v10, v21, v12, v10
	v_pk_fma_f16 v8, v22, v12, v8
	ds_read2_b64 v[19:22], v39 offset0:192 offset1:224
	v_mul_u32_u24_sdwa v12, v13, v17 dst_sel:DWORD dst_unused:UNUSED_PAD src0_sel:WORD_1 src1_sel:DWORD
	s_waitcnt lgkmcnt(2)
	v_pk_fma_f16 v10, v23, v9, v10
	v_pk_fma_f16 v8, v24, v9, v8
	v_mul_u32_u24_sdwa v9, v14, v17 dst_sel:DWORD dst_unused:UNUSED_PAD src0_sel:WORD_0 src1_sel:DWORD
	v_pk_fma_f16 v10, v25, v12, v10
	v_pk_fma_f16 v8, v26, v12, v8
	ds_read2_b64 v[23:26], v11 offset1:32
	v_mul_u32_u24_sdwa v12, v14, v17 dst_sel:DWORD dst_unused:UNUSED_PAD src0_sel:WORD_1 src1_sel:DWORD
	s_waitcnt lgkmcnt(2)
	v_pk_fma_f16 v10, v31, v9, v10
	v_pk_fma_f16 v8, v32, v9, v8
	v_mul_u32_u24_sdwa v9, v15, v17 dst_sel:DWORD dst_unused:UNUSED_PAD src0_sel:WORD_0 src1_sel:DWORD
	v_pk_fma_f16 v10, v33, v12, v10
	v_pk_fma_f16 v8, v34, v12, v8
	ds_read2_b64 v[31:34], v11 offset0:64 offset1:96
	v_mul_u32_u24_sdwa v12, v15, v17 dst_sel:DWORD dst_unused:UNUSED_PAD src0_sel:WORD_1 src1_sel:DWORD
	s_waitcnt lgkmcnt(2)
	v_pk_fma_f16 v10, v19, v9, v10
	v_pk_fma_f16 v8, v20, v9, v8
	v_mul_u32_u24_sdwa v9, v27, v17 dst_sel:DWORD dst_unused:UNUSED_PAD src0_sel:WORD_0 src1_sel:DWORD
	v_mul_u32_u24_sdwa v19, v27, v17 dst_sel:DWORD dst_unused:UNUSED_PAD src0_sel:WORD_1 src1_sel:DWORD
	v_mul_u32_u24_sdwa v20, v28, v17 dst_sel:DWORD dst_unused:UNUSED_PAD src0_sel:WORD_0 src1_sel:DWORD
	v_pk_fma_f16 v10, v21, v12, v10
	v_pk_fma_f16 v8, v22, v12, v8
	ds_read2_b64 v[12:15], v11 offset0:128 offset1:160
	v_mul_u32_u24_sdwa v22, v28, v17 dst_sel:DWORD dst_unused:UNUSED_PAD src0_sel:WORD_1 src1_sel:DWORD
	s_waitcnt lgkmcnt(2)
	v_pk_fma_f16 v10, v23, v9, v10
	v_pk_fma_f16 v8, v24, v9, v8
	;; [unrolled: 1-line block ×4, first 2 shown]
	ds_read2_b64 v[8:11], v11 offset0:192 offset1:224
	s_waitcnt lgkmcnt(0)
	s_barrier
	v_pk_fma_f16 v21, v31, v20, v21
	v_pk_fma_f16 v19, v32, v20, v19
	v_mul_u32_u24_sdwa v20, v29, v17 dst_sel:DWORD dst_unused:UNUSED_PAD src0_sel:WORD_0 src1_sel:DWORD
	buffer_gl0_inv
	v_pk_fma_f16 v21, v33, v22, v21
	v_pk_fma_f16 v19, v34, v22, v19
	v_mul_u32_u24_sdwa v22, v29, v17 dst_sel:DWORD dst_unused:UNUSED_PAD src0_sel:WORD_1 src1_sel:DWORD
	v_pk_fma_f16 v12, v12, v20, v21
	v_pk_fma_f16 v13, v13, v20, v19
	v_mul_u32_u24_sdwa v19, v30, v17 dst_sel:DWORD dst_unused:UNUSED_PAD src0_sel:WORD_0 src1_sel:DWORD
	v_pk_fma_f16 v12, v14, v22, v12
	v_pk_fma_f16 v13, v15, v22, v13
	v_mul_u32_u24_sdwa v14, v30, v17 dst_sel:DWORD dst_unused:UNUSED_PAD src0_sel:WORD_1 src1_sel:DWORD
	v_pk_fma_f16 v12, v8, v19, v12
	v_pk_fma_f16 v9, v9, v19, v13
	v_mov_b32_e32 v8, 32
	v_mov_b32_e32 v19, v7
	v_pk_fma_f16 v40, v10, v14, v12
	v_pk_fma_f16 v41, v11, v14, v9
.LBB68_22:
	v_cmp_lt_i32_e32 vcc_lo, v4, v8
	s_cmp_eq_u64 s[20:21], 0
	s_cselect_b32 s6, -1, 0
	s_cmp_lg_u32 s34, 0
	v_cndmask_b32_e32 v1, v38, v4, vcc_lo
	v_cmp_lt_i32_e32 vcc_lo, v2, v8
	s_cselect_b32 s7, -1, 0
	s_or_b32 s6, s7, s6
	v_lshlrev_b32_e32 v1, 2, v1
	v_cndmask_b32_e32 v2, v38, v2, vcc_lo
	v_cmp_lt_i32_e32 vcc_lo, v3, v8
	ds_bpermute_b32 v1, v1, v48
	v_lshlrev_b32_e32 v2, 2, v2
	v_cndmask_b32_e32 v3, v38, v3, vcc_lo
	v_cmp_lt_i32_e32 vcc_lo, v5, v8
	v_lshlrev_b32_e32 v3, 2, v3
	s_waitcnt lgkmcnt(0)
	v_add_f32_e32 v1, v48, v1
	ds_bpermute_b32 v2, v2, v1
	s_waitcnt lgkmcnt(0)
	v_add_f32_e32 v1, v1, v2
	ds_bpermute_b32 v2, v3, v1
	v_cndmask_b32_e32 v3, v38, v5, vcc_lo
	v_cmp_lt_i32_e32 vcc_lo, v6, v8
	v_lshlrev_b32_e32 v3, 2, v3
	s_waitcnt lgkmcnt(0)
	v_add_f32_e32 v1, v1, v2
	ds_bpermute_b32 v2, v3, v1
	v_cndmask_b32_e32 v3, v38, v6, vcc_lo
	s_and_b32 vcc_lo, exec_lo, s6
	v_lshlrev_b32_e32 v3, 2, v3
	s_waitcnt lgkmcnt(0)
	v_add_f32_e32 v1, v1, v2
	ds_bpermute_b32 v2, v3, v1
	s_waitcnt lgkmcnt(0)
	v_add_f32_e32 v20, v1, v2
	s_cbranch_vccnz .LBB68_24
; %bb.23:
	s_lshl_b64 s[6:7], s[40:41], 2
	v_mov_b32_e32 v1, 0
	s_add_u32 s6, s20, s6
	s_addc_u32 s7, s21, s7
	v_max_f32_e32 v2, v19, v19
	global_load_dword v1, v1, s[6:7]
	s_waitcnt vmcnt(0)
	v_max_f32_e32 v3, v1, v1
	v_max_f32_e32 v2, v2, v3
	v_sub_f32_e32 v3, v19, v2
	v_sub_f32_e32 v1, v1, v2
	v_mov_b32_e32 v19, v2
	v_mul_f32_e32 v4, 0x3fb8aa3b, v3
	v_mul_f32_e32 v5, 0x3fb8aa3b, v1
	v_cmp_ngt_f32_e32 vcc_lo, 0xc2ce8ed0, v3
	v_fma_f32 v6, 0x3fb8aa3b, v3, -v4
	v_rndne_f32_e32 v7, v4
	v_fma_f32 v8, 0x3fb8aa3b, v1, -v5
	v_rndne_f32_e32 v9, v5
	v_fmac_f32_e32 v6, 0x32a5705f, v3
	v_sub_f32_e32 v4, v4, v7
	v_fmac_f32_e32 v8, 0x32a5705f, v1
	v_sub_f32_e32 v5, v5, v9
	v_add_f32_e32 v4, v4, v6
	v_cvt_i32_f32_e32 v6, v7
	v_add_f32_e32 v5, v5, v8
	v_cvt_i32_f32_e32 v7, v9
	v_exp_f32_e32 v4, v4
	v_exp_f32_e32 v5, v5
	v_ldexp_f32 v4, v4, v6
	v_ldexp_f32 v5, v5, v7
	v_cndmask_b32_e32 v4, 0, v4, vcc_lo
	v_cmp_ngt_f32_e32 vcc_lo, 0xc2ce8ed0, v1
	v_cndmask_b32_e32 v5, 0, v5, vcc_lo
	v_cmp_nlt_f32_e32 vcc_lo, 0x42b17218, v3
	v_cndmask_b32_e32 v3, 0x7f800000, v4, vcc_lo
	v_cmp_nlt_f32_e32 vcc_lo, 0x42b17218, v1
	v_mov_b32_e32 v4, 0x10001
	v_cndmask_b32_e32 v1, 0x7f800000, v5, vcc_lo
	v_cvt_f16_f32_e32 v5, v3
	v_fmac_f32_e32 v1, v20, v3
	v_mul_u32_u24_sdwa v3, v5, v4 dst_sel:DWORD dst_unused:UNUSED_PAD src0_sel:WORD_0 src1_sel:DWORD
	v_mov_b32_e32 v20, v1
	v_pk_mul_f16 v40, v40, v3
	v_pk_mul_f16 v41, v41, v3
.LBB68_24:
	s_mov_b32 s6, exec_lo
	v_cmpx_gt_i32_e64 s30, v18
	s_cbranch_execz .LBB68_27
; %bb.25:
	v_div_scale_f32 v3, null, v20, v20, 1.0
	s_load_dword s5, s[4:5], 0xd4
	v_div_scale_f32 v5, vcc_lo, 1.0, v20, 1.0
	v_rcp_f32_e32 v4, v3
	v_cmp_eq_u32_e64 s4, 0, v0
	v_cvt_f32_f16_e32 v8, v41
	v_cvt_f32_f16_sdwa v9, v41 dst_sel:DWORD dst_unused:UNUSED_PAD src0_sel:WORD_1
	v_fma_f32 v1, -v3, v4, 1.0
	v_fmac_f32_e32 v4, v1, v4
	v_mad_u64_u32 v[1:2], null, s33, s30, v[18:19]
	s_waitcnt lgkmcnt(0)
	s_cmp_lg_u32 s5, 1
	v_mul_f32_e32 v6, v5, v4
	v_mad_u64_u32 v[1:2], null, v1, s31, s[40:41]
	v_fma_f32 v7, -v3, v6, v5
	v_fmac_f32_e32 v6, v7, v4
	v_mad_u64_u32 v[1:2], null, s5, v1, s[34:35]
	s_cselect_b32 s5, -1, 0
	v_fma_f32 v2, -v3, v6, v5
	v_mov_b32_e32 v3, 0
	v_cvt_f32_f16_sdwa v5, v40 dst_sel:DWORD dst_unused:UNUSED_PAD src0_sel:WORD_1
	s_and_b32 s4, s4, s5
	v_div_fmas_f32 v0, v2, v4, v6
	v_lshl_add_u32 v2, v1, 7, v37
	v_cvt_f32_f16_e32 v4, v40
	v_div_fixup_f32 v0, v0, v20, 1.0
	v_lshlrev_b64 v[2:3], 2, v[2:3]
	v_cndmask_b32_e64 v0, v0, 1.0, s5
	v_add_co_u32 v6, vcc_lo, s24, v2
	v_add_co_ci_u32_e64 v7, null, s25, v3, vcc_lo
	v_mul_f32_e32 v2, v0, v4
	v_mul_f32_e32 v3, v0, v5
	;; [unrolled: 1-line block ×4, first 2 shown]
	global_store_dwordx4 v[6:7], v[2:5], off
	s_and_b32 exec_lo, exec_lo, s4
	s_cbranch_execz .LBB68_27
; %bb.26:
	v_ashrrev_i32_e32 v2, 31, v1
	v_lshlrev_b64 v[0:1], 3, v[1:2]
	v_add_co_u32 v0, vcc_lo, s26, v0
	v_add_co_ci_u32_e64 v1, null, s27, v1, vcc_lo
	global_store_dwordx2 v[0:1], v[19:20], off
.LBB68_27:
	s_endpgm
	.section	.rodata,"a",@progbits
	.p2align	6, 0x0
	.amdhsa_kernel _ZL15flash_attn_tileILi128ELi128ELi2ELi1ELb0EEvPKcS1_S1_S1_S1_PKiPfP15HIP_vector_typeIfLj2EEffffjfiS5_IjLj3EEiiiiiiiiiiiliiliiiiil
		.amdhsa_group_segment_fixed_size 5248
		.amdhsa_private_segment_fixed_size 32
		.amdhsa_kernarg_size 464
		.amdhsa_user_sgpr_count 8
		.amdhsa_user_sgpr_private_segment_buffer 1
		.amdhsa_user_sgpr_dispatch_ptr 0
		.amdhsa_user_sgpr_queue_ptr 0
		.amdhsa_user_sgpr_kernarg_segment_ptr 1
		.amdhsa_user_sgpr_dispatch_id 0
		.amdhsa_user_sgpr_flat_scratch_init 1
		.amdhsa_user_sgpr_private_segment_size 0
		.amdhsa_wavefront_size32 1
		.amdhsa_uses_dynamic_stack 0
		.amdhsa_system_sgpr_private_segment_wavefront_offset 1
		.amdhsa_system_sgpr_workgroup_id_x 1
		.amdhsa_system_sgpr_workgroup_id_y 1
		.amdhsa_system_sgpr_workgroup_id_z 1
		.amdhsa_system_sgpr_workgroup_info 0
		.amdhsa_system_vgpr_workitem_id 1
		.amdhsa_next_free_vgpr 110
		.amdhsa_next_free_sgpr 52
		.amdhsa_reserve_vcc 1
		.amdhsa_reserve_flat_scratch 1
		.amdhsa_float_round_mode_32 0
		.amdhsa_float_round_mode_16_64 0
		.amdhsa_float_denorm_mode_32 3
		.amdhsa_float_denorm_mode_16_64 3
		.amdhsa_dx10_clamp 1
		.amdhsa_ieee_mode 1
		.amdhsa_fp16_overflow 0
		.amdhsa_workgroup_processor_mode 1
		.amdhsa_memory_ordered 1
		.amdhsa_forward_progress 1
		.amdhsa_shared_vgpr_count 0
		.amdhsa_exception_fp_ieee_invalid_op 0
		.amdhsa_exception_fp_denorm_src 0
		.amdhsa_exception_fp_ieee_div_zero 0
		.amdhsa_exception_fp_ieee_overflow 0
		.amdhsa_exception_fp_ieee_underflow 0
		.amdhsa_exception_fp_ieee_inexact 0
		.amdhsa_exception_int_div_zero 0
	.end_amdhsa_kernel
	.section	.text._ZL15flash_attn_tileILi128ELi128ELi2ELi1ELb0EEvPKcS1_S1_S1_S1_PKiPfP15HIP_vector_typeIfLj2EEffffjfiS5_IjLj3EEiiiiiiiiiiiliiliiiiil,"axG",@progbits,_ZL15flash_attn_tileILi128ELi128ELi2ELi1ELb0EEvPKcS1_S1_S1_S1_PKiPfP15HIP_vector_typeIfLj2EEffffjfiS5_IjLj3EEiiiiiiiiiiiliiliiiiil,comdat
.Lfunc_end68:
	.size	_ZL15flash_attn_tileILi128ELi128ELi2ELi1ELb0EEvPKcS1_S1_S1_S1_PKiPfP15HIP_vector_typeIfLj2EEffffjfiS5_IjLj3EEiiiiiiiiiiiliiliiiiil, .Lfunc_end68-_ZL15flash_attn_tileILi128ELi128ELi2ELi1ELb0EEvPKcS1_S1_S1_S1_PKiPfP15HIP_vector_typeIfLj2EEffffjfiS5_IjLj3EEiiiiiiiiiiiliiliiiiil
                                        ; -- End function
	.set _ZL15flash_attn_tileILi128ELi128ELi2ELi1ELb0EEvPKcS1_S1_S1_S1_PKiPfP15HIP_vector_typeIfLj2EEffffjfiS5_IjLj3EEiiiiiiiiiiiliiliiiiil.num_vgpr, 110
	.set _ZL15flash_attn_tileILi128ELi128ELi2ELi1ELb0EEvPKcS1_S1_S1_S1_PKiPfP15HIP_vector_typeIfLj2EEffffjfiS5_IjLj3EEiiiiiiiiiiiliiliiiiil.num_agpr, 0
	.set _ZL15flash_attn_tileILi128ELi128ELi2ELi1ELb0EEvPKcS1_S1_S1_S1_PKiPfP15HIP_vector_typeIfLj2EEffffjfiS5_IjLj3EEiiiiiiiiiiiliiliiiiil.numbered_sgpr, 52
	.set _ZL15flash_attn_tileILi128ELi128ELi2ELi1ELb0EEvPKcS1_S1_S1_S1_PKiPfP15HIP_vector_typeIfLj2EEffffjfiS5_IjLj3EEiiiiiiiiiiiliiliiiiil.num_named_barrier, 0
	.set _ZL15flash_attn_tileILi128ELi128ELi2ELi1ELb0EEvPKcS1_S1_S1_S1_PKiPfP15HIP_vector_typeIfLj2EEffffjfiS5_IjLj3EEiiiiiiiiiiiliiliiiiil.private_seg_size, 32
	.set _ZL15flash_attn_tileILi128ELi128ELi2ELi1ELb0EEvPKcS1_S1_S1_S1_PKiPfP15HIP_vector_typeIfLj2EEffffjfiS5_IjLj3EEiiiiiiiiiiiliiliiiiil.uses_vcc, 1
	.set _ZL15flash_attn_tileILi128ELi128ELi2ELi1ELb0EEvPKcS1_S1_S1_S1_PKiPfP15HIP_vector_typeIfLj2EEffffjfiS5_IjLj3EEiiiiiiiiiiiliiliiiiil.uses_flat_scratch, 1
	.set _ZL15flash_attn_tileILi128ELi128ELi2ELi1ELb0EEvPKcS1_S1_S1_S1_PKiPfP15HIP_vector_typeIfLj2EEffffjfiS5_IjLj3EEiiiiiiiiiiiliiliiiiil.has_dyn_sized_stack, 0
	.set _ZL15flash_attn_tileILi128ELi128ELi2ELi1ELb0EEvPKcS1_S1_S1_S1_PKiPfP15HIP_vector_typeIfLj2EEffffjfiS5_IjLj3EEiiiiiiiiiiiliiliiiiil.has_recursion, 0
	.set _ZL15flash_attn_tileILi128ELi128ELi2ELi1ELb0EEvPKcS1_S1_S1_S1_PKiPfP15HIP_vector_typeIfLj2EEffffjfiS5_IjLj3EEiiiiiiiiiiiliiliiiiil.has_indirect_call, 0
	.section	.AMDGPU.csdata,"",@progbits
; Kernel info:
; codeLenInByte = 12248
; TotalNumSgprs: 54
; NumVgprs: 110
; ScratchSize: 32
; MemoryBound: 0
; FloatMode: 240
; IeeeMode: 1
; LDSByteSize: 5248 bytes/workgroup (compile time only)
; SGPRBlocks: 0
; VGPRBlocks: 13
; NumSGPRsForWavesPerEU: 54
; NumVGPRsForWavesPerEU: 110
; Occupancy: 9
; WaveLimiterHint : 1
; COMPUTE_PGM_RSRC2:SCRATCH_EN: 1
; COMPUTE_PGM_RSRC2:USER_SGPR: 8
; COMPUTE_PGM_RSRC2:TRAP_HANDLER: 0
; COMPUTE_PGM_RSRC2:TGID_X_EN: 1
; COMPUTE_PGM_RSRC2:TGID_Y_EN: 1
; COMPUTE_PGM_RSRC2:TGID_Z_EN: 1
; COMPUTE_PGM_RSRC2:TIDIG_COMP_CNT: 1
	.section	.text._ZL33flash_attn_stream_k_fixup_uniformILi128ELi2ELi1EEvPfPK15HIP_vector_typeIfLj2EEiiiiiiS1_IjLj3EES5_S5_,"axG",@progbits,_ZL33flash_attn_stream_k_fixup_uniformILi128ELi2ELi1EEvPfPK15HIP_vector_typeIfLj2EEiiiiiiS1_IjLj3EES5_S5_,comdat
	.globl	_ZL33flash_attn_stream_k_fixup_uniformILi128ELi2ELi1EEvPfPK15HIP_vector_typeIfLj2EEiiiiiiS1_IjLj3EES5_S5_ ; -- Begin function _ZL33flash_attn_stream_k_fixup_uniformILi128ELi2ELi1EEvPfPK15HIP_vector_typeIfLj2EEiiiiiiS1_IjLj3EES5_S5_
	.p2align	8
	.type	_ZL33flash_attn_stream_k_fixup_uniformILi128ELi2ELi1EEvPfPK15HIP_vector_typeIfLj2EEiiiiiiS1_IjLj3EES5_S5_,@function
_ZL33flash_attn_stream_k_fixup_uniformILi128ELi2ELi1EEvPfPK15HIP_vector_typeIfLj2EEiiiiiiS1_IjLj3EES5_S5_: ; @_ZL33flash_attn_stream_k_fixup_uniformILi128ELi2ELi1EEvPfPK15HIP_vector_typeIfLj2EEiiiiiiS1_IjLj3EES5_S5_
; %bb.0:
	s_clause 0x2
	s_load_dwordx8 s[12:19], s[4:5], 0x1c
	s_load_dwordx4 s[20:23], s[4:5], 0x3c
	s_load_dwordx2 s[10:11], s[4:5], 0x10
	s_waitcnt lgkmcnt(0)
	s_mul_hi_u32 s0, s15, s6
	s_add_i32 s0, s6, s0
	s_lshr_b32 s0, s0, s16
	s_mul_i32 s1, s0, s17
	s_sub_i32 s2, s6, s1
	s_mul_hi_u32 s1, s2, s18
	s_add_i32 s1, s2, s1
	s_lshr_b32 s1, s1, s19
	s_mul_i32 s3, s1, s20
	s_sub_i32 s2, s2, s3
	;; [unrolled: 5-line block ×3, first 2 shown]
	s_lshl_b32 s2, s15, 1
	s_add_i32 s2, s2, s7
	s_cmp_lt_i32 s2, s10
	s_cselect_b32 s2, -1, 0
	s_add_i32 s3, s9, s8
	s_cmp_lt_i32 s3, s13
	s_cselect_b32 s3, -1, 0
	s_and_b32 s2, s2, s3
	s_andn2_b32 vcc_lo, exec_lo, s2
	s_cbranch_vccnz .LBB69_6
; %bb.1:
	s_mul_i32 s0, s0, s10
	s_mul_i32 s10, s1, s13
	s_add_i32 s0, s0, s7
	s_mul_i32 s0, s0, s11
	s_add_i32 s13, s0, s8
	s_load_dwordx4 s[0:3], s[4:5], 0x0
	s_add_i32 s4, s13, s10
	s_mul_i32 s5, s11, s15
	s_add_i32 s4, s4, s9
	s_lshl_b32 s5, s5, 8
	s_lshl_b32 s4, s4, 7
	s_add_i32 s8, s7, s8
	s_add_i32 s5, s5, s4
	s_mul_i32 s4, s14, s6
	v_or_b32_e32 v1, s5, v0
	s_add_i32 s9, s4, s14
	v_ashrrev_i32_e32 v2, 31, v1
	v_lshlrev_b64 v[1:2], 2, v[1:2]
	s_waitcnt lgkmcnt(0)
	v_add_co_u32 v1, vcc_lo, s0, v1
	v_add_co_ci_u32_e64 v2, null, s1, v2, vcc_lo
	s_lshl_b32 s0, s9, 1
	s_add_i32 s0, s8, s0
	global_load_dword v5, v[1:2], off
	s_add_i32 s0, s0, -2
	s_ashr_i32 s1, s0, 31
	s_lshl_b64 s[0:1], s[0:1], 3
	s_add_u32 s0, s2, s0
	s_addc_u32 s1, s3, s1
	s_add_i32 s5, s9, -2
	s_load_dword s10, s[0:1], 0x4
	s_cmp_lt_i32 s5, s4
	s_cbranch_scc1 .LBB69_4
; %bb.2:
	s_lshl_b32 s16, s12, 3
	s_load_dword s11, s[0:1], 0x0
	s_ashr_i32 s17, s16, 31
	s_waitcnt lgkmcnt(0)
	v_mov_b32_e32 v6, s10
	s_lshl_b64 s[0:1], s[16:17], 2
	s_add_u32 s5, s2, s0
	s_addc_u32 s7, s3, s1
	s_add_i32 s6, s6, 1
	s_lshl_b32 s1, s8, 7
	s_mul_i32 s0, s14, s6
	s_lshl_b32 s6, s0, 8
	s_lshl_b32 s0, s0, 1
	s_add_i32 s1, s1, s6
	s_add_i32 s0, s8, s0
	v_or_b32_e32 v0, s1, v0
	s_lshl_b32 s1, s12, 1
	s_add_i32 s6, s9, -1
	s_add_i32 s0, s0, s1
	v_add_nc_u32_e32 v3, 0xfffffe00, v0
	v_mov_b32_e32 v0, s11
	s_add_i32 s0, s0, -4
.LBB69_3:                               ; =>This Inner Loop Header: Depth=1
	v_ashrrev_i32_e32 v4, 31, v3
	s_ashr_i32 s1, s0, 31
	s_lshl_b64 s[8:9], s[0:1], 3
	s_add_u32 s8, s2, s8
	v_lshlrev_b64 v[7:8], 2, v[3:4]
	s_addc_u32 s9, s3, s9
	v_add_nc_u32_e32 v3, 0xffffff00, v3
	s_add_i32 s6, s6, -1
	s_add_i32 s0, s0, -2
	s_cmp_le_i32 s6, s4
	v_add_co_u32 v7, vcc_lo, s5, v7
	v_add_co_ci_u32_e64 v8, null, s7, v8, vcc_lo
	s_load_dwordx2 s[8:9], s[8:9], 0x0
	global_load_dword v4, v[7:8], off
	v_max_f32_e32 v7, v0, v0
	s_waitcnt lgkmcnt(0)
	v_max_f32_e64 v8, s8, s8
	v_max_f32_e32 v7, v7, v8
	v_sub_f32_e32 v8, s8, v7
	v_sub_f32_e32 v0, v0, v7
	v_mul_f32_e32 v9, 0x3fb8aa3b, v8
	v_mul_f32_e32 v12, 0x3fb8aa3b, v0
	v_cmp_ngt_f32_e32 vcc_lo, 0xc2ce8ed0, v8
	v_fma_f32 v10, 0x3fb8aa3b, v8, -v9
	v_rndne_f32_e32 v11, v9
	v_fma_f32 v13, 0x3fb8aa3b, v0, -v12
	v_rndne_f32_e32 v14, v12
	v_fmac_f32_e32 v10, 0x32a5705f, v8
	v_sub_f32_e32 v9, v9, v11
	v_fmac_f32_e32 v13, 0x32a5705f, v0
	v_cvt_i32_f32_e32 v11, v11
	v_add_f32_e32 v9, v9, v10
	v_sub_f32_e32 v10, v12, v14
	v_exp_f32_e32 v9, v9
	v_add_f32_e32 v10, v10, v13
	v_exp_f32_e32 v10, v10
	v_ldexp_f32 v9, v9, v11
	v_cvt_i32_f32_e32 v11, v14
	v_cndmask_b32_e32 v9, 0, v9, vcc_lo
	v_cmp_nlt_f32_e32 vcc_lo, 0x42b17218, v8
	v_ldexp_f32 v10, v10, v11
	v_mov_b32_e32 v11, v6
	v_cndmask_b32_e32 v9, 0x7f800000, v9, vcc_lo
	v_cmp_ngt_f32_e32 vcc_lo, 0xc2ce8ed0, v0
	v_cndmask_b32_e32 v10, 0, v10, vcc_lo
	v_cmp_le_f32_e32 vcc_lo, 0xc1a00000, v8
	v_cndmask_b32_e32 v8, 0, v9, vcc_lo
	v_cmp_nlt_f32_e32 vcc_lo, 0x42b17218, v0
	s_waitcnt vmcnt(1)
	v_mov_b32_e32 v9, v5
	v_cndmask_b32_e32 v5, 0x7f800000, v10, vcc_lo
	v_mul_f32_e32 v10, s9, v8
	v_cmp_le_f32_e32 vcc_lo, 0xc1a00000, v0
	v_mov_b32_e32 v0, v7
	v_mov_b32_e32 v6, v10
	v_cndmask_b32_e32 v12, 0, v5, vcc_lo
	v_fmac_f32_e32 v6, v11, v12
	s_waitcnt vmcnt(0)
	v_mul_f32_e32 v5, v4, v8
	v_fmac_f32_e32 v5, v9, v12
	s_cbranch_scc0 .LBB69_3
	s_branch .LBB69_5
.LBB69_4:
	s_waitcnt lgkmcnt(0)
	v_mov_b32_e32 v6, s10
.LBB69_5:
	s_waitcnt vmcnt(0)
	v_div_scale_f32 v0, null, v6, v6, v5
	v_rcp_f32_e32 v3, v0
	v_fma_f32 v4, -v0, v3, 1.0
	v_fmac_f32_e32 v3, v4, v3
	v_div_scale_f32 v4, vcc_lo, v5, v6, v5
	v_mul_f32_e32 v7, v4, v3
	v_fma_f32 v8, -v0, v7, v4
	v_fmac_f32_e32 v7, v8, v3
	v_fma_f32 v0, -v0, v7, v4
	v_div_fmas_f32 v0, v0, v3, v7
	v_div_fixup_f32 v0, v0, v6, v5
	global_store_dword v[1:2], v0, off
.LBB69_6:
	s_endpgm
	.section	.rodata,"a",@progbits
	.p2align	6, 0x0
	.amdhsa_kernel _ZL33flash_attn_stream_k_fixup_uniformILi128ELi2ELi1EEvPfPK15HIP_vector_typeIfLj2EEiiiiiiS1_IjLj3EES5_S5_
		.amdhsa_group_segment_fixed_size 0
		.amdhsa_private_segment_fixed_size 0
		.amdhsa_kernarg_size 76
		.amdhsa_user_sgpr_count 6
		.amdhsa_user_sgpr_private_segment_buffer 1
		.amdhsa_user_sgpr_dispatch_ptr 0
		.amdhsa_user_sgpr_queue_ptr 0
		.amdhsa_user_sgpr_kernarg_segment_ptr 1
		.amdhsa_user_sgpr_dispatch_id 0
		.amdhsa_user_sgpr_flat_scratch_init 0
		.amdhsa_user_sgpr_private_segment_size 0
		.amdhsa_wavefront_size32 1
		.amdhsa_uses_dynamic_stack 0
		.amdhsa_system_sgpr_private_segment_wavefront_offset 0
		.amdhsa_system_sgpr_workgroup_id_x 1
		.amdhsa_system_sgpr_workgroup_id_y 1
		.amdhsa_system_sgpr_workgroup_id_z 1
		.amdhsa_system_sgpr_workgroup_info 0
		.amdhsa_system_vgpr_workitem_id 0
		.amdhsa_next_free_vgpr 15
		.amdhsa_next_free_sgpr 24
		.amdhsa_reserve_vcc 1
		.amdhsa_reserve_flat_scratch 0
		.amdhsa_float_round_mode_32 0
		.amdhsa_float_round_mode_16_64 0
		.amdhsa_float_denorm_mode_32 3
		.amdhsa_float_denorm_mode_16_64 3
		.amdhsa_dx10_clamp 1
		.amdhsa_ieee_mode 1
		.amdhsa_fp16_overflow 0
		.amdhsa_workgroup_processor_mode 1
		.amdhsa_memory_ordered 1
		.amdhsa_forward_progress 1
		.amdhsa_shared_vgpr_count 0
		.amdhsa_exception_fp_ieee_invalid_op 0
		.amdhsa_exception_fp_denorm_src 0
		.amdhsa_exception_fp_ieee_div_zero 0
		.amdhsa_exception_fp_ieee_overflow 0
		.amdhsa_exception_fp_ieee_underflow 0
		.amdhsa_exception_fp_ieee_inexact 0
		.amdhsa_exception_int_div_zero 0
	.end_amdhsa_kernel
	.section	.text._ZL33flash_attn_stream_k_fixup_uniformILi128ELi2ELi1EEvPfPK15HIP_vector_typeIfLj2EEiiiiiiS1_IjLj3EES5_S5_,"axG",@progbits,_ZL33flash_attn_stream_k_fixup_uniformILi128ELi2ELi1EEvPfPK15HIP_vector_typeIfLj2EEiiiiiiS1_IjLj3EES5_S5_,comdat
.Lfunc_end69:
	.size	_ZL33flash_attn_stream_k_fixup_uniformILi128ELi2ELi1EEvPfPK15HIP_vector_typeIfLj2EEiiiiiiS1_IjLj3EES5_S5_, .Lfunc_end69-_ZL33flash_attn_stream_k_fixup_uniformILi128ELi2ELi1EEvPfPK15HIP_vector_typeIfLj2EEiiiiiiS1_IjLj3EES5_S5_
                                        ; -- End function
	.set _ZL33flash_attn_stream_k_fixup_uniformILi128ELi2ELi1EEvPfPK15HIP_vector_typeIfLj2EEiiiiiiS1_IjLj3EES5_S5_.num_vgpr, 15
	.set _ZL33flash_attn_stream_k_fixup_uniformILi128ELi2ELi1EEvPfPK15HIP_vector_typeIfLj2EEiiiiiiS1_IjLj3EES5_S5_.num_agpr, 0
	.set _ZL33flash_attn_stream_k_fixup_uniformILi128ELi2ELi1EEvPfPK15HIP_vector_typeIfLj2EEiiiiiiS1_IjLj3EES5_S5_.numbered_sgpr, 24
	.set _ZL33flash_attn_stream_k_fixup_uniformILi128ELi2ELi1EEvPfPK15HIP_vector_typeIfLj2EEiiiiiiS1_IjLj3EES5_S5_.num_named_barrier, 0
	.set _ZL33flash_attn_stream_k_fixup_uniformILi128ELi2ELi1EEvPfPK15HIP_vector_typeIfLj2EEiiiiiiS1_IjLj3EES5_S5_.private_seg_size, 0
	.set _ZL33flash_attn_stream_k_fixup_uniformILi128ELi2ELi1EEvPfPK15HIP_vector_typeIfLj2EEiiiiiiS1_IjLj3EES5_S5_.uses_vcc, 1
	.set _ZL33flash_attn_stream_k_fixup_uniformILi128ELi2ELi1EEvPfPK15HIP_vector_typeIfLj2EEiiiiiiS1_IjLj3EES5_S5_.uses_flat_scratch, 0
	.set _ZL33flash_attn_stream_k_fixup_uniformILi128ELi2ELi1EEvPfPK15HIP_vector_typeIfLj2EEiiiiiiS1_IjLj3EES5_S5_.has_dyn_sized_stack, 0
	.set _ZL33flash_attn_stream_k_fixup_uniformILi128ELi2ELi1EEvPfPK15HIP_vector_typeIfLj2EEiiiiiiS1_IjLj3EES5_S5_.has_recursion, 0
	.set _ZL33flash_attn_stream_k_fixup_uniformILi128ELi2ELi1EEvPfPK15HIP_vector_typeIfLj2EEiiiiiiS1_IjLj3EES5_S5_.has_indirect_call, 0
	.section	.AMDGPU.csdata,"",@progbits
; Kernel info:
; codeLenInByte = 828
; TotalNumSgprs: 26
; NumVgprs: 15
; ScratchSize: 0
; MemoryBound: 0
; FloatMode: 240
; IeeeMode: 1
; LDSByteSize: 0 bytes/workgroup (compile time only)
; SGPRBlocks: 0
; VGPRBlocks: 1
; NumSGPRsForWavesPerEU: 26
; NumVGPRsForWavesPerEU: 15
; Occupancy: 16
; WaveLimiterHint : 0
; COMPUTE_PGM_RSRC2:SCRATCH_EN: 0
; COMPUTE_PGM_RSRC2:USER_SGPR: 6
; COMPUTE_PGM_RSRC2:TRAP_HANDLER: 0
; COMPUTE_PGM_RSRC2:TGID_X_EN: 1
; COMPUTE_PGM_RSRC2:TGID_Y_EN: 1
; COMPUTE_PGM_RSRC2:TGID_Z_EN: 1
; COMPUTE_PGM_RSRC2:TIDIG_COMP_CNT: 0
	.section	.text._ZL33flash_attn_stream_k_fixup_generalILi128ELi2ELi1EEvPfPK15HIP_vector_typeIfLj2EEiiiiS1_IjLj3EES5_S5_S5_,"axG",@progbits,_ZL33flash_attn_stream_k_fixup_generalILi128ELi2ELi1EEvPfPK15HIP_vector_typeIfLj2EEiiiiS1_IjLj3EES5_S5_S5_,comdat
	.globl	_ZL33flash_attn_stream_k_fixup_generalILi128ELi2ELi1EEvPfPK15HIP_vector_typeIfLj2EEiiiiS1_IjLj3EES5_S5_S5_ ; -- Begin function _ZL33flash_attn_stream_k_fixup_generalILi128ELi2ELi1EEvPfPK15HIP_vector_typeIfLj2EEiiiiS1_IjLj3EES5_S5_S5_
	.p2align	8
	.type	_ZL33flash_attn_stream_k_fixup_generalILi128ELi2ELi1EEvPfPK15HIP_vector_typeIfLj2EEiiiiS1_IjLj3EES5_S5_S5_,@function
_ZL33flash_attn_stream_k_fixup_generalILi128ELi2ELi1EEvPfPK15HIP_vector_typeIfLj2EEiiiiS1_IjLj3EES5_S5_S5_: ; @_ZL33flash_attn_stream_k_fixup_generalILi128ELi2ELi1EEvPfPK15HIP_vector_typeIfLj2EEiiiiS1_IjLj3EES5_S5_S5_
; %bb.0:
	s_clause 0x1
	s_load_dwordx4 s[0:3], s[4:5], 0x10
	s_load_dword s9, s[4:5], 0x50
	s_mov_b32 s16, 0
	s_waitcnt lgkmcnt(0)
	s_mul_hi_i32 s17, s3, s6
	s_mul_i32 s18, s3, s6
	s_cmp_lg_u64 s[16:17], 0
	s_cbranch_scc0 .LBB70_21
; %bb.1:
	s_add_u32 s10, s9, 0
	s_addc_u32 s11, 0, 0
	s_xor_b64 s[10:11], s[10:11], 0
	v_cvt_f32_u32_e32 v1, s10
	v_cvt_f32_u32_e32 v2, s11
	s_sub_u32 s14, 0, s10
	s_subb_u32 s15, 0, s11
	v_fmamk_f32 v1, v2, 0x4f800000, v1
	v_rcp_f32_e32 v1, v1
	v_mul_f32_e32 v1, 0x5f7ffffc, v1
	v_mul_f32_e32 v2, 0x2f800000, v1
	v_trunc_f32_e32 v2, v2
	v_fmamk_f32 v1, v2, 0xcf800000, v1
	v_cvt_u32_f32_e32 v2, v2
	v_cvt_u32_f32_e32 v1, v1
	v_readfirstlane_b32 s12, v2
	v_readfirstlane_b32 s13, v1
	s_mul_i32 s19, s14, s12
	s_mul_hi_u32 s21, s14, s13
	s_mul_i32 s20, s15, s13
	s_add_i32 s19, s21, s19
	s_mul_i32 s22, s14, s13
	s_add_i32 s19, s19, s20
	s_mul_hi_u32 s21, s13, s22
	s_mul_i32 s24, s13, s19
	s_mul_hi_u32 s23, s12, s22
	s_mul_i32 s20, s12, s22
	s_mul_hi_u32 s22, s13, s19
	s_add_u32 s21, s21, s24
	s_addc_u32 s22, 0, s22
	s_mul_hi_u32 s25, s12, s19
	s_add_u32 s20, s21, s20
	s_mul_i32 s19, s12, s19
	s_addc_u32 s20, s22, s23
	s_addc_u32 s21, s25, 0
	s_add_u32 s19, s20, s19
	s_addc_u32 s20, 0, s21
	s_add_u32 s13, s13, s19
	s_cselect_b32 s19, -1, 0
	s_mul_hi_u32 s21, s14, s13
	s_cmp_lg_u32 s19, 0
	s_mul_i32 s19, s14, s13
	s_addc_u32 s12, s12, s20
	s_mul_i32 s15, s15, s13
	s_mul_i32 s14, s14, s12
	s_mul_hi_u32 s20, s13, s19
	s_add_i32 s14, s21, s14
	s_mul_hi_u32 s21, s12, s19
	s_add_i32 s14, s14, s15
	s_mul_i32 s15, s12, s19
	s_mul_i32 s23, s13, s14
	s_mul_hi_u32 s22, s13, s14
	s_add_u32 s20, s20, s23
	s_addc_u32 s22, 0, s22
	s_mul_hi_u32 s19, s12, s14
	s_add_u32 s15, s20, s15
	s_mul_i32 s14, s12, s14
	s_addc_u32 s15, s22, s21
	s_addc_u32 s19, s19, 0
	s_add_u32 s14, s15, s14
	s_addc_u32 s15, 0, s19
	s_add_u32 s19, s13, s14
	s_cselect_b32 s13, -1, 0
	s_cmp_lg_u32 s13, 0
	s_addc_u32 s20, s12, s15
	s_ashr_i32 s12, s17, 31
	s_add_u32 s14, s18, s12
	s_mov_b32 s13, s12
	s_addc_u32 s15, s17, s12
	s_xor_b64 s[14:15], s[14:15], s[12:13]
	s_mul_i32 s21, s14, s20
	s_mul_hi_u32 s22, s14, s19
	s_mul_hi_u32 s17, s14, s20
	;; [unrolled: 1-line block ×3, first 2 shown]
	s_mul_i32 s19, s15, s19
	s_add_u32 s21, s22, s21
	s_addc_u32 s17, 0, s17
	s_mul_hi_u32 s23, s15, s20
	s_add_u32 s19, s21, s19
	s_mul_i32 s20, s15, s20
	s_addc_u32 s17, s17, s24
	s_addc_u32 s19, s23, 0
	s_add_u32 s17, s17, s20
	s_addc_u32 s19, 0, s19
	s_mul_hi_u32 s20, s10, s17
	s_mul_i32 s21, s10, s19
	s_mul_i32 s22, s11, s17
	s_add_i32 s20, s20, s21
	s_mul_i32 s21, s10, s17
	s_add_i32 s20, s20, s22
	s_sub_i32 s22, s15, s20
	s_sub_u32 s14, s14, s21
	s_cselect_b32 s21, -1, 0
	s_cmp_lg_u32 s21, 0
	s_subb_u32 s22, s22, s11
	s_sub_u32 s23, s14, s10
	s_cselect_b32 s24, -1, 0
	s_cmp_lg_u32 s24, 0
	s_subb_u32 s22, s22, 0
	s_cmp_ge_u32 s22, s11
	s_cselect_b32 s24, -1, 0
	s_cmp_ge_u32 s23, s10
	s_cselect_b32 s23, -1, 0
	s_cmp_eq_u32 s22, s11
	s_cselect_b32 s22, s23, s24
	s_add_u32 s23, s17, 1
	s_addc_u32 s24, s19, 0
	s_add_u32 s25, s17, 2
	s_addc_u32 s26, s19, 0
	s_cmp_lg_u32 s22, 0
	s_cselect_b32 s22, s25, s23
	s_cselect_b32 s23, s26, s24
	s_cmp_lg_u32 s21, 0
	s_subb_u32 s15, s15, s20
	s_cmp_ge_u32 s15, s11
	s_cselect_b32 s20, -1, 0
	s_cmp_ge_u32 s14, s10
	s_cselect_b32 s10, -1, 0
	s_cmp_eq_u32 s15, s11
	s_cselect_b32 s10, s10, s20
	s_cmp_lg_u32 s10, 0
	s_cselect_b32 s11, s23, s19
	s_cselect_b32 s10, s22, s17
	s_xor_b64 s[12:13], s[12:13], 0
	s_xor_b64 s[10:11], s[10:11], s[12:13]
	s_sub_u32 s10, s10, s12
	s_load_dwordx4 s[12:15], s[4:5], 0x44
	s_andn2_b32 vcc_lo, exec_lo, s16
	s_cbranch_vccnz .LBB70_3
.LBB70_2:
	v_cvt_f32_u32_e32 v1, s9
	s_sub_i32 s11, 0, s9
	v_rcp_iflag_f32_e32 v1, v1
	v_mul_f32_e32 v1, 0x4f7ffffe, v1
	v_cvt_u32_f32_e32 v1, v1
	v_readfirstlane_b32 s10, v1
	s_mul_i32 s11, s11, s10
	s_mul_hi_u32 s11, s10, s11
	s_add_i32 s10, s10, s11
	s_mul_hi_u32 s10, s18, s10
	s_mul_i32 s11, s10, s9
	s_waitcnt lgkmcnt(0)
	s_add_i32 s15, s10, 1
	s_sub_i32 s11, s18, s11
	s_sub_i32 s16, s11, s9
	s_cmp_ge_u32 s11, s9
	s_cselect_b32 s10, s15, s10
	s_cselect_b32 s11, s16, s11
	s_add_i32 s15, s10, 1
	s_cmp_ge_u32 s11, s9
	s_cselect_b32 s10, s15, s10
.LBB70_3:
	s_add_i32 s11, s6, 1
	s_mov_b32 s16, 0
	s_mul_hi_i32 s17, s3, s11
	s_mul_i32 s11, s3, s11
	s_cmp_lg_u64 s[16:17], 0
	s_cbranch_scc0 .LBB70_22
; %bb.4:
	s_add_u32 s18, s9, 0
	s_addc_u32 s19, 0, 0
	s_xor_b64 s[18:19], s[18:19], 0
	v_cvt_f32_u32_e32 v1, s18
	v_cvt_f32_u32_e32 v2, s19
	s_sub_u32 s21, 0, s18
	s_subb_u32 s22, 0, s19
	v_fmamk_f32 v1, v2, 0x4f800000, v1
	v_rcp_f32_e32 v1, v1
	v_mul_f32_e32 v1, 0x5f7ffffc, v1
	v_mul_f32_e32 v2, 0x2f800000, v1
	v_trunc_f32_e32 v2, v2
	v_fmamk_f32 v1, v2, 0xcf800000, v1
	v_cvt_u32_f32_e32 v2, v2
	v_cvt_u32_f32_e32 v1, v1
	s_waitcnt lgkmcnt(0)
	v_readfirstlane_b32 s15, v2
	v_readfirstlane_b32 s20, v1
	s_mul_i32 s23, s21, s15
	s_mul_hi_u32 s25, s21, s20
	s_mul_i32 s24, s22, s20
	s_add_i32 s23, s25, s23
	s_mul_i32 s26, s21, s20
	s_add_i32 s23, s23, s24
	s_mul_hi_u32 s25, s20, s26
	s_mul_i32 s28, s20, s23
	s_mul_hi_u32 s27, s15, s26
	s_mul_i32 s24, s15, s26
	s_mul_hi_u32 s26, s20, s23
	s_add_u32 s25, s25, s28
	s_addc_u32 s26, 0, s26
	s_mul_hi_u32 s29, s15, s23
	s_add_u32 s24, s25, s24
	s_mul_i32 s23, s15, s23
	s_addc_u32 s24, s26, s27
	s_addc_u32 s25, s29, 0
	s_add_u32 s23, s24, s23
	s_addc_u32 s24, 0, s25
	s_add_u32 s20, s20, s23
	s_cselect_b32 s23, -1, 0
	s_mul_hi_u32 s25, s21, s20
	s_cmp_lg_u32 s23, 0
	s_mul_i32 s23, s21, s20
	s_addc_u32 s15, s15, s24
	s_mul_i32 s22, s22, s20
	s_mul_i32 s21, s21, s15
	s_mul_hi_u32 s24, s20, s23
	s_add_i32 s21, s25, s21
	s_mul_hi_u32 s25, s15, s23
	s_add_i32 s21, s21, s22
	s_mul_i32 s22, s15, s23
	s_mul_i32 s27, s20, s21
	s_mul_hi_u32 s26, s20, s21
	s_add_u32 s24, s24, s27
	s_addc_u32 s26, 0, s26
	s_mul_hi_u32 s23, s15, s21
	s_add_u32 s22, s24, s22
	s_mul_i32 s21, s15, s21
	s_addc_u32 s22, s26, s25
	s_addc_u32 s23, s23, 0
	s_add_u32 s21, s22, s21
	s_addc_u32 s22, 0, s23
	s_add_u32 s24, s20, s21
	s_cselect_b32 s20, -1, 0
	s_cmp_lg_u32 s20, 0
	s_addc_u32 s15, s15, s22
	s_ashr_i32 s20, s17, 31
	s_add_u32 s22, s11, s20
	s_mov_b32 s21, s20
	s_addc_u32 s23, s17, s20
	s_xor_b64 s[22:23], s[22:23], s[20:21]
	s_mul_i32 s25, s22, s15
	s_mul_hi_u32 s26, s22, s24
	s_mul_hi_u32 s17, s22, s15
	;; [unrolled: 1-line block ×3, first 2 shown]
	s_mul_i32 s24, s23, s24
	s_add_u32 s25, s26, s25
	s_addc_u32 s17, 0, s17
	s_mul_hi_u32 s27, s23, s15
	s_add_u32 s24, s25, s24
	s_mul_i32 s15, s23, s15
	s_addc_u32 s17, s17, s28
	s_addc_u32 s24, s27, 0
	s_add_u32 s15, s17, s15
	s_addc_u32 s17, 0, s24
	s_mul_hi_u32 s24, s18, s15
	s_mul_i32 s25, s18, s17
	s_mul_i32 s26, s19, s15
	s_add_i32 s24, s24, s25
	s_mul_i32 s25, s18, s15
	s_add_i32 s24, s24, s26
	s_sub_i32 s26, s23, s24
	s_sub_u32 s22, s22, s25
	s_cselect_b32 s25, -1, 0
	s_cmp_lg_u32 s25, 0
	s_subb_u32 s26, s26, s19
	s_sub_u32 s27, s22, s18
	s_cselect_b32 s28, -1, 0
	s_cmp_lg_u32 s28, 0
	s_subb_u32 s26, s26, 0
	s_cmp_ge_u32 s26, s19
	s_cselect_b32 s28, -1, 0
	s_cmp_ge_u32 s27, s18
	s_cselect_b32 s27, -1, 0
	s_cmp_eq_u32 s26, s19
	s_cselect_b32 s26, s27, s28
	s_add_u32 s27, s15, 1
	s_addc_u32 s28, s17, 0
	s_add_u32 s29, s15, 2
	s_addc_u32 s30, s17, 0
	s_cmp_lg_u32 s26, 0
	s_cselect_b32 s26, s29, s27
	s_cselect_b32 s27, s30, s28
	s_cmp_lg_u32 s25, 0
	s_subb_u32 s23, s23, s24
	s_cmp_ge_u32 s23, s19
	s_cselect_b32 s24, -1, 0
	s_cmp_ge_u32 s22, s18
	s_cselect_b32 s18, -1, 0
	s_cmp_eq_u32 s23, s19
	s_cselect_b32 s18, s18, s24
	s_cmp_lg_u32 s18, 0
	s_cselect_b32 s19, s27, s17
	s_cselect_b32 s18, s26, s15
	s_xor_b64 s[20:21], s[20:21], 0
	s_xor_b64 s[18:19], s[18:19], s[20:21]
	s_sub_u32 s18, s18, s20
	s_andn2_b32 vcc_lo, exec_lo, s16
	s_cbranch_vccnz .LBB70_6
.LBB70_5:
	v_cvt_f32_u32_e32 v1, s9
	s_sub_i32 s16, 0, s9
	v_rcp_iflag_f32_e32 v1, v1
	v_mul_f32_e32 v1, 0x4f7ffffe, v1
	v_cvt_u32_f32_e32 v1, v1
	s_waitcnt lgkmcnt(0)
	v_readfirstlane_b32 s15, v1
	s_mul_i32 s16, s16, s15
	s_mul_hi_u32 s16, s15, s16
	s_add_i32 s15, s15, s16
	s_mul_hi_u32 s15, s11, s15
	s_mul_i32 s16, s15, s9
	s_sub_i32 s11, s11, s16
	s_add_i32 s16, s15, 1
	s_sub_i32 s17, s11, s9
	s_cmp_ge_u32 s11, s9
	s_cselect_b32 s15, s16, s15
	s_cselect_b32 s11, s17, s11
	s_add_i32 s16, s15, 1
	s_cmp_ge_u32 s11, s9
	s_cselect_b32 s18, s16, s15
.LBB70_6:
	s_cmp_eq_u32 s10, s18
	s_waitcnt lgkmcnt(0)
	s_mul_hi_u32 s11, s10, s12
	s_cselect_b32 s15, -1, 0
	s_add_i32 s11, s11, s10
	s_lshr_b32 s11, s11, s13
	s_mul_i32 s16, s11, s14
	s_cmp_eq_u32 s16, s10
	s_mul_hi_u32 s16, s18, s12
	s_cselect_b32 s17, -1, 0
	s_add_i32 s16, s16, s18
	s_lshr_b32 s16, s16, s13
	s_cmp_eq_u32 s11, s16
	s_mul_i32 s16, s16, s14
	s_cselect_b32 s19, -1, 0
	s_cmp_lg_u32 s16, s18
	s_cselect_b32 s16, -1, 0
	s_or_b32 s15, s15, s17
	s_and_b32 s16, s19, s16
	s_or_b32 s15, s15, s16
	s_and_b32 vcc_lo, exec_lo, s15
	s_cbranch_vccnz .LBB70_24
; %bb.7:
	s_load_dwordx8 s[20:27], s[4:5], 0x20
	s_waitcnt lgkmcnt(0)
	s_mul_hi_u32 s15, s10, s20
	s_add_i32 s15, s15, s10
	s_lshr_b32 s20, s15, s21
	s_load_dword s15, s[4:5], 0x40
	s_mul_i32 s16, s20, s22
	s_sub_i32 s16, s10, s16
	s_mul_hi_u32 s17, s16, s23
	s_add_i32 s17, s16, s17
	s_lshr_b32 s22, s17, s24
	s_mul_i32 s17, s22, s25
	s_sub_i32 s16, s16, s17
	s_mul_hi_u32 s17, s16, s26
	s_add_i32 s17, s16, s17
	s_lshr_b32 s23, s17, s27
	s_waitcnt lgkmcnt(0)
	s_mul_i32 s15, s23, s15
	s_sub_i32 s15, s16, s15
	s_mul_hi_u32 s16, s15, s12
	s_add_i32 s15, s15, s16
	s_lshr_b32 s24, s15, s13
	s_lshl_b32 s15, s24, 1
	s_add_i32 s15, s15, s7
	s_cmp_lt_i32 s15, s0
	s_cselect_b32 s15, -1, 0
	s_add_i32 s16, s23, s8
	s_cmp_lt_i32 s16, s2
	s_cselect_b32 s16, -1, 0
	s_and_b32 s15, s15, s16
	s_andn2_b32 vcc_lo, exec_lo, s15
	s_cbranch_vccnz .LBB70_24
; %bb.8:
	s_load_dwordx4 s[16:19], s[4:5], 0x0
	s_mov_b32 s4, 0
	s_lshl_b32 s26, s9, 3
	s_mov_b32 s27, s4
	s_add_i32 s15, s7, s8
	s_lshl_b64 s[26:27], s[26:27], 2
	s_mul_i32 s0, s20, s0
	s_mul_i32 s22, s22, s2
	v_cvt_f32_u32_e32 v4, s9
	v_rcp_iflag_f32_e32 v4, v4
	s_waitcnt lgkmcnt(0)
	s_add_u32 s20, s18, s26
	s_addc_u32 s21, s19, s27
	s_add_i32 s0, s0, s7
	v_mul_f32_e32 v4, 0x4f7ffffe, v4
	s_mul_i32 s0, s0, s1
	s_mul_i32 s1, s1, s24
	s_add_i32 s0, s0, s8
	s_lshl_b32 s1, s1, 8
	s_add_i32 s0, s0, s22
	v_cvt_u32_f32_e32 v4, v4
	s_add_i32 s0, s0, s23
	s_lshl_b32 s0, s0, 7
	s_add_i32 s1, s1, s0
	s_lshl_b32 s0, s6, 1
	v_or_b32_e32 v1, s1, v0
	s_add_i32 s0, s0, s15
	v_lshl_or_b32 v0, s15, 7, v0
	s_ashr_i32 s1, s0, 31
	v_ashrrev_i32_e32 v2, 31, v1
	s_lshl_b64 s[0:1], s[0:1], 3
	s_add_u32 s0, s18, s0
	s_addc_u32 s1, s19, s1
	v_lshlrev_b64 v[1:2], 2, v[1:2]
	s_load_dwordx2 s[0:1], s[0:1], 0x0
	s_add_i32 s8, s6, -1
	s_sub_i32 s2, 0, s9
	v_add_co_u32 v1, vcc_lo, s16, v1
	v_add_co_ci_u32_e64 v2, null, s17, v2, vcc_lo
	global_load_dword v3, v[1:2], off
	s_waitcnt lgkmcnt(0)
	v_mov_b32_e32 v5, s1
	v_mov_b32_e32 v6, s0
.LBB70_9:                               ; =>This Inner Loop Header: Depth=1
	s_mul_hi_i32 s5, s8, s3
	s_mul_i32 s6, s8, s3
	s_cmp_lg_u64 s[4:5], 0
	s_mov_b32 s7, -1
                                        ; implicit-def: $sgpr0_sgpr1
	s_cbranch_scc0 .LBB70_11
; %bb.10:                               ;   in Loop: Header=BB70_9 Depth=1
	s_add_u32 s0, s9, 0
	s_addc_u32 s1, 0, 0
	s_xor_b64 s[0:1], s[0:1], 0
	v_cvt_f32_u32_e32 v7, s0
	v_cvt_f32_u32_e32 v8, s1
	s_sub_u32 s17, 0, s0
	s_subb_u32 s22, 0, s1
	v_fmac_f32_e32 v7, 0x4f800000, v8
	v_rcp_f32_e32 v7, v7
	v_mul_f32_e32 v7, 0x5f7ffffc, v7
	v_mul_f32_e32 v8, 0x2f800000, v7
	v_trunc_f32_e32 v8, v8
	v_fmac_f32_e32 v7, 0xcf800000, v8
	v_cvt_u32_f32_e32 v8, v8
	v_cvt_u32_f32_e32 v7, v7
	v_readfirstlane_b32 s7, v8
	v_readfirstlane_b32 s16, v7
	s_mul_i32 s23, s17, s7
	s_mul_hi_u32 s25, s17, s16
	s_mul_i32 s24, s22, s16
	s_add_i32 s23, s25, s23
	s_mul_i32 s26, s17, s16
	s_add_i32 s23, s23, s24
	s_mul_hi_u32 s25, s16, s26
	s_mul_i32 s28, s16, s23
	s_mul_hi_u32 s27, s7, s26
	s_mul_i32 s24, s7, s26
	s_mul_hi_u32 s26, s16, s23
	s_add_u32 s25, s25, s28
	s_addc_u32 s26, 0, s26
	s_mul_hi_u32 s29, s7, s23
	s_add_u32 s24, s25, s24
	s_mul_i32 s23, s7, s23
	s_addc_u32 s24, s26, s27
	s_addc_u32 s25, s29, 0
	s_add_u32 s23, s24, s23
	s_addc_u32 s24, 0, s25
	s_add_u32 s16, s16, s23
	s_cselect_b32 s23, -1, 0
	s_mul_hi_u32 s25, s17, s16
	s_cmp_lg_u32 s23, 0
	s_mul_i32 s23, s17, s16
	s_addc_u32 s7, s7, s24
	s_mul_i32 s22, s22, s16
	s_mul_i32 s17, s17, s7
	s_mul_hi_u32 s24, s16, s23
	s_add_i32 s17, s25, s17
	s_mul_hi_u32 s25, s7, s23
	s_add_i32 s17, s17, s22
	s_mul_i32 s22, s7, s23
	s_mul_i32 s27, s16, s17
	s_mul_hi_u32 s26, s16, s17
	s_add_u32 s24, s24, s27
	s_addc_u32 s26, 0, s26
	s_mul_hi_u32 s23, s7, s17
	s_add_u32 s22, s24, s22
	s_mul_i32 s17, s7, s17
	s_addc_u32 s22, s26, s25
	s_addc_u32 s23, s23, 0
	s_add_u32 s17, s22, s17
	s_addc_u32 s22, 0, s23
	s_add_u32 s24, s16, s17
	s_cselect_b32 s16, -1, 0
	s_cmp_lg_u32 s16, 0
	s_addc_u32 s7, s7, s22
	s_ashr_i32 s16, s5, 31
	s_add_u32 s22, s6, s16
	s_mov_b32 s17, s16
	s_addc_u32 s23, s5, s16
	s_xor_b64 s[22:23], s[22:23], s[16:17]
	s_mul_i32 s25, s22, s7
	s_mul_hi_u32 s26, s22, s24
	s_mul_hi_u32 s5, s22, s7
	;; [unrolled: 1-line block ×3, first 2 shown]
	s_mul_i32 s24, s23, s24
	s_add_u32 s25, s26, s25
	s_addc_u32 s5, 0, s5
	s_mul_hi_u32 s27, s23, s7
	s_add_u32 s24, s25, s24
	s_mul_i32 s7, s23, s7
	s_addc_u32 s5, s5, s28
	s_addc_u32 s24, s27, 0
	s_add_u32 s5, s5, s7
	s_addc_u32 s7, 0, s24
	s_mul_hi_u32 s24, s0, s5
	s_mul_i32 s25, s0, s7
	s_mul_i32 s26, s1, s5
	s_add_i32 s24, s24, s25
	s_mul_i32 s25, s0, s5
	s_add_i32 s24, s24, s26
	s_sub_i32 s26, s23, s24
	s_sub_u32 s22, s22, s25
	s_cselect_b32 s25, -1, 0
	s_cmp_lg_u32 s25, 0
	s_subb_u32 s26, s26, s1
	s_sub_u32 s27, s22, s0
	s_cselect_b32 s28, -1, 0
	s_cmp_lg_u32 s28, 0
	s_subb_u32 s26, s26, 0
	s_cmp_ge_u32 s26, s1
	s_cselect_b32 s28, -1, 0
	s_cmp_ge_u32 s27, s0
	s_cselect_b32 s27, -1, 0
	s_cmp_eq_u32 s26, s1
	s_cselect_b32 s26, s27, s28
	s_add_u32 s27, s5, 1
	s_addc_u32 s28, s7, 0
	s_add_u32 s29, s5, 2
	s_addc_u32 s30, s7, 0
	s_cmp_lg_u32 s26, 0
	s_cselect_b32 s26, s29, s27
	s_cselect_b32 s27, s30, s28
	s_cmp_lg_u32 s25, 0
	s_subb_u32 s23, s23, s24
	s_cmp_ge_u32 s23, s1
	s_cselect_b32 s24, -1, 0
	s_cmp_ge_u32 s22, s0
	s_cselect_b32 s0, -1, 0
	s_cmp_eq_u32 s23, s1
	s_cselect_b32 s0, s0, s24
	s_cmp_lg_u32 s0, 0
	s_cselect_b32 s1, s27, s7
	s_cselect_b32 s0, s26, s5
	s_xor_b64 s[16:17], s[16:17], 0
	s_mov_b32 s7, 0
	s_xor_b64 s[0:1], s[0:1], s[16:17]
	s_sub_u32 s0, s0, s16
.LBB70_11:                              ;   in Loop: Header=BB70_9 Depth=1
	s_andn2_b32 vcc_lo, exec_lo, s7
	s_cbranch_vccnz .LBB70_13
; %bb.12:                               ;   in Loop: Header=BB70_9 Depth=1
	v_readfirstlane_b32 s0, v4
	s_mul_i32 s1, s2, s0
	s_mul_hi_u32 s1, s0, s1
	s_add_i32 s0, s0, s1
	s_mul_hi_u32 s0, s6, s0
	s_mul_i32 s1, s0, s9
	s_add_i32 s5, s0, 1
	s_sub_i32 s1, s6, s1
	s_sub_i32 s6, s1, s9
	s_cmp_ge_u32 s1, s9
	s_cselect_b32 s0, s5, s0
	s_cselect_b32 s1, s6, s1
	s_add_i32 s5, s0, 1
	s_cmp_ge_u32 s1, s9
	s_cselect_b32 s0, s5, s0
.LBB70_13:                              ;   in Loop: Header=BB70_9 Depth=1
	s_cmp_lg_u32 s10, s0
	s_mov_b32 s6, -1
                                        ; implicit-def: $sgpr5
                                        ; implicit-def: $vgpr8
                                        ; implicit-def: $vgpr7
                                        ; implicit-def: $vgpr9
                                        ; implicit-def: $sgpr1
                                        ; implicit-def: $sgpr16
	s_cbranch_scc0 .LBB70_18
; %bb.14:                               ;   in Loop: Header=BB70_9 Depth=1
	s_add_i32 s1, s8, s9
	s_mov_b32 s7, s4
	s_lshl_b32 s1, s1, 1
	s_mov_b32 s16, s10
	s_add_i32 s6, s1, s15
	s_mul_hi_u32 s1, s0, s12
	s_lshl_b64 s[6:7], s[6:7], 3
	s_add_u32 s6, s18, s6
	s_addc_u32 s7, s19, s7
	s_add_i32 s1, s1, s0
	s_lshr_b32 s1, s1, s13
	s_mul_i32 s5, s1, s14
	s_cmp_eq_u32 s5, s0
	s_cselect_b32 s5, -1, 0
	s_cmp_lt_u32 s1, s11
	s_cselect_b32 s1, -1, 0
	s_or_b32 s1, s1, s5
	s_mov_b32 s5, -1
	s_and_b32 vcc_lo, exec_lo, s1
	s_mov_b32 s1, s8
	s_cbranch_vccnz .LBB70_16
; %bb.15:                               ;   in Loop: Header=BB70_9 Depth=1
	s_add_i32 s1, s8, -1
	s_mov_b32 s5, 0
	s_mov_b32 s16, s0
.LBB70_16:                              ;   in Loop: Header=BB70_9 Depth=1
	v_lshl_add_u32 v7, s8, 8, v0
	s_load_dwordx2 s[6:7], s[6:7], 0x0
	v_ashrrev_i32_e32 v8, 31, v7
	v_lshlrev_b64 v[7:8], 2, v[7:8]
	v_add_co_u32 v7, vcc_lo, s20, v7
	v_add_co_ci_u32_e64 v8, null, s21, v8, vcc_lo
	s_waitcnt lgkmcnt(0)
	v_max_f32_e64 v9, s6, s6
	global_load_dword v8, v[7:8], off
	v_max_f32_e32 v7, v6, v6
	v_max_f32_e32 v7, v7, v9
	v_sub_f32_e32 v9, s6, v7
	v_sub_f32_e32 v10, v6, v7
	v_mul_f32_e32 v11, 0x3fb8aa3b, v9
	v_mul_f32_e32 v12, 0x3fb8aa3b, v10
	v_cmp_ngt_f32_e32 vcc_lo, 0xc2ce8ed0, v9
	v_fma_f32 v13, 0x3fb8aa3b, v9, -v11
	v_rndne_f32_e32 v14, v11
	v_fma_f32 v15, 0x3fb8aa3b, v10, -v12
	v_rndne_f32_e32 v16, v12
	v_fmac_f32_e32 v13, 0x32a5705f, v9
	v_sub_f32_e32 v11, v11, v14
	v_fmac_f32_e32 v15, 0x32a5705f, v10
	v_sub_f32_e32 v12, v12, v16
	v_add_f32_e32 v11, v11, v13
	v_cvt_i32_f32_e32 v13, v14
	v_add_f32_e32 v12, v12, v15
	v_cvt_i32_f32_e32 v14, v16
	v_exp_f32_e32 v11, v11
	v_exp_f32_e32 v12, v12
	v_ldexp_f32 v11, v11, v13
	v_ldexp_f32 v12, v12, v14
	v_cndmask_b32_e32 v11, 0, v11, vcc_lo
	v_cmp_ngt_f32_e32 vcc_lo, 0xc2ce8ed0, v10
	v_cndmask_b32_e32 v12, 0, v12, vcc_lo
	v_cmp_nlt_f32_e32 vcc_lo, 0x42b17218, v9
	v_cndmask_b32_e32 v11, 0x7f800000, v11, vcc_lo
	v_cmp_nlt_f32_e32 vcc_lo, 0x42b17218, v10
	v_cndmask_b32_e32 v12, 0x7f800000, v12, vcc_lo
	v_cmp_le_f32_e32 vcc_lo, 0xc1a00000, v9
	v_cndmask_b32_e32 v9, 0, v11, vcc_lo
	v_cmp_le_f32_e32 vcc_lo, 0xc1a00000, v10
	v_cndmask_b32_e32 v10, 0, v12, vcc_lo
	s_waitcnt vmcnt(0)
	v_mul_f32_e32 v8, v8, v9
	v_mul_f32_e32 v9, s7, v9
	v_fmac_f32_e32 v8, v3, v10
	v_fmac_f32_e32 v9, v5, v10
	s_cbranch_execz .LBB70_19
.LBB70_17:                              ;   in Loop: Header=BB70_9 Depth=1
	s_andn2_b32 vcc_lo, exec_lo, s5
	s_cbranch_vccnz .LBB70_20
	s_branch .LBB70_23
.LBB70_18:                              ;   in Loop: Header=BB70_9 Depth=1
	s_andn2_b32 vcc_lo, exec_lo, s6
	s_cbranch_vccnz .LBB70_17
.LBB70_19:                              ;   in Loop: Header=BB70_9 Depth=1
	v_mov_b32_e32 v9, v5
	v_mov_b32_e32 v7, v6
	s_waitcnt vmcnt(0)
	v_mov_b32_e32 v8, v3
	s_add_i32 s1, s8, -1
	s_mov_b32 s16, s10
	s_cbranch_execz .LBB70_23
.LBB70_20:                              ;   in Loop: Header=BB70_9 Depth=1
	v_mov_b32_e32 v5, v9
	v_mov_b32_e32 v6, v7
	s_waitcnt vmcnt(0)
	v_mov_b32_e32 v3, v8
	s_mov_b32 s10, s16
	s_mov_b32 s8, s1
	s_branch .LBB70_9
.LBB70_21:
                                        ; implicit-def: $sgpr10_sgpr11
	s_load_dwordx4 s[12:15], s[4:5], 0x44
	s_branch .LBB70_2
.LBB70_22:
                                        ; implicit-def: $sgpr18_sgpr19
	s_branch .LBB70_5
.LBB70_23:
	v_div_scale_f32 v0, null, v9, v9, v8
	s_waitcnt vmcnt(0)
	v_rcp_f32_e32 v3, v0
	v_fma_f32 v4, -v0, v3, 1.0
	v_fmac_f32_e32 v3, v4, v3
	v_div_scale_f32 v4, vcc_lo, v8, v9, v8
	v_mul_f32_e32 v5, v4, v3
	v_fma_f32 v6, -v0, v5, v4
	v_fmac_f32_e32 v5, v6, v3
	v_fma_f32 v0, -v0, v5, v4
	v_div_fmas_f32 v0, v0, v3, v5
	v_div_fixup_f32 v0, v0, v9, v8
	global_store_dword v[1:2], v0, off
.LBB70_24:
	s_endpgm
	.section	.rodata,"a",@progbits
	.p2align	6, 0x0
	.amdhsa_kernel _ZL33flash_attn_stream_k_fixup_generalILi128ELi2ELi1EEvPfPK15HIP_vector_typeIfLj2EEiiiiS1_IjLj3EES5_S5_S5_
		.amdhsa_group_segment_fixed_size 0
		.amdhsa_private_segment_fixed_size 0
		.amdhsa_kernarg_size 336
		.amdhsa_user_sgpr_count 6
		.amdhsa_user_sgpr_private_segment_buffer 1
		.amdhsa_user_sgpr_dispatch_ptr 0
		.amdhsa_user_sgpr_queue_ptr 0
		.amdhsa_user_sgpr_kernarg_segment_ptr 1
		.amdhsa_user_sgpr_dispatch_id 0
		.amdhsa_user_sgpr_flat_scratch_init 0
		.amdhsa_user_sgpr_private_segment_size 0
		.amdhsa_wavefront_size32 1
		.amdhsa_uses_dynamic_stack 0
		.amdhsa_system_sgpr_private_segment_wavefront_offset 0
		.amdhsa_system_sgpr_workgroup_id_x 1
		.amdhsa_system_sgpr_workgroup_id_y 1
		.amdhsa_system_sgpr_workgroup_id_z 1
		.amdhsa_system_sgpr_workgroup_info 0
		.amdhsa_system_vgpr_workitem_id 0
		.amdhsa_next_free_vgpr 17
		.amdhsa_next_free_sgpr 31
		.amdhsa_reserve_vcc 1
		.amdhsa_reserve_flat_scratch 0
		.amdhsa_float_round_mode_32 0
		.amdhsa_float_round_mode_16_64 0
		.amdhsa_float_denorm_mode_32 3
		.amdhsa_float_denorm_mode_16_64 3
		.amdhsa_dx10_clamp 1
		.amdhsa_ieee_mode 1
		.amdhsa_fp16_overflow 0
		.amdhsa_workgroup_processor_mode 1
		.amdhsa_memory_ordered 1
		.amdhsa_forward_progress 1
		.amdhsa_shared_vgpr_count 0
		.amdhsa_exception_fp_ieee_invalid_op 0
		.amdhsa_exception_fp_denorm_src 0
		.amdhsa_exception_fp_ieee_div_zero 0
		.amdhsa_exception_fp_ieee_overflow 0
		.amdhsa_exception_fp_ieee_underflow 0
		.amdhsa_exception_fp_ieee_inexact 0
		.amdhsa_exception_int_div_zero 0
	.end_amdhsa_kernel
	.section	.text._ZL33flash_attn_stream_k_fixup_generalILi128ELi2ELi1EEvPfPK15HIP_vector_typeIfLj2EEiiiiS1_IjLj3EES5_S5_S5_,"axG",@progbits,_ZL33flash_attn_stream_k_fixup_generalILi128ELi2ELi1EEvPfPK15HIP_vector_typeIfLj2EEiiiiS1_IjLj3EES5_S5_S5_,comdat
.Lfunc_end70:
	.size	_ZL33flash_attn_stream_k_fixup_generalILi128ELi2ELi1EEvPfPK15HIP_vector_typeIfLj2EEiiiiS1_IjLj3EES5_S5_S5_, .Lfunc_end70-_ZL33flash_attn_stream_k_fixup_generalILi128ELi2ELi1EEvPfPK15HIP_vector_typeIfLj2EEiiiiS1_IjLj3EES5_S5_S5_
                                        ; -- End function
	.set _ZL33flash_attn_stream_k_fixup_generalILi128ELi2ELi1EEvPfPK15HIP_vector_typeIfLj2EEiiiiS1_IjLj3EES5_S5_S5_.num_vgpr, 17
	.set _ZL33flash_attn_stream_k_fixup_generalILi128ELi2ELi1EEvPfPK15HIP_vector_typeIfLj2EEiiiiS1_IjLj3EES5_S5_S5_.num_agpr, 0
	.set _ZL33flash_attn_stream_k_fixup_generalILi128ELi2ELi1EEvPfPK15HIP_vector_typeIfLj2EEiiiiS1_IjLj3EES5_S5_S5_.numbered_sgpr, 31
	.set _ZL33flash_attn_stream_k_fixup_generalILi128ELi2ELi1EEvPfPK15HIP_vector_typeIfLj2EEiiiiS1_IjLj3EES5_S5_S5_.num_named_barrier, 0
	.set _ZL33flash_attn_stream_k_fixup_generalILi128ELi2ELi1EEvPfPK15HIP_vector_typeIfLj2EEiiiiS1_IjLj3EES5_S5_S5_.private_seg_size, 0
	.set _ZL33flash_attn_stream_k_fixup_generalILi128ELi2ELi1EEvPfPK15HIP_vector_typeIfLj2EEiiiiS1_IjLj3EES5_S5_S5_.uses_vcc, 1
	.set _ZL33flash_attn_stream_k_fixup_generalILi128ELi2ELi1EEvPfPK15HIP_vector_typeIfLj2EEiiiiS1_IjLj3EES5_S5_S5_.uses_flat_scratch, 0
	.set _ZL33flash_attn_stream_k_fixup_generalILi128ELi2ELi1EEvPfPK15HIP_vector_typeIfLj2EEiiiiS1_IjLj3EES5_S5_S5_.has_dyn_sized_stack, 0
	.set _ZL33flash_attn_stream_k_fixup_generalILi128ELi2ELi1EEvPfPK15HIP_vector_typeIfLj2EEiiiiS1_IjLj3EES5_S5_S5_.has_recursion, 0
	.set _ZL33flash_attn_stream_k_fixup_generalILi128ELi2ELi1EEvPfPK15HIP_vector_typeIfLj2EEiiiiS1_IjLj3EES5_S5_S5_.has_indirect_call, 0
	.section	.AMDGPU.csdata,"",@progbits
; Kernel info:
; codeLenInByte = 2936
; TotalNumSgprs: 33
; NumVgprs: 17
; ScratchSize: 0
; MemoryBound: 0
; FloatMode: 240
; IeeeMode: 1
; LDSByteSize: 0 bytes/workgroup (compile time only)
; SGPRBlocks: 0
; VGPRBlocks: 2
; NumSGPRsForWavesPerEU: 33
; NumVGPRsForWavesPerEU: 17
; Occupancy: 16
; WaveLimiterHint : 0
; COMPUTE_PGM_RSRC2:SCRATCH_EN: 0
; COMPUTE_PGM_RSRC2:USER_SGPR: 6
; COMPUTE_PGM_RSRC2:TRAP_HANDLER: 0
; COMPUTE_PGM_RSRC2:TGID_X_EN: 1
; COMPUTE_PGM_RSRC2:TGID_Y_EN: 1
; COMPUTE_PGM_RSRC2:TGID_Z_EN: 1
; COMPUTE_PGM_RSRC2:TIDIG_COMP_CNT: 0
	.section	.text._ZL15flash_attn_tileILi128ELi128ELi8ELi8ELb1EEvPKcS1_S1_S1_S1_PKiPfP15HIP_vector_typeIfLj2EEffffjfiS5_IjLj3EEiiiiiiiiiiiliiliiiiil,"axG",@progbits,_ZL15flash_attn_tileILi128ELi128ELi8ELi8ELb1EEvPKcS1_S1_S1_S1_PKiPfP15HIP_vector_typeIfLj2EEffffjfiS5_IjLj3EEiiiiiiiiiiiliiliiiiil,comdat
	.globl	_ZL15flash_attn_tileILi128ELi128ELi8ELi8ELb1EEvPKcS1_S1_S1_S1_PKiPfP15HIP_vector_typeIfLj2EEffffjfiS5_IjLj3EEiiiiiiiiiiiliiliiiiil ; -- Begin function _ZL15flash_attn_tileILi128ELi128ELi8ELi8ELb1EEvPKcS1_S1_S1_S1_PKiPfP15HIP_vector_typeIfLj2EEffffjfiS5_IjLj3EEiiiiiiiiiiiliiliiiiil
	.p2align	8
	.type	_ZL15flash_attn_tileILi128ELi128ELi8ELi8ELb1EEvPKcS1_S1_S1_S1_PKiPfP15HIP_vector_typeIfLj2EEffffjfiS5_IjLj3EEiiiiiiiiiiiliiliiiiil,@function
_ZL15flash_attn_tileILi128ELi128ELi8ELi8ELb1EEvPKcS1_S1_S1_S1_PKiPfP15HIP_vector_typeIfLj2EEffffjfiS5_IjLj3EEiiiiiiiiiiiliiliiiiil: ; @_ZL15flash_attn_tileILi128ELi128ELi8ELi8ELb1EEvPKcS1_S1_S1_S1_PKiPfP15HIP_vector_typeIfLj2EEffffjfiS5_IjLj3EEiiiiiiiiiiiliiliiiiil
; %bb.0:
	s_clause 0x1
	s_load_dwordx4 s[0:3], s[4:5], 0x5c
	s_load_dwordx2 s[34:35], s[4:5], 0x80
	s_mov_b32 s28, s7
	s_mov_b64 s[36:37], 0
	s_waitcnt lgkmcnt(0)
	s_ashr_i32 s7, s3, 31
	s_lshr_b32 s7, s7, 29
	s_add_i32 s7, s3, s7
	s_ashr_i32 s7, s7, 3
	v_cvt_f32_u32_e32 v2, s7
	s_sub_i32 s10, 0, s7
	v_rcp_iflag_f32_e32 v2, v2
	v_mul_f32_e32 v2, 0x4f7ffffe, v2
	v_cvt_u32_f32_e32 v2, v2
	v_readfirstlane_b32 s9, v2
	s_mul_i32 s10, s10, s9
	s_mul_hi_u32 s10, s9, s10
	s_add_i32 s9, s9, s10
	s_mul_hi_u32 s9, s8, s9
	s_mul_i32 s10, s9, s7
	s_add_i32 s11, s9, 1
	s_sub_i32 s10, s8, s10
	s_sub_i32 s12, s10, s7
	s_cmp_ge_u32 s10, s7
	s_cselect_b32 s9, s11, s9
	s_cselect_b32 s10, s12, s10
	s_add_i32 s11, s9, 1
	s_cmp_ge_u32 s10, s7
	s_cselect_b32 s7, s11, s9
	s_abs_i32 s9, s35
	s_lshl_b32 s8, s8, 3
	v_cvt_f32_u32_e32 v2, s9
	s_sub_i32 s11, 0, s9
	s_mul_i32 s12, s7, s3
	s_abs_i32 s13, s3
	s_sub_i32 s30, s8, s12
	v_rcp_iflag_f32_e32 v2, v2
	v_mul_f32_e32 v2, 0x4f7ffffe, v2
	v_cvt_u32_f32_e32 v2, v2
	v_readfirstlane_b32 s10, v2
	s_mul_i32 s11, s11, s10
	s_mul_hi_u32 s11, s10, s11
	s_add_i32 s10, s10, s11
	s_mul_hi_u32 s8, s13, s10
	s_xor_b32 s10, s3, s35
	s_mul_i32 s11, s8, s9
	s_ashr_i32 s10, s10, 31
	s_sub_i32 s11, s13, s11
	s_add_i32 s12, s8, 1
	s_sub_i32 s13, s11, s9
	s_cmp_ge_u32 s11, s9
	s_cselect_b32 s8, s12, s8
	s_cselect_b32 s11, s13, s11
	s_add_i32 s12, s8, 1
	s_cmp_ge_u32 s11, s9
	s_cselect_b32 s8, s12, s8
	s_xor_b32 s8, s8, s10
	s_sub_i32 s31, s8, s10
	s_clause 0x1
	s_load_dwordx16 s[8:23], s[4:5], 0x0
	s_load_dwordx2 s[38:39], s[4:5], 0xb8
	s_abs_i32 s29, s31
	v_cvt_f32_u32_e32 v2, s29
	v_rcp_iflag_f32_e32 v2, v2
	v_mul_f32_e32 v2, 0x4f7ffffe, v2
	s_waitcnt lgkmcnt(0)
	s_cmp_eq_u64 s[14:15], 0
	v_cvt_u32_f32_e32 v2, v2
	v_readfirstlane_b32 s33, v2
	s_cbranch_scc1 .LBB71_2
; %bb.1:
	s_abs_i32 s26, s38
	s_abs_i32 s27, s7
	v_cvt_f32_u32_e32 v2, s26
	s_sub_i32 s25, 0, s26
	v_rcp_iflag_f32_e32 v2, v2
	v_mul_f32_e32 v2, 0x4f7ffffe, v2
	v_cvt_u32_f32_e32 v2, v2
	v_readfirstlane_b32 s24, v2
	s_mul_i32 s25, s25, s24
	s_mul_hi_u32 s25, s24, s25
	s_add_i32 s24, s24, s25
	s_mul_hi_u32 s35, s27, s24
	s_load_dwordx2 s[24:25], s[4:5], 0xc8
	s_mul_i32 s35, s35, s26
	s_sub_i32 s27, s27, s35
	s_ashr_i32 s35, s7, 31
	s_sub_i32 s36, s27, s26
	s_cmp_ge_u32 s27, s26
	s_cselect_b32 s27, s36, s27
	s_sub_i32 s36, s27, s26
	s_cmp_ge_u32 s27, s26
	s_cselect_b32 s26, s36, s27
	s_xor_b32 s26, s26, s35
	s_sub_i32 s26, s26, s35
	s_ashr_i32 s27, s26, 31
	s_waitcnt lgkmcnt(0)
	s_mul_hi_u32 s35, s24, s26
	s_mul_i32 s27, s24, s27
	s_mul_i32 s25, s25, s26
	s_add_i32 s27, s35, s27
	s_mul_i32 s24, s24, s26
	s_add_i32 s27, s27, s25
	s_add_u32 s36, s14, s24
	s_addc_u32 s37, s15, s27
.LBB71_2:
	v_lshl_add_u32 v25, s6, 3, v1
	s_load_dwordx4 s[24:27], s[4:5], 0x70
	v_mul_hi_u32 v2, s0, v25
	v_add_nc_u32_e32 v2, v25, v2
	v_lshrrev_b32_e32 v2, s1, v2
	s_waitcnt lgkmcnt(0)
	s_mul_i32 s1, s7, s26
	s_mul_i32 s14, s30, s25
	v_mul_lo_u32 v2, v2, s2
	s_ashr_i32 s15, s1, 31
	s_add_u32 s1, s8, s1
	s_addc_u32 s8, s9, s15
	s_ashr_i32 s9, s14, 31
	s_add_u32 s14, s1, s14
	s_mov_b32 s0, s24
	s_addc_u32 s15, s8, s9
	v_sub_nc_u32_e32 v3, v25, v2
	s_ashr_i32 s1, s24, 31
	s_lshr_b64 s[8:9], s[0:1], 2
	s_lshr_b32 s0, s1, 2
	v_mad_u64_u32 v[4:5], null, s8, v3, 0
	s_mov_b32 s8, s25
	s_ashr_i32 s9, s25, 31
	v_mov_b32_e32 v2, v5
	v_mad_u64_u32 v[5:6], null, s0, v3, v[2:3]
	v_lshlrev_b32_e32 v2, 4, v0
	s_lshr_b64 s[0:1], s[8:9], 2
	v_lshlrev_b64 v[4:5], 2, v[4:5]
	v_add_co_u32 v4, vcc_lo, s14, v4
	v_add_co_ci_u32_e64 v5, null, s15, v5, vcc_lo
	s_and_b32 s14, s25, -4
	v_add_co_u32 v17, vcc_lo, v4, v2
	v_add_co_ci_u32_e64 v18, null, 0, v5, vcc_lo
	s_and_b32 s15, s9, 0x3fffffff
	s_lshl_b64 s[24:25], s[0:1], 3
	v_add_co_u32 v9, vcc_lo, v17, s14
	s_lshl_b64 s[26:27], s[14:15], 2
	v_add_co_ci_u32_e64 v10, null, s9, v18, vcc_lo
	v_add_co_u32 v13, vcc_lo, v17, s24
	s_clause 0x1
	global_load_dwordx4 v[5:8], v[17:18], off
	global_load_dwordx4 v[9:12], v[9:10], off
	v_add_co_ci_u32_e64 v14, null, s25, v18, vcc_lo
	v_add_co_u32 v19, vcc_lo, v17, s26
	v_add_co_ci_u32_e64 v20, null, s27, v18, vcc_lo
	s_clause 0x1
	global_load_dwordx4 v[13:16], v[13:14], off
	global_load_dwordx4 v[19:22], v[19:20], off
	v_mad_u64_u32 v[23:24], null, s0, 12, v[17:18]
	v_mad_u64_u32 v[30:31], null, s0, 20, v[17:18]
	v_mad_u64_u32 v[34:35], null, s0, 24, v[17:18]
	s_lshr_b32 s1, s9, 2
	v_mad_u64_u32 v[17:18], null, s0, 28, v[17:18]
	v_mov_b32_e32 v4, v24
	v_mov_b32_e32 v24, v31
	s_load_dword s0, s[4:5], 0x40
	s_cmp_eq_u64 s[18:19], 0
	s_waitcnt vmcnt(3)
	v_mad_u64_u32 v[26:27], null, s1, 12, v[4:5]
	v_mov_b32_e32 v4, v35
	v_mad_u64_u32 v[27:28], null, s1, 20, v[24:25]
	s_waitcnt lgkmcnt(0)
	v_fma_mixlo_f16 v6, s0, v6, 0
	v_fma_mixlo_f16 v8, s0, v8, 0
	v_mad_u64_u32 v[32:33], null, s1, 24, v[4:5]
	v_mov_b32_e32 v24, v26
	s_waitcnt vmcnt(0)
	v_mad_u64_u32 v[36:37], null, s1, 28, v[18:19]
	v_mov_b32_e32 v31, v27
	v_fma_mixlo_f16 v5, s0, v5, 0
	global_load_dwordx4 v[26:29], v[23:24], off
	v_mov_b32_e32 v35, v32
	v_fma_mixlo_f16 v7, s0, v7, 0
	global_load_dwordx4 v[30:33], v[30:31], off
	v_mov_b32_e32 v18, v36
	s_clause 0x1
	global_load_dwordx4 v[34:37], v[34:35], off
	global_load_dwordx4 v[38:41], v[17:18], off
	v_lshlrev_b32_e32 v6, 16, v6
	v_and_b32_e32 v5, 0xffff, v5
	v_lshlrev_b32_e32 v8, 16, v8
	v_and_b32_e32 v7, 0xffff, v7
	v_fma_mixlo_f16 v9, s0, v9, 0
	v_fma_mixlo_f16 v10, s0, v10, 0
	;; [unrolled: 1-line block ×12, first 2 shown]
	v_or_b32_e32 v5, v6, v5
	v_or3_b32 v6, v8, v7, 0
	v_lshlrev_b32_e32 v7, 16, v10
	v_and_b32_e32 v8, 0xffff, v9
	v_lshlrev_b32_e32 v9, 16, v12
	v_and_b32_e32 v10, 0xffff, v11
	;; [unrolled: 2-line block ×6, first 2 shown]
	v_or_b32_e32 v7, v7, v8
	v_or3_b32 v8, v9, v10, 0
	v_or3_b32 v10, v13, v14, 0
	v_or_b32_e32 v9, v11, v12
	v_or_b32_e32 v11, v15, v16
	v_or3_b32 v12, v19, v20, 0
	v_lshlrev_b32_e32 v18, 11, v1
	v_lshlrev_b32_e32 v4, 3, v0
	v_or3_b32 v5, 0, 0, v5
	v_or3_b32 v7, 0, 0, v7
	;; [unrolled: 1-line block ×4, first 2 shown]
	v_or_b32_e32 v17, v18, v4
	s_waitcnt vmcnt(3)
	v_fma_mixlo_f16 v13, s0, v26, 0
	v_fma_mixlo_f16 v14, s0, v27, 0
	;; [unrolled: 1-line block ×4, first 2 shown]
	s_waitcnt vmcnt(2)
	v_fma_mixlo_f16 v19, s0, v30, 0
	v_fma_mixlo_f16 v20, s0, v31, 0
	v_fma_mixlo_f16 v21, s0, v32, 0
	v_fma_mixlo_f16 v22, s0, v33, 0
	s_waitcnt vmcnt(1)
	v_fma_mixlo_f16 v23, s0, v34, 0
	v_fma_mixlo_f16 v24, s0, v35, 0
	s_waitcnt vmcnt(0)
	v_fma_mixlo_f16 v28, s0, v38, 0
	v_fma_mixlo_f16 v29, s0, v39, 0
	v_lshlrev_b32_e32 v14, 16, v14
	v_and_b32_e32 v13, 0xffff, v13
	v_lshlrev_b32_e32 v16, 16, v16
	v_and_b32_e32 v15, 0xffff, v15
	;; [unrolled: 2-line block ×3, first 2 shown]
	v_fma_mixlo_f16 v26, s0, v36, 0
	v_fma_mixlo_f16 v27, s0, v37, 0
	;; [unrolled: 1-line block ×4, first 2 shown]
	v_lshlrev_b32_e32 v22, 16, v22
	v_and_b32_e32 v21, 0xffff, v21
	v_lshlrev_b32_e32 v24, 16, v24
	v_and_b32_e32 v23, 0xffff, v23
	v_lshlrev_b32_e32 v29, 16, v29
	v_and_b32_e32 v28, 0xffff, v28
	v_or_b32_e32 v13, v14, v13
	v_or3_b32 v14, v16, v15, 0
	v_or_b32_e32 v15, v20, v19
	v_lshlrev_b32_e32 v27, 16, v27
	v_and_b32_e32 v26, 0xffff, v26
	v_lshlrev_b32_e32 v31, 16, v31
	v_and_b32_e32 v30, 0xffff, v30
	v_or3_b32 v16, v22, v21, 0
	v_or_b32_e32 v19, v24, v23
	v_or_b32_e32 v21, v29, v28
	v_or3_b32 v13, 0, 0, v13
	v_or3_b32 v15, 0, 0, v15
	;; [unrolled: 1-line block ×6, first 2 shown]
	ds_write2_b64 v17, v[5:6], v[7:8] offset1:32
	ds_write2_b64 v17, v[9:10], v[13:14] offset0:64 offset1:96
	ds_write2_b64 v17, v[11:12], v[15:16] offset0:128 offset1:160
	;; [unrolled: 1-line block ×3, first 2 shown]
	s_waitcnt lgkmcnt(0)
	s_barrier
	buffer_gl0_inv
	s_cbranch_scc1 .LBB71_4
; %bb.3:
	s_load_dword s0, s[4:5], 0xd0
	s_mov_b32 s1, 0
	s_waitcnt lgkmcnt(0)
	s_mul_i32 s0, s0, s7
	s_add_i32 s0, s0, s6
	s_lshl_b64 s[0:1], s[0:1], 2
	s_add_u32 s0, s18, s0
	s_addc_u32 s1, s19, s1
	s_load_dword s34, s[0:1], 0x0
.LBB71_4:
	v_mbcnt_lo_u32_b32 v20, -1, 0
	s_lshl_b32 s6, s28, 6
	s_waitcnt lgkmcnt(0)
	s_cmp_lt_i32 s6, s34
	s_cbranch_scc1 .LBB71_7
; %bb.5:
	v_mbcnt_lo_u32_b32 v9, -1, 0
	v_mov_b32_e32 v19, 32
	v_xor_b32_e32 v70, 16, v9
	v_xor_b32_e32 v68, 8, v9
	;; [unrolled: 1-line block ×5, first 2 shown]
	v_lshlrev_b32_e32 v27, 2, v0
	s_cbranch_execz .LBB71_8
; %bb.6:
	v_mov_b32_e32 v48, 0
	v_mov_b32_e32 v76, 0
	;; [unrolled: 1-line block ×32, first 2 shown]
	s_branch .LBB71_76
.LBB71_7:
                                        ; implicit-def: $vgpr9
                                        ; implicit-def: $vgpr19
                                        ; implicit-def: $vgpr70
                                        ; implicit-def: $vgpr68
                                        ; implicit-def: $vgpr67
                                        ; implicit-def: $vgpr66
                                        ; implicit-def: $vgpr65
	v_lshlrev_b32_e32 v27, 2, v0
.LBB71_8:
	s_clause 0x1
	s_load_dwordx4 s[24:27], s[4:5], 0x98
	s_load_dwordx2 s[0:1], s[4:5], 0x8c
	s_sub_i32 s8, 0, s29
	s_ashr_i32 s38, s7, 31
	s_mul_i32 s8, s8, s33
	s_abs_i32 s14, s30
	s_mul_hi_u32 s8, s33, s8
	s_ashr_i32 s15, s30, 31
	s_add_i32 s33, s33, s8
	s_ashr_i32 s31, s31, 31
	s_mul_hi_u32 s33, s14, s33
	s_ashr_i32 s35, s39, 1
	s_load_dwordx2 s[18:19], s[4:5], 0xa8
	s_mul_i32 s39, s33, s29
	v_lshrrev_b32_e32 v5, 3, v0
	v_lshrrev_b32_e32 v8, 4, v0
	v_and_b32_e32 v12, 28, v27
	v_and_b32_e32 v32, 60, v27
	v_lshl_add_u32 v24, v1, 10, 0x6400
	v_lshl_add_u32 v6, v1, 2, v5
	s_waitcnt lgkmcnt(0)
	s_ashr_i32 s8, s26, 2
	s_ashr_i32 s9, s0, 2
	s_mul_hi_u32 s0, s24, s7
	s_mul_i32 s26, s24, s38
	s_mul_i32 s25, s25, s7
	s_add_i32 s0, s0, s26
	s_mul_i32 s24, s24, s7
	s_add_i32 s0, s0, s25
	s_add_u32 s24, s10, s24
	s_addc_u32 s0, s11, s0
	s_sub_i32 s14, s14, s39
	s_xor_b32 s11, s15, s31
	s_add_i32 s15, s33, 1
	s_sub_i32 s25, s14, s29
	s_cmp_ge_u32 s14, s29
	v_lshl_add_u32 v10, v1, 1, v8
	s_cselect_b32 s15, s15, s33
	s_cselect_b32 s14, s25, s14
	s_add_i32 s25, s15, 1
	s_cmp_ge_u32 s14, s29
	v_mul_lo_u32 v5, s9, v6
	v_mul_lo_u32 v14, s8, v10
	s_cselect_b32 s14, s25, s15
	v_lshlrev_b32_e32 v7, 2, v12
	s_xor_b32 s14, s14, s11
	s_load_dword s10, s[4:5], 0x54
	s_sub_i32 s25, s14, s11
	v_lshlrev_b32_e32 v11, 2, v32
	s_mul_i32 s1, s25, s1
	v_mad_u32_u24 v9, 0x90, v6, v7
	v_lshl_add_u32 v7, s9, 5, v5
	v_lshl_add_u32 v16, s8, 4, v14
	s_mul_hi_u32 s15, s18, s7
	s_mul_i32 s26, s18, s38
	s_ashr_i32 s14, s1, 31
	s_add_u32 s11, s24, s1
	s_mul_i32 s19, s19, s7
	s_addc_u32 s14, s0, s14
	s_add_i32 s0, s15, s26
	s_mul_i32 s1, s18, s7
	s_add_i32 s0, s0, s19
	s_mul_i32 s25, s25, s27
	v_ashrrev_i32_e32 v6, 31, v5
	v_ashrrev_i32_e32 v8, 31, v7
	v_lshl_or_b32 v11, v10, 8, v11
	v_ashrrev_i32_e32 v15, 31, v14
	v_ashrrev_i32_e32 v17, 31, v16
	s_add_u32 s1, s12, s1
	s_addc_u32 s0, s13, s0
	s_ashr_i32 s13, s25, 31
	s_add_u32 s12, s1, s25
	v_add_nc_u32_e32 v21, 0x4000, v9
	v_add_nc_u32_e32 v22, 0x5200, v9
	v_mad_u64_u32 v[9:10], null, v3, s35, v[0:1]
	s_addc_u32 s13, s0, s13
	s_movk_i32 s0, 0x4000
	v_add_nc_u32_e32 v26, 0x4000, v11
	v_add_nc_u32_e32 v28, 0x5000, v11
	v_lshlrev_b64 v[10:11], 2, v[5:6]
	v_lshlrev_b32_e32 v30, 2, v12
	v_lshlrev_b64 v[12:13], 2, v[7:8]
	v_lshlrev_b64 v[14:15], 2, v[14:15]
	;; [unrolled: 1-line block ×3, first 2 shown]
	v_mov_b32_e32 v34, 0
	v_mad_u32_u24 v23, 0x90, v0, s0
	v_or_b32_e32 v29, 0x4000, v4
	v_mov_b32_e32 v63, 0xfeffffff
	v_mov_b32_e32 v19, 32
	v_add_nc_u32_e32 v31, v24, v2
	v_lshlrev_b32_e32 v32, 2, v32
	v_mov_b32_e32 v33, 0x10001
	v_mov_b32_e32 v35, 0
	;; [unrolled: 1-line block ×31, first 2 shown]
	s_add_u32 s0, s4, 0xd0
	s_addc_u32 s1, s5, 0
	s_mov_b32 s15, 0xbbbac73d
.LBB71_9:                               ; =>This Inner Loop Header: Depth=1
	s_mul_hi_i32 s19, s6, s9
	s_mul_i32 s18, s6, s9
	v_mov_b32_e32 v65, 0
	s_lshl_b64 s[18:19], s[18:19], 2
	v_mov_b32_e32 v78, 0
	s_add_u32 s18, s11, s18
	s_addc_u32 s19, s14, s19
	v_add_co_u32 v1, vcc_lo, s18, v10
	v_add_co_ci_u32_e64 v2, null, s19, v11, vcc_lo
	v_add_co_u32 v3, vcc_lo, s18, v12
	v_add_co_ci_u32_e64 v4, null, s19, v13, vcc_lo
	;; [unrolled: 2-line block ×4, first 2 shown]
	s_clause 0x1
	global_load_dwordx4 v[66:69], v[1:2], off
	global_load_dwordx4 v[79:82], v[3:4], off
	v_mov_b32_e32 v76, 0
	v_mov_b32_e32 v74, 0
	;; [unrolled: 1-line block ×10, first 2 shown]
	s_waitcnt vmcnt(1)
	ds_write_b128 v21, v[66:69]
	s_waitcnt vmcnt(0)
	ds_write_b128 v22, v[79:82]
	s_waitcnt lgkmcnt(0)
	s_barrier
	buffer_gl0_inv
	ds_read_b128 v[81:84], v23
	ds_read_b128 v[85:88], v18
	ds_read_b128 v[89:92], v18 offset:256
	ds_read_b128 v[93:96], v18 offset:512
	;; [unrolled: 1-line block ×8, first 2 shown]
	v_mov_b32_e32 v66, 0
	v_mov_b32_e32 v80, 0
	v_mov_b32_e32 v79, 0
	v_mov_b32_e32 v69, 0
	s_waitcnt lgkmcnt(8)
	;;#ASMSTART
	v_dot2_f32_f16 v65, v81, v85, v65
	;;#ASMEND
	;;#ASMSTART
	v_dot2_f32_f16 v65, v82, v86, v65
	;;#ASMEND
	;;#ASMSTART
	v_dot2_f32_f16 v65, v83, v87, v65
	;;#ASMEND
	;;#ASMSTART
	v_dot2_f32_f16 v65, v84, v88, v65
	;;#ASMEND
	s_waitcnt lgkmcnt(7)
	;;#ASMSTART
	v_dot2_f32_f16 v78, v81, v89, v78
	;;#ASMEND
	;;#ASMSTART
	v_dot2_f32_f16 v78, v82, v90, v78
	;;#ASMEND
	;;#ASMSTART
	v_dot2_f32_f16 v78, v83, v91, v78
	;;#ASMEND
	;;#ASMSTART
	v_dot2_f32_f16 v78, v84, v92, v78
	;;#ASMEND
	;; [unrolled: 13-line block ×8, first 2 shown]
	;;#ASMSTART
	v_dot2_f32_f16 v66, v101, v85, v66
	;;#ASMEND
	;;#ASMSTART
	v_dot2_f32_f16 v66, v102, v86, v66
	;;#ASMEND
	;; [unrolled: 3-line block ×32, first 2 shown]
	ds_read_b128 v[81:84], v23 offset:16
	ds_read_b128 v[85:88], v18 offset:16
	;; [unrolled: 1-line block ×10, first 2 shown]
	s_waitcnt lgkmcnt(8)
	;;#ASMSTART
	v_dot2_f32_f16 v65, v81, v85, v65
	;;#ASMEND
	;;#ASMSTART
	v_dot2_f32_f16 v65, v82, v86, v65
	;;#ASMEND
	;;#ASMSTART
	v_dot2_f32_f16 v65, v83, v87, v65
	;;#ASMEND
	;;#ASMSTART
	v_dot2_f32_f16 v65, v84, v88, v65
	;;#ASMEND
	s_waitcnt lgkmcnt(7)
	;;#ASMSTART
	v_dot2_f32_f16 v78, v81, v89, v78
	;;#ASMEND
	;;#ASMSTART
	v_dot2_f32_f16 v78, v82, v90, v78
	;;#ASMEND
	;;#ASMSTART
	v_dot2_f32_f16 v78, v83, v91, v78
	;;#ASMEND
	;;#ASMSTART
	v_dot2_f32_f16 v78, v84, v92, v78
	;;#ASMEND
	;; [unrolled: 13-line block ×8, first 2 shown]
	;;#ASMSTART
	v_dot2_f32_f16 v66, v101, v85, v66
	;;#ASMEND
	;;#ASMSTART
	v_dot2_f32_f16 v66, v102, v86, v66
	;;#ASMEND
	;; [unrolled: 3-line block ×32, first 2 shown]
	ds_read_b128 v[81:84], v23 offset:32
	ds_read_b128 v[85:88], v18 offset:32
	;; [unrolled: 1-line block ×10, first 2 shown]
	s_waitcnt lgkmcnt(8)
	;;#ASMSTART
	v_dot2_f32_f16 v65, v81, v85, v65
	;;#ASMEND
	;;#ASMSTART
	v_dot2_f32_f16 v65, v82, v86, v65
	;;#ASMEND
	;;#ASMSTART
	v_dot2_f32_f16 v65, v83, v87, v65
	;;#ASMEND
	;;#ASMSTART
	v_dot2_f32_f16 v65, v84, v88, v65
	;;#ASMEND
	s_waitcnt lgkmcnt(7)
	;;#ASMSTART
	v_dot2_f32_f16 v78, v81, v89, v78
	;;#ASMEND
	;;#ASMSTART
	v_dot2_f32_f16 v78, v82, v90, v78
	;;#ASMEND
	;;#ASMSTART
	v_dot2_f32_f16 v78, v83, v91, v78
	;;#ASMEND
	;;#ASMSTART
	v_dot2_f32_f16 v78, v84, v92, v78
	;;#ASMEND
	;; [unrolled: 13-line block ×8, first 2 shown]
	;;#ASMSTART
	v_dot2_f32_f16 v66, v101, v85, v66
	;;#ASMEND
	;;#ASMSTART
	v_dot2_f32_f16 v66, v102, v86, v66
	;;#ASMEND
	;; [unrolled: 3-line block ×32, first 2 shown]
	ds_read_b128 v[81:84], v23 offset:48
	ds_read_b128 v[85:88], v18 offset:48
	ds_read_b128 v[89:92], v18 offset:304
	ds_read_b128 v[93:96], v18 offset:560
	ds_read_b128 v[97:100], v18 offset:816
	ds_read_b128 v[101:104], v23 offset:4656
	ds_read_b128 v[105:108], v18 offset:1072
	ds_read_b128 v[109:112], v18 offset:1328
	ds_read_b128 v[113:116], v18 offset:1584
	ds_read_b128 v[117:120], v18 offset:1840
	s_waitcnt lgkmcnt(8)
	;;#ASMSTART
	v_dot2_f32_f16 v65, v81, v85, v65
	;;#ASMEND
	;;#ASMSTART
	v_dot2_f32_f16 v65, v82, v86, v65
	;;#ASMEND
	;;#ASMSTART
	v_dot2_f32_f16 v65, v83, v87, v65
	;;#ASMEND
	;;#ASMSTART
	v_dot2_f32_f16 v65, v84, v88, v65
	;;#ASMEND
	s_waitcnt lgkmcnt(7)
	;;#ASMSTART
	v_dot2_f32_f16 v78, v81, v89, v78
	;;#ASMEND
	;;#ASMSTART
	v_dot2_f32_f16 v78, v82, v90, v78
	;;#ASMEND
	;;#ASMSTART
	v_dot2_f32_f16 v78, v83, v91, v78
	;;#ASMEND
	;;#ASMSTART
	v_dot2_f32_f16 v78, v84, v92, v78
	;;#ASMEND
	;; [unrolled: 13-line block ×8, first 2 shown]
	;;#ASMSTART
	v_dot2_f32_f16 v66, v101, v85, v66
	;;#ASMEND
	;;#ASMSTART
	v_dot2_f32_f16 v66, v102, v86, v66
	;;#ASMEND
	;; [unrolled: 3-line block ×32, first 2 shown]
	ds_read_b128 v[81:84], v23 offset:64
	ds_read_b128 v[85:88], v18 offset:64
	;; [unrolled: 1-line block ×10, first 2 shown]
	s_waitcnt lgkmcnt(8)
	;;#ASMSTART
	v_dot2_f32_f16 v65, v81, v85, v65
	;;#ASMEND
	;;#ASMSTART
	v_dot2_f32_f16 v65, v82, v86, v65
	;;#ASMEND
	;;#ASMSTART
	v_dot2_f32_f16 v65, v83, v87, v65
	;;#ASMEND
	;;#ASMSTART
	v_dot2_f32_f16 v65, v84, v88, v65
	;;#ASMEND
	s_waitcnt lgkmcnt(7)
	;;#ASMSTART
	v_dot2_f32_f16 v78, v81, v89, v78
	;;#ASMEND
	;;#ASMSTART
	v_dot2_f32_f16 v78, v82, v90, v78
	;;#ASMEND
	;;#ASMSTART
	v_dot2_f32_f16 v78, v83, v91, v78
	;;#ASMEND
	;;#ASMSTART
	v_dot2_f32_f16 v78, v84, v92, v78
	;;#ASMEND
	;; [unrolled: 13-line block ×8, first 2 shown]
	;;#ASMSTART
	v_dot2_f32_f16 v66, v101, v85, v66
	;;#ASMEND
	;;#ASMSTART
	v_dot2_f32_f16 v66, v102, v86, v66
	;;#ASMEND
	;; [unrolled: 3-line block ×32, first 2 shown]
	ds_read_b128 v[81:84], v23 offset:80
	ds_read_b128 v[85:88], v18 offset:80
	;; [unrolled: 1-line block ×10, first 2 shown]
	s_waitcnt lgkmcnt(8)
	;;#ASMSTART
	v_dot2_f32_f16 v65, v81, v85, v65
	;;#ASMEND
	;;#ASMSTART
	v_dot2_f32_f16 v65, v82, v86, v65
	;;#ASMEND
	;;#ASMSTART
	v_dot2_f32_f16 v65, v83, v87, v65
	;;#ASMEND
	;;#ASMSTART
	v_dot2_f32_f16 v65, v84, v88, v65
	;;#ASMEND
	s_waitcnt lgkmcnt(7)
	;;#ASMSTART
	v_dot2_f32_f16 v78, v81, v89, v78
	;;#ASMEND
	;;#ASMSTART
	v_dot2_f32_f16 v78, v82, v90, v78
	;;#ASMEND
	;;#ASMSTART
	v_dot2_f32_f16 v78, v83, v91, v78
	;;#ASMEND
	;;#ASMSTART
	v_dot2_f32_f16 v78, v84, v92, v78
	;;#ASMEND
	s_waitcnt lgkmcnt(6)
	;;#ASMSTART
	v_dot2_f32_f16 v76, v81, v93, v76
	;;#ASMEND
	;;#ASMSTART
	v_dot2_f32_f16 v76, v82, v94, v76
	;;#ASMEND
	;;#ASMSTART
	v_dot2_f32_f16 v76, v83, v95, v76
	;;#ASMEND
	;;#ASMSTART
	v_dot2_f32_f16 v76, v84, v96, v76
	;;#ASMEND
	s_waitcnt lgkmcnt(5)
	;;#ASMSTART
	v_dot2_f32_f16 v74, v81, v97, v74
	;;#ASMEND
	;;#ASMSTART
	v_dot2_f32_f16 v74, v82, v98, v74
	;;#ASMEND
	;;#ASMSTART
	v_dot2_f32_f16 v74, v83, v99, v74
	;;#ASMEND
	;;#ASMSTART
	v_dot2_f32_f16 v74, v84, v100, v74
	;;#ASMEND
	s_waitcnt lgkmcnt(3)
	;;#ASMSTART
	v_dot2_f32_f16 v72, v81, v105, v72
	;;#ASMEND
	;;#ASMSTART
	v_dot2_f32_f16 v72, v82, v106, v72
	;;#ASMEND
	;;#ASMSTART
	v_dot2_f32_f16 v72, v83, v107, v72
	;;#ASMEND
	;;#ASMSTART
	v_dot2_f32_f16 v72, v84, v108, v72
	;;#ASMEND
	s_waitcnt lgkmcnt(2)
	;;#ASMSTART
	v_dot2_f32_f16 v71, v81, v109, v71
	;;#ASMEND
	;;#ASMSTART
	v_dot2_f32_f16 v71, v82, v110, v71
	;;#ASMEND
	;;#ASMSTART
	v_dot2_f32_f16 v71, v83, v111, v71
	;;#ASMEND
	;;#ASMSTART
	v_dot2_f32_f16 v71, v84, v112, v71
	;;#ASMEND
	s_waitcnt lgkmcnt(1)
	;;#ASMSTART
	v_dot2_f32_f16 v7, v81, v113, v7
	;;#ASMEND
	;;#ASMSTART
	v_dot2_f32_f16 v7, v82, v114, v7
	;;#ASMEND
	;;#ASMSTART
	v_dot2_f32_f16 v7, v83, v115, v7
	;;#ASMEND
	;;#ASMSTART
	v_dot2_f32_f16 v7, v84, v116, v7
	;;#ASMEND
	s_waitcnt lgkmcnt(0)
	;;#ASMSTART
	v_dot2_f32_f16 v5, v81, v117, v5
	;;#ASMEND
	;;#ASMSTART
	v_dot2_f32_f16 v5, v82, v118, v5
	;;#ASMEND
	;;#ASMSTART
	v_dot2_f32_f16 v5, v83, v119, v5
	;;#ASMEND
	;;#ASMSTART
	v_dot2_f32_f16 v5, v84, v120, v5
	;;#ASMEND
	;;#ASMSTART
	v_dot2_f32_f16 v66, v101, v85, v66
	;;#ASMEND
	;;#ASMSTART
	v_dot2_f32_f16 v66, v102, v86, v66
	;;#ASMEND
	;; [unrolled: 3-line block ×32, first 2 shown]
	ds_read_b128 v[81:84], v23 offset:96
	ds_read_b128 v[85:88], v18 offset:96
	;; [unrolled: 1-line block ×10, first 2 shown]
	s_waitcnt lgkmcnt(8)
	;;#ASMSTART
	v_dot2_f32_f16 v65, v81, v85, v65
	;;#ASMEND
	;;#ASMSTART
	v_dot2_f32_f16 v65, v82, v86, v65
	;;#ASMEND
	;;#ASMSTART
	v_dot2_f32_f16 v65, v83, v87, v65
	;;#ASMEND
	;;#ASMSTART
	v_dot2_f32_f16 v65, v84, v88, v65
	;;#ASMEND
	s_waitcnt lgkmcnt(7)
	;;#ASMSTART
	v_dot2_f32_f16 v78, v81, v89, v78
	;;#ASMEND
	;;#ASMSTART
	v_dot2_f32_f16 v78, v82, v90, v78
	;;#ASMEND
	;;#ASMSTART
	v_dot2_f32_f16 v78, v83, v91, v78
	;;#ASMEND
	;;#ASMSTART
	v_dot2_f32_f16 v78, v84, v92, v78
	;;#ASMEND
	;; [unrolled: 13-line block ×8, first 2 shown]
	;;#ASMSTART
	v_dot2_f32_f16 v66, v101, v85, v66
	;;#ASMEND
	;;#ASMSTART
	v_dot2_f32_f16 v66, v102, v86, v66
	;;#ASMEND
	;; [unrolled: 3-line block ×32, first 2 shown]
	ds_read_b128 v[81:84], v23 offset:112
	ds_read_b128 v[85:88], v18 offset:112
	;; [unrolled: 1-line block ×10, first 2 shown]
	s_waitcnt lgkmcnt(8)
	;;#ASMSTART
	v_dot2_f32_f16 v65, v81, v85, v65
	;;#ASMEND
	;;#ASMSTART
	v_dot2_f32_f16 v65, v82, v86, v65
	;;#ASMEND
	;;#ASMSTART
	v_dot2_f32_f16 v65, v83, v87, v65
	;;#ASMEND
	;;#ASMSTART
	v_dot2_f32_f16 v65, v84, v88, v65
	;;#ASMEND
	s_waitcnt lgkmcnt(7)
	;;#ASMSTART
	v_dot2_f32_f16 v78, v81, v89, v78
	;;#ASMEND
	;;#ASMSTART
	v_dot2_f32_f16 v78, v82, v90, v78
	;;#ASMEND
	;;#ASMSTART
	v_dot2_f32_f16 v78, v83, v91, v78
	;;#ASMEND
	;;#ASMSTART
	v_dot2_f32_f16 v78, v84, v92, v78
	;;#ASMEND
	;; [unrolled: 13-line block ×8, first 2 shown]
	;;#ASMSTART
	v_dot2_f32_f16 v66, v101, v85, v66
	;;#ASMEND
	;;#ASMSTART
	v_dot2_f32_f16 v66, v102, v86, v66
	;;#ASMEND
	;; [unrolled: 3-line block ×32, first 2 shown]
	s_barrier
	buffer_gl0_inv
	s_clause 0x1
	global_load_dwordx4 v[81:84], v[1:2], off offset:128
	global_load_dwordx4 v[1:4], v[3:4], off offset:128
	s_waitcnt vmcnt(1)
	ds_write_b128 v21, v[81:84]
	s_waitcnt vmcnt(0)
	ds_write_b128 v22, v[1:4]
	s_waitcnt lgkmcnt(0)
	s_barrier
	buffer_gl0_inv
	ds_read_b128 v[1:4], v23
	ds_read_b128 v[81:84], v18 offset:128
	ds_read_b128 v[85:88], v18 offset:384
	ds_read_b128 v[89:92], v18 offset:640
	ds_read_b128 v[93:96], v18 offset:896
	ds_read_b128 v[97:100], v23 offset:4608
	ds_read_b128 v[101:104], v18 offset:1152
	ds_read_b128 v[105:108], v18 offset:1408
	ds_read_b128 v[109:112], v18 offset:1664
	ds_read_b128 v[113:116], v18 offset:1920
	s_waitcnt lgkmcnt(8)
	;;#ASMSTART
	v_dot2_f32_f16 v65, v1, v81, v65
	;;#ASMEND
	;;#ASMSTART
	v_dot2_f32_f16 v65, v2, v82, v65
	;;#ASMEND
	;;#ASMSTART
	v_dot2_f32_f16 v65, v3, v83, v65
	;;#ASMEND
	;;#ASMSTART
	v_dot2_f32_f16 v65, v4, v84, v65
	;;#ASMEND
	s_waitcnt lgkmcnt(7)
	;;#ASMSTART
	v_dot2_f32_f16 v78, v1, v85, v78
	;;#ASMEND
	;;#ASMSTART
	v_dot2_f32_f16 v78, v2, v86, v78
	;;#ASMEND
	;;#ASMSTART
	v_dot2_f32_f16 v78, v3, v87, v78
	;;#ASMEND
	;;#ASMSTART
	v_dot2_f32_f16 v78, v4, v88, v78
	;;#ASMEND
	;; [unrolled: 13-line block ×8, first 2 shown]
	;;#ASMSTART
	v_dot2_f32_f16 v66, v97, v81, v66
	;;#ASMEND
	;;#ASMSTART
	v_dot2_f32_f16 v66, v98, v82, v66
	;;#ASMEND
	;;#ASMSTART
	v_dot2_f32_f16 v66, v99, v83, v66
	;;#ASMEND
	;;#ASMSTART
	v_dot2_f32_f16 v66, v100, v84, v66
	;;#ASMEND
	;;#ASMSTART
	v_dot2_f32_f16 v80, v97, v85, v80
	;;#ASMEND
	;;#ASMSTART
	v_dot2_f32_f16 v80, v98, v86, v80
	;;#ASMEND
	;;#ASMSTART
	v_dot2_f32_f16 v80, v99, v87, v80
	;;#ASMEND
	;;#ASMSTART
	v_dot2_f32_f16 v80, v100, v88, v80
	;;#ASMEND
	;;#ASMSTART
	v_dot2_f32_f16 v79, v97, v89, v79
	;;#ASMEND
	;;#ASMSTART
	v_dot2_f32_f16 v79, v98, v90, v79
	;;#ASMEND
	;;#ASMSTART
	v_dot2_f32_f16 v79, v99, v91, v79
	;;#ASMEND
	;;#ASMSTART
	v_dot2_f32_f16 v79, v100, v92, v79
	;;#ASMEND
	;;#ASMSTART
	v_dot2_f32_f16 v77, v97, v93, v77
	;;#ASMEND
	;;#ASMSTART
	v_dot2_f32_f16 v77, v98, v94, v77
	;;#ASMEND
	;;#ASMSTART
	v_dot2_f32_f16 v77, v99, v95, v77
	;;#ASMEND
	;;#ASMSTART
	v_dot2_f32_f16 v77, v100, v96, v77
	;;#ASMEND
	;;#ASMSTART
	v_dot2_f32_f16 v75, v97, v101, v75
	;;#ASMEND
	;;#ASMSTART
	v_dot2_f32_f16 v75, v98, v102, v75
	;;#ASMEND
	;;#ASMSTART
	v_dot2_f32_f16 v75, v99, v103, v75
	;;#ASMEND
	;;#ASMSTART
	v_dot2_f32_f16 v75, v100, v104, v75
	;;#ASMEND
	;;#ASMSTART
	v_dot2_f32_f16 v73, v97, v105, v73
	;;#ASMEND
	;;#ASMSTART
	v_dot2_f32_f16 v73, v98, v106, v73
	;;#ASMEND
	;;#ASMSTART
	v_dot2_f32_f16 v73, v99, v107, v73
	;;#ASMEND
	;;#ASMSTART
	v_dot2_f32_f16 v73, v100, v108, v73
	;;#ASMEND
	;;#ASMSTART
	v_dot2_f32_f16 v69, v97, v109, v69
	;;#ASMEND
	;;#ASMSTART
	v_dot2_f32_f16 v69, v98, v110, v69
	;;#ASMEND
	;;#ASMSTART
	v_dot2_f32_f16 v69, v99, v111, v69
	;;#ASMEND
	;;#ASMSTART
	v_dot2_f32_f16 v69, v100, v112, v69
	;;#ASMEND
	;;#ASMSTART
	v_dot2_f32_f16 v6, v97, v113, v6
	;;#ASMEND
	;;#ASMSTART
	v_dot2_f32_f16 v6, v98, v114, v6
	;;#ASMEND
	;;#ASMSTART
	v_dot2_f32_f16 v6, v99, v115, v6
	;;#ASMEND
	;;#ASMSTART
	v_dot2_f32_f16 v6, v100, v116, v6
	;;#ASMEND
	ds_read_b128 v[1:4], v23 offset:16
	ds_read_b128 v[81:84], v18 offset:144
	;; [unrolled: 1-line block ×10, first 2 shown]
	s_waitcnt lgkmcnt(8)
	;;#ASMSTART
	v_dot2_f32_f16 v65, v1, v81, v65
	;;#ASMEND
	;;#ASMSTART
	v_dot2_f32_f16 v65, v2, v82, v65
	;;#ASMEND
	;;#ASMSTART
	v_dot2_f32_f16 v65, v3, v83, v65
	;;#ASMEND
	;;#ASMSTART
	v_dot2_f32_f16 v65, v4, v84, v65
	;;#ASMEND
	s_waitcnt lgkmcnt(7)
	;;#ASMSTART
	v_dot2_f32_f16 v78, v1, v85, v78
	;;#ASMEND
	;;#ASMSTART
	v_dot2_f32_f16 v78, v2, v86, v78
	;;#ASMEND
	;;#ASMSTART
	v_dot2_f32_f16 v78, v3, v87, v78
	;;#ASMEND
	;;#ASMSTART
	v_dot2_f32_f16 v78, v4, v88, v78
	;;#ASMEND
	;; [unrolled: 13-line block ×8, first 2 shown]
	;;#ASMSTART
	v_dot2_f32_f16 v66, v97, v81, v66
	;;#ASMEND
	;;#ASMSTART
	v_dot2_f32_f16 v66, v98, v82, v66
	;;#ASMEND
	;; [unrolled: 3-line block ×32, first 2 shown]
	ds_read_b128 v[1:4], v23 offset:32
	ds_read_b128 v[81:84], v18 offset:160
	ds_read_b128 v[85:88], v18 offset:416
	ds_read_b128 v[89:92], v18 offset:672
	ds_read_b128 v[93:96], v18 offset:928
	ds_read_b128 v[97:100], v23 offset:4640
	ds_read_b128 v[101:104], v18 offset:1184
	ds_read_b128 v[105:108], v18 offset:1440
	ds_read_b128 v[109:112], v18 offset:1696
	ds_read_b128 v[113:116], v18 offset:1952
	s_waitcnt lgkmcnt(8)
	;;#ASMSTART
	v_dot2_f32_f16 v65, v1, v81, v65
	;;#ASMEND
	;;#ASMSTART
	v_dot2_f32_f16 v65, v2, v82, v65
	;;#ASMEND
	;;#ASMSTART
	v_dot2_f32_f16 v65, v3, v83, v65
	;;#ASMEND
	;;#ASMSTART
	v_dot2_f32_f16 v65, v4, v84, v65
	;;#ASMEND
	s_waitcnt lgkmcnt(7)
	;;#ASMSTART
	v_dot2_f32_f16 v78, v1, v85, v78
	;;#ASMEND
	;;#ASMSTART
	v_dot2_f32_f16 v78, v2, v86, v78
	;;#ASMEND
	;;#ASMSTART
	v_dot2_f32_f16 v78, v3, v87, v78
	;;#ASMEND
	;;#ASMSTART
	v_dot2_f32_f16 v78, v4, v88, v78
	;;#ASMEND
	;; [unrolled: 13-line block ×8, first 2 shown]
	;;#ASMSTART
	v_dot2_f32_f16 v66, v97, v81, v66
	;;#ASMEND
	;;#ASMSTART
	v_dot2_f32_f16 v66, v98, v82, v66
	;;#ASMEND
	;; [unrolled: 3-line block ×32, first 2 shown]
	ds_read_b128 v[1:4], v23 offset:48
	ds_read_b128 v[81:84], v18 offset:176
	;; [unrolled: 1-line block ×10, first 2 shown]
	s_waitcnt lgkmcnt(8)
	;;#ASMSTART
	v_dot2_f32_f16 v65, v1, v81, v65
	;;#ASMEND
	;;#ASMSTART
	v_dot2_f32_f16 v65, v2, v82, v65
	;;#ASMEND
	;;#ASMSTART
	v_dot2_f32_f16 v65, v3, v83, v65
	;;#ASMEND
	;;#ASMSTART
	v_dot2_f32_f16 v65, v4, v84, v65
	;;#ASMEND
	s_waitcnt lgkmcnt(7)
	;;#ASMSTART
	v_dot2_f32_f16 v78, v1, v85, v78
	;;#ASMEND
	;;#ASMSTART
	v_dot2_f32_f16 v78, v2, v86, v78
	;;#ASMEND
	;;#ASMSTART
	v_dot2_f32_f16 v78, v3, v87, v78
	;;#ASMEND
	;;#ASMSTART
	v_dot2_f32_f16 v78, v4, v88, v78
	;;#ASMEND
	s_waitcnt lgkmcnt(6)
	;;#ASMSTART
	v_dot2_f32_f16 v76, v1, v89, v76
	;;#ASMEND
	;;#ASMSTART
	v_dot2_f32_f16 v76, v2, v90, v76
	;;#ASMEND
	;;#ASMSTART
	v_dot2_f32_f16 v76, v3, v91, v76
	;;#ASMEND
	;;#ASMSTART
	v_dot2_f32_f16 v76, v4, v92, v76
	;;#ASMEND
	s_waitcnt lgkmcnt(5)
	;;#ASMSTART
	v_dot2_f32_f16 v74, v1, v93, v74
	;;#ASMEND
	;;#ASMSTART
	v_dot2_f32_f16 v74, v2, v94, v74
	;;#ASMEND
	;;#ASMSTART
	v_dot2_f32_f16 v74, v3, v95, v74
	;;#ASMEND
	;;#ASMSTART
	v_dot2_f32_f16 v74, v4, v96, v74
	;;#ASMEND
	s_waitcnt lgkmcnt(3)
	;;#ASMSTART
	v_dot2_f32_f16 v72, v1, v101, v72
	;;#ASMEND
	;;#ASMSTART
	v_dot2_f32_f16 v72, v2, v102, v72
	;;#ASMEND
	;;#ASMSTART
	v_dot2_f32_f16 v72, v3, v103, v72
	;;#ASMEND
	;;#ASMSTART
	v_dot2_f32_f16 v72, v4, v104, v72
	;;#ASMEND
	s_waitcnt lgkmcnt(2)
	;;#ASMSTART
	v_dot2_f32_f16 v71, v1, v105, v71
	;;#ASMEND
	;;#ASMSTART
	v_dot2_f32_f16 v71, v2, v106, v71
	;;#ASMEND
	;;#ASMSTART
	v_dot2_f32_f16 v71, v3, v107, v71
	;;#ASMEND
	;;#ASMSTART
	v_dot2_f32_f16 v71, v4, v108, v71
	;;#ASMEND
	s_waitcnt lgkmcnt(1)
	;;#ASMSTART
	v_dot2_f32_f16 v7, v1, v109, v7
	;;#ASMEND
	;;#ASMSTART
	v_dot2_f32_f16 v7, v2, v110, v7
	;;#ASMEND
	;;#ASMSTART
	v_dot2_f32_f16 v7, v3, v111, v7
	;;#ASMEND
	;;#ASMSTART
	v_dot2_f32_f16 v7, v4, v112, v7
	;;#ASMEND
	s_waitcnt lgkmcnt(0)
	;;#ASMSTART
	v_dot2_f32_f16 v5, v1, v113, v5
	;;#ASMEND
	;;#ASMSTART
	v_dot2_f32_f16 v5, v2, v114, v5
	;;#ASMEND
	;;#ASMSTART
	v_dot2_f32_f16 v5, v3, v115, v5
	;;#ASMEND
	;;#ASMSTART
	v_dot2_f32_f16 v5, v4, v116, v5
	;;#ASMEND
	;;#ASMSTART
	v_dot2_f32_f16 v66, v97, v81, v66
	;;#ASMEND
	;;#ASMSTART
	v_dot2_f32_f16 v66, v98, v82, v66
	;;#ASMEND
	;; [unrolled: 3-line block ×32, first 2 shown]
	ds_read_b128 v[1:4], v23 offset:64
	ds_read_b128 v[81:84], v18 offset:192
	;; [unrolled: 1-line block ×10, first 2 shown]
	s_waitcnt lgkmcnt(8)
	;;#ASMSTART
	v_dot2_f32_f16 v65, v1, v81, v65
	;;#ASMEND
	;;#ASMSTART
	v_dot2_f32_f16 v65, v2, v82, v65
	;;#ASMEND
	;;#ASMSTART
	v_dot2_f32_f16 v65, v3, v83, v65
	;;#ASMEND
	;;#ASMSTART
	v_dot2_f32_f16 v65, v4, v84, v65
	;;#ASMEND
	s_waitcnt lgkmcnt(7)
	;;#ASMSTART
	v_dot2_f32_f16 v78, v1, v85, v78
	;;#ASMEND
	;;#ASMSTART
	v_dot2_f32_f16 v78, v2, v86, v78
	;;#ASMEND
	;;#ASMSTART
	v_dot2_f32_f16 v78, v3, v87, v78
	;;#ASMEND
	;;#ASMSTART
	v_dot2_f32_f16 v78, v4, v88, v78
	;;#ASMEND
	;; [unrolled: 13-line block ×8, first 2 shown]
	;;#ASMSTART
	v_dot2_f32_f16 v66, v97, v81, v66
	;;#ASMEND
	;;#ASMSTART
	v_dot2_f32_f16 v66, v98, v82, v66
	;;#ASMEND
	;;#ASMSTART
	v_dot2_f32_f16 v66, v99, v83, v66
	;;#ASMEND
	;;#ASMSTART
	v_dot2_f32_f16 v66, v100, v84, v66
	;;#ASMEND
	;;#ASMSTART
	v_dot2_f32_f16 v80, v97, v85, v80
	;;#ASMEND
	;;#ASMSTART
	v_dot2_f32_f16 v80, v98, v86, v80
	;;#ASMEND
	;;#ASMSTART
	v_dot2_f32_f16 v80, v99, v87, v80
	;;#ASMEND
	;;#ASMSTART
	v_dot2_f32_f16 v80, v100, v88, v80
	;;#ASMEND
	;;#ASMSTART
	v_dot2_f32_f16 v79, v97, v89, v79
	;;#ASMEND
	;;#ASMSTART
	v_dot2_f32_f16 v79, v98, v90, v79
	;;#ASMEND
	;;#ASMSTART
	v_dot2_f32_f16 v79, v99, v91, v79
	;;#ASMEND
	;;#ASMSTART
	v_dot2_f32_f16 v79, v100, v92, v79
	;;#ASMEND
	;;#ASMSTART
	v_dot2_f32_f16 v77, v97, v93, v77
	;;#ASMEND
	;;#ASMSTART
	v_dot2_f32_f16 v77, v98, v94, v77
	;;#ASMEND
	;;#ASMSTART
	v_dot2_f32_f16 v77, v99, v95, v77
	;;#ASMEND
	;;#ASMSTART
	v_dot2_f32_f16 v77, v100, v96, v77
	;;#ASMEND
	;;#ASMSTART
	v_dot2_f32_f16 v75, v97, v101, v75
	;;#ASMEND
	;;#ASMSTART
	v_dot2_f32_f16 v75, v98, v102, v75
	;;#ASMEND
	;;#ASMSTART
	v_dot2_f32_f16 v75, v99, v103, v75
	;;#ASMEND
	;;#ASMSTART
	v_dot2_f32_f16 v75, v100, v104, v75
	;;#ASMEND
	;;#ASMSTART
	v_dot2_f32_f16 v73, v97, v105, v73
	;;#ASMEND
	;;#ASMSTART
	v_dot2_f32_f16 v73, v98, v106, v73
	;;#ASMEND
	;;#ASMSTART
	v_dot2_f32_f16 v73, v99, v107, v73
	;;#ASMEND
	;;#ASMSTART
	v_dot2_f32_f16 v73, v100, v108, v73
	;;#ASMEND
	;;#ASMSTART
	v_dot2_f32_f16 v69, v97, v109, v69
	;;#ASMEND
	;;#ASMSTART
	v_dot2_f32_f16 v69, v98, v110, v69
	;;#ASMEND
	;;#ASMSTART
	v_dot2_f32_f16 v69, v99, v111, v69
	;;#ASMEND
	;;#ASMSTART
	v_dot2_f32_f16 v69, v100, v112, v69
	;;#ASMEND
	;;#ASMSTART
	v_dot2_f32_f16 v6, v97, v113, v6
	;;#ASMEND
	;;#ASMSTART
	v_dot2_f32_f16 v6, v98, v114, v6
	;;#ASMEND
	;;#ASMSTART
	v_dot2_f32_f16 v6, v99, v115, v6
	;;#ASMEND
	;;#ASMSTART
	v_dot2_f32_f16 v6, v100, v116, v6
	;;#ASMEND
	ds_read_b128 v[1:4], v23 offset:80
	ds_read_b128 v[81:84], v18 offset:208
	;; [unrolled: 1-line block ×10, first 2 shown]
	s_waitcnt lgkmcnt(8)
	;;#ASMSTART
	v_dot2_f32_f16 v65, v1, v81, v65
	;;#ASMEND
	;;#ASMSTART
	v_dot2_f32_f16 v65, v2, v82, v65
	;;#ASMEND
	;;#ASMSTART
	v_dot2_f32_f16 v65, v3, v83, v65
	;;#ASMEND
	;;#ASMSTART
	v_dot2_f32_f16 v65, v4, v84, v65
	;;#ASMEND
	s_waitcnt lgkmcnt(7)
	;;#ASMSTART
	v_dot2_f32_f16 v78, v1, v85, v78
	;;#ASMEND
	;;#ASMSTART
	v_dot2_f32_f16 v78, v2, v86, v78
	;;#ASMEND
	;;#ASMSTART
	v_dot2_f32_f16 v78, v3, v87, v78
	;;#ASMEND
	;;#ASMSTART
	v_dot2_f32_f16 v78, v4, v88, v78
	;;#ASMEND
	;; [unrolled: 13-line block ×8, first 2 shown]
	;;#ASMSTART
	v_dot2_f32_f16 v66, v97, v81, v66
	;;#ASMEND
	;;#ASMSTART
	v_dot2_f32_f16 v66, v98, v82, v66
	;;#ASMEND
	;;#ASMSTART
	v_dot2_f32_f16 v66, v99, v83, v66
	;;#ASMEND
	;;#ASMSTART
	v_dot2_f32_f16 v66, v100, v84, v66
	;;#ASMEND
	;;#ASMSTART
	v_dot2_f32_f16 v80, v97, v85, v80
	;;#ASMEND
	;;#ASMSTART
	v_dot2_f32_f16 v80, v98, v86, v80
	;;#ASMEND
	;;#ASMSTART
	v_dot2_f32_f16 v80, v99, v87, v80
	;;#ASMEND
	;;#ASMSTART
	v_dot2_f32_f16 v80, v100, v88, v80
	;;#ASMEND
	;;#ASMSTART
	v_dot2_f32_f16 v79, v97, v89, v79
	;;#ASMEND
	;;#ASMSTART
	v_dot2_f32_f16 v79, v98, v90, v79
	;;#ASMEND
	;;#ASMSTART
	v_dot2_f32_f16 v79, v99, v91, v79
	;;#ASMEND
	;;#ASMSTART
	v_dot2_f32_f16 v79, v100, v92, v79
	;;#ASMEND
	;;#ASMSTART
	v_dot2_f32_f16 v77, v97, v93, v77
	;;#ASMEND
	;;#ASMSTART
	v_dot2_f32_f16 v77, v98, v94, v77
	;;#ASMEND
	;;#ASMSTART
	v_dot2_f32_f16 v77, v99, v95, v77
	;;#ASMEND
	;;#ASMSTART
	v_dot2_f32_f16 v77, v100, v96, v77
	;;#ASMEND
	;;#ASMSTART
	v_dot2_f32_f16 v75, v97, v101, v75
	;;#ASMEND
	;;#ASMSTART
	v_dot2_f32_f16 v75, v98, v102, v75
	;;#ASMEND
	;;#ASMSTART
	v_dot2_f32_f16 v75, v99, v103, v75
	;;#ASMEND
	;;#ASMSTART
	v_dot2_f32_f16 v75, v100, v104, v75
	;;#ASMEND
	;;#ASMSTART
	v_dot2_f32_f16 v73, v97, v105, v73
	;;#ASMEND
	;;#ASMSTART
	v_dot2_f32_f16 v73, v98, v106, v73
	;;#ASMEND
	;;#ASMSTART
	v_dot2_f32_f16 v73, v99, v107, v73
	;;#ASMEND
	;;#ASMSTART
	v_dot2_f32_f16 v73, v100, v108, v73
	;;#ASMEND
	;;#ASMSTART
	v_dot2_f32_f16 v69, v97, v109, v69
	;;#ASMEND
	;;#ASMSTART
	v_dot2_f32_f16 v69, v98, v110, v69
	;;#ASMEND
	;;#ASMSTART
	v_dot2_f32_f16 v69, v99, v111, v69
	;;#ASMEND
	;;#ASMSTART
	v_dot2_f32_f16 v69, v100, v112, v69
	;;#ASMEND
	;;#ASMSTART
	v_dot2_f32_f16 v6, v97, v113, v6
	;;#ASMEND
	;;#ASMSTART
	v_dot2_f32_f16 v6, v98, v114, v6
	;;#ASMEND
	;;#ASMSTART
	v_dot2_f32_f16 v6, v99, v115, v6
	;;#ASMEND
	;;#ASMSTART
	v_dot2_f32_f16 v6, v100, v116, v6
	;;#ASMEND
	ds_read_b128 v[1:4], v23 offset:96
	ds_read_b128 v[81:84], v18 offset:224
	;; [unrolled: 1-line block ×10, first 2 shown]
	s_waitcnt lgkmcnt(8)
	;;#ASMSTART
	v_dot2_f32_f16 v65, v1, v81, v65
	;;#ASMEND
	;;#ASMSTART
	v_dot2_f32_f16 v65, v2, v82, v65
	;;#ASMEND
	;;#ASMSTART
	v_dot2_f32_f16 v65, v3, v83, v65
	;;#ASMEND
	;;#ASMSTART
	v_dot2_f32_f16 v65, v4, v84, v65
	;;#ASMEND
	s_waitcnt lgkmcnt(7)
	;;#ASMSTART
	v_dot2_f32_f16 v78, v1, v85, v78
	;;#ASMEND
	;;#ASMSTART
	v_dot2_f32_f16 v78, v2, v86, v78
	;;#ASMEND
	;;#ASMSTART
	v_dot2_f32_f16 v78, v3, v87, v78
	;;#ASMEND
	;;#ASMSTART
	v_dot2_f32_f16 v78, v4, v88, v78
	;;#ASMEND
	s_waitcnt lgkmcnt(6)
	;;#ASMSTART
	v_dot2_f32_f16 v76, v1, v89, v76
	;;#ASMEND
	;;#ASMSTART
	v_dot2_f32_f16 v76, v2, v90, v76
	;;#ASMEND
	;;#ASMSTART
	v_dot2_f32_f16 v76, v3, v91, v76
	;;#ASMEND
	;;#ASMSTART
	v_dot2_f32_f16 v76, v4, v92, v76
	;;#ASMEND
	s_waitcnt lgkmcnt(5)
	;;#ASMSTART
	v_dot2_f32_f16 v74, v1, v93, v74
	;;#ASMEND
	;;#ASMSTART
	v_dot2_f32_f16 v74, v2, v94, v74
	;;#ASMEND
	;;#ASMSTART
	v_dot2_f32_f16 v74, v3, v95, v74
	;;#ASMEND
	;;#ASMSTART
	v_dot2_f32_f16 v74, v4, v96, v74
	;;#ASMEND
	s_waitcnt lgkmcnt(3)
	;;#ASMSTART
	v_dot2_f32_f16 v72, v1, v101, v72
	;;#ASMEND
	;;#ASMSTART
	v_dot2_f32_f16 v72, v2, v102, v72
	;;#ASMEND
	;;#ASMSTART
	v_dot2_f32_f16 v72, v3, v103, v72
	;;#ASMEND
	;;#ASMSTART
	v_dot2_f32_f16 v72, v4, v104, v72
	;;#ASMEND
	s_waitcnt lgkmcnt(2)
	;;#ASMSTART
	v_dot2_f32_f16 v71, v1, v105, v71
	;;#ASMEND
	;;#ASMSTART
	v_dot2_f32_f16 v71, v2, v106, v71
	;;#ASMEND
	;;#ASMSTART
	v_dot2_f32_f16 v71, v3, v107, v71
	;;#ASMEND
	;;#ASMSTART
	v_dot2_f32_f16 v71, v4, v108, v71
	;;#ASMEND
	s_waitcnt lgkmcnt(1)
	;;#ASMSTART
	v_dot2_f32_f16 v7, v1, v109, v7
	;;#ASMEND
	;;#ASMSTART
	v_dot2_f32_f16 v7, v2, v110, v7
	;;#ASMEND
	;;#ASMSTART
	v_dot2_f32_f16 v7, v3, v111, v7
	;;#ASMEND
	;;#ASMSTART
	v_dot2_f32_f16 v7, v4, v112, v7
	;;#ASMEND
	s_waitcnt lgkmcnt(0)
	;;#ASMSTART
	v_dot2_f32_f16 v5, v1, v113, v5
	;;#ASMEND
	;;#ASMSTART
	v_dot2_f32_f16 v5, v2, v114, v5
	;;#ASMEND
	;;#ASMSTART
	v_dot2_f32_f16 v5, v3, v115, v5
	;;#ASMEND
	;;#ASMSTART
	v_dot2_f32_f16 v5, v4, v116, v5
	;;#ASMEND
	;;#ASMSTART
	v_dot2_f32_f16 v66, v97, v81, v66
	;;#ASMEND
	;;#ASMSTART
	v_dot2_f32_f16 v66, v98, v82, v66
	;;#ASMEND
	;; [unrolled: 3-line block ×32, first 2 shown]
	ds_read_b128 v[1:4], v23 offset:112
	ds_read_b128 v[81:84], v18 offset:240
	;; [unrolled: 1-line block ×10, first 2 shown]
	s_waitcnt lgkmcnt(8)
	;;#ASMSTART
	v_dot2_f32_f16 v65, v1, v81, v65
	;;#ASMEND
	;;#ASMSTART
	v_dot2_f32_f16 v65, v2, v82, v65
	;;#ASMEND
	;;#ASMSTART
	v_dot2_f32_f16 v65, v3, v83, v65
	;;#ASMEND
	;;#ASMSTART
	v_dot2_f32_f16 v65, v4, v84, v65
	;;#ASMEND
	s_waitcnt lgkmcnt(7)
	;;#ASMSTART
	v_dot2_f32_f16 v78, v1, v85, v78
	;;#ASMEND
	;;#ASMSTART
	v_dot2_f32_f16 v78, v2, v86, v78
	;;#ASMEND
	;;#ASMSTART
	v_dot2_f32_f16 v78, v3, v87, v78
	;;#ASMEND
	;;#ASMSTART
	v_dot2_f32_f16 v78, v4, v88, v78
	;;#ASMEND
	;; [unrolled: 13-line block ×8, first 2 shown]
	;;#ASMSTART
	v_dot2_f32_f16 v66, v97, v81, v66
	;;#ASMEND
	;;#ASMSTART
	v_dot2_f32_f16 v66, v98, v82, v66
	;;#ASMEND
	;; [unrolled: 3-line block ×25, first 2 shown]
	v_cmp_ngt_f32_e64 s18, 0x3f200000, |v65|
	;;#ASMSTART
	v_dot2_f32_f16 v69, v98, v110, v69
	;;#ASMEND
	;;#ASMSTART
	v_dot2_f32_f16 v69, v99, v111, v69
	;;#ASMEND
	;;#ASMSTART
	v_dot2_f32_f16 v69, v100, v112, v69
	;;#ASMEND
	;;#ASMSTART
	v_dot2_f32_f16 v6, v97, v113, v6
	;;#ASMEND
	;;#ASMSTART
	v_dot2_f32_f16 v6, v98, v114, v6
	;;#ASMEND
	;;#ASMSTART
	v_dot2_f32_f16 v6, v99, v115, v6
	;;#ASMEND
	;;#ASMSTART
	v_dot2_f32_f16 v6, v100, v116, v6
	;;#ASMEND
                                        ; implicit-def: $vgpr3
	s_and_saveexec_b32 s19, s18
	s_xor_b32 s18, exec_lo, s19
	s_cbranch_execz .LBB71_11
; %bb.10:                               ;   in Loop: Header=BB71_9 Depth=1
	v_add_f32_e64 v1, |v65|, |v65|
	v_mul_f32_e32 v2, 0x3fb8aa3b, v1
	v_cmp_ngt_f32_e32 vcc_lo, 0xc2ce8ed0, v1
	v_rndne_f32_e32 v3, v2
	v_fma_f32 v4, 0x3fb8aa3b, v1, -v2
	v_sub_f32_e32 v2, v2, v3
	v_fmac_f32_e32 v4, 0x32a5705f, v1
	v_cvt_i32_f32_e32 v3, v3
	v_add_f32_e32 v2, v2, v4
	v_exp_f32_e32 v2, v2
	v_ldexp_f32 v2, v2, v3
	v_cndmask_b32_e32 v2, 0, v2, vcc_lo
	v_cmp_nlt_f32_e32 vcc_lo, 0x42b17218, v1
	v_cndmask_b32_e32 v1, 0x7f800000, v2, vcc_lo
	v_add_f32_e32 v1, 1.0, v1
	v_rcp_f32_e32 v1, v1
	v_fma_f32 v3, v1, -2.0, 1.0
.LBB71_11:                              ;   in Loop: Header=BB71_9 Depth=1
	s_andn2_saveexec_b32 s18, s18
	s_cbranch_execz .LBB71_13
; %bb.12:                               ;   in Loop: Header=BB71_9 Depth=1
	v_mul_f32_e32 v1, v65, v65
	v_fmaak_f32 v2, s15, v1, 0x3ca908c9
	v_fmaak_f32 v2, v1, v2, 0xbd5c1c4e
	;; [unrolled: 1-line block ×4, first 2 shown]
	v_mul_f32_e64 v2, |v65|, v2
	v_fma_f32 v3, v1, v2, |v65|
.LBB71_13:                              ;   in Loop: Header=BB71_9 Depth=1
	s_or_b32 exec_lo, exec_lo, s18
	v_add_nc_u32_e32 v1, s6, v9
	v_cmp_ngt_f32_e64 s18, 0x3f200000, |v66|
                                        ; implicit-def: $vgpr67
	v_ashrrev_i32_e32 v2, 31, v1
	v_lshlrev_b64 v[1:2], 1, v[1:2]
	v_add_co_u32 v1, vcc_lo, s36, v1
	v_add_co_ci_u32_e64 v2, null, s37, v2, vcc_lo
	global_load_ushort v4, v[1:2], off
	s_and_saveexec_b32 s19, s18
	s_xor_b32 s18, exec_lo, s19
	s_cbranch_execz .LBB71_15
; %bb.14:                               ;   in Loop: Header=BB71_9 Depth=1
	v_add_f32_e64 v67, |v66|, |v66|
	v_mul_f32_e32 v68, 0x3fb8aa3b, v67
	v_cmp_ngt_f32_e32 vcc_lo, 0xc2ce8ed0, v67
	v_rndne_f32_e32 v70, v68
	v_fma_f32 v81, 0x3fb8aa3b, v67, -v68
	v_sub_f32_e32 v68, v68, v70
	v_fmac_f32_e32 v81, 0x32a5705f, v67
	v_cvt_i32_f32_e32 v70, v70
	v_add_f32_e32 v68, v68, v81
	v_exp_f32_e32 v68, v68
	v_ldexp_f32 v68, v68, v70
	v_cndmask_b32_e32 v68, 0, v68, vcc_lo
	v_cmp_nlt_f32_e32 vcc_lo, 0x42b17218, v67
	v_cndmask_b32_e32 v67, 0x7f800000, v68, vcc_lo
	v_add_f32_e32 v67, 1.0, v67
	v_rcp_f32_e32 v67, v67
	v_fma_f32 v67, v67, -2.0, 1.0
.LBB71_15:                              ;   in Loop: Header=BB71_9 Depth=1
	s_andn2_saveexec_b32 s18, s18
	s_cbranch_execz .LBB71_17
; %bb.16:                               ;   in Loop: Header=BB71_9 Depth=1
	v_mul_f32_e32 v67, v66, v66
	v_fmaak_f32 v68, s15, v67, 0x3ca908c9
	v_fmaak_f32 v68, v67, v68, 0xbd5c1c4e
	;; [unrolled: 1-line block ×4, first 2 shown]
	v_mul_f32_e64 v68, |v66|, v68
	v_fma_f32 v67, v67, v68, |v66|
.LBB71_17:                              ;   in Loop: Header=BB71_9 Depth=1
	s_or_b32 exec_lo, exec_lo, s18
	global_load_ushort v81, v[1:2], off offset:64
	v_bfi_b32 v1, 0x7fffffff, v3, v65
	v_bfi_b32 v2, 0x7fffffff, v67, v66
	v_xor_b32_e32 v70, 16, v20
	v_xor_b32_e32 v68, 8, v20
	;; [unrolled: 1-line block ×3, first 2 shown]
	s_waitcnt vmcnt(1)
	v_fma_mix_f32 v86, s10, v1, v4 op_sel_hi:[0,0,1]
	v_xor_b32_e32 v66, 2, v20
	v_cmp_gt_i32_e32 vcc_lo, 32, v70
	v_cmp_ngt_f32_e64 s18, 0x3f200000, |v78|
                                        ; implicit-def: $vgpr89
	v_cndmask_b32_e32 v1, v20, v70, vcc_lo
	v_cmp_gt_i32_e32 vcc_lo, 32, v68
	v_lshlrev_b32_e32 v1, 2, v1
	v_cndmask_b32_e32 v65, v20, v68, vcc_lo
	v_cmp_gt_i32_e32 vcc_lo, 32, v67
	v_lshlrev_b32_e32 v88, 2, v65
	;; [unrolled: 3-line block ×3, first 2 shown]
	v_cndmask_b32_e32 v65, v20, v66, vcc_lo
	v_lshlrev_b32_e32 v84, 2, v65
	v_xor_b32_e32 v65, 1, v20
	v_cmp_gt_i32_e32 vcc_lo, 32, v65
	v_cndmask_b32_e32 v82, v20, v65, vcc_lo
	v_lshlrev_b32_e32 v83, 2, v82
	s_waitcnt vmcnt(0)
	v_fma_mix_f32 v87, s10, v2, v81 op_sel_hi:[0,0,1]
	v_add_f32_e32 v2, 0x40051340, v86
	v_add_f32_e32 v3, 0x40051340, v87
	v_max3_f32 v2, v63, v2, v3
	ds_bpermute_b32 v3, v1, v2
	s_waitcnt lgkmcnt(0)
	v_max_f32_e32 v3, v3, v3
	v_max_f32_e32 v2, v2, v3
	ds_bpermute_b32 v3, v88, v2
	s_waitcnt lgkmcnt(0)
	v_max_f32_e32 v3, v3, v3
	v_max_f32_e32 v2, v2, v3
	ds_bpermute_b32 v3, v85, v2
	s_waitcnt lgkmcnt(0)
	v_max_f32_e32 v3, v3, v3
	v_max_f32_e32 v2, v2, v3
	ds_bpermute_b32 v3, v84, v2
	s_waitcnt lgkmcnt(0)
	v_max_f32_e32 v3, v3, v3
	v_max_f32_e32 v2, v2, v3
	ds_bpermute_b32 v3, v83, v2
	s_and_saveexec_b32 s19, s18
	s_xor_b32 s18, exec_lo, s19
	s_cbranch_execz .LBB71_19
; %bb.18:                               ;   in Loop: Header=BB71_9 Depth=1
	v_add_f32_e64 v82, |v78|, |v78|
	v_mul_f32_e32 v89, 0x3fb8aa3b, v82
	v_cmp_ngt_f32_e32 vcc_lo, 0xc2ce8ed0, v82
	v_rndne_f32_e32 v90, v89
	v_fma_f32 v91, 0x3fb8aa3b, v82, -v89
	v_sub_f32_e32 v89, v89, v90
	v_fmac_f32_e32 v91, 0x32a5705f, v82
	v_cvt_i32_f32_e32 v90, v90
	v_add_f32_e32 v89, v89, v91
	v_exp_f32_e32 v89, v89
	v_ldexp_f32 v89, v89, v90
	v_cndmask_b32_e32 v89, 0, v89, vcc_lo
	v_cmp_nlt_f32_e32 vcc_lo, 0x42b17218, v82
	v_cndmask_b32_e32 v82, 0x7f800000, v89, vcc_lo
	v_add_f32_e32 v82, 1.0, v82
	v_rcp_f32_e32 v82, v82
	v_fma_f32 v89, v82, -2.0, 1.0
.LBB71_19:                              ;   in Loop: Header=BB71_9 Depth=1
	s_andn2_saveexec_b32 s18, s18
	s_cbranch_execz .LBB71_21
; %bb.20:                               ;   in Loop: Header=BB71_9 Depth=1
	v_mul_f32_e32 v82, v78, v78
	v_fmaak_f32 v89, s15, v82, 0x3ca908c9
	v_fmaak_f32 v89, v82, v89, 0xbd5c1c4e
	;; [unrolled: 1-line block ×4, first 2 shown]
	v_mul_f32_e64 v89, |v78|, v89
	v_fma_f32 v89, v82, v89, |v78|
.LBB71_21:                              ;   in Loop: Header=BB71_9 Depth=1
	s_or_b32 exec_lo, exec_lo, s18
	v_cmp_ngt_f32_e64 s18, 0x3f200000, |v80|
                                        ; implicit-def: $vgpr90
	s_and_saveexec_b32 s19, s18
	s_xor_b32 s18, exec_lo, s19
	s_cbranch_execz .LBB71_23
; %bb.22:                               ;   in Loop: Header=BB71_9 Depth=1
	v_add_f32_e64 v82, |v80|, |v80|
	v_mul_f32_e32 v90, 0x3fb8aa3b, v82
	v_cmp_ngt_f32_e32 vcc_lo, 0xc2ce8ed0, v82
	v_rndne_f32_e32 v91, v90
	v_fma_f32 v92, 0x3fb8aa3b, v82, -v90
	v_sub_f32_e32 v90, v90, v91
	v_fmac_f32_e32 v92, 0x32a5705f, v82
	v_cvt_i32_f32_e32 v91, v91
	v_add_f32_e32 v90, v90, v92
	v_exp_f32_e32 v90, v90
	v_ldexp_f32 v90, v90, v91
	v_cndmask_b32_e32 v90, 0, v90, vcc_lo
	v_cmp_nlt_f32_e32 vcc_lo, 0x42b17218, v82
	v_cndmask_b32_e32 v82, 0x7f800000, v90, vcc_lo
	v_add_f32_e32 v82, 1.0, v82
	v_rcp_f32_e32 v82, v82
	v_fma_f32 v90, v82, -2.0, 1.0
.LBB71_23:                              ;   in Loop: Header=BB71_9 Depth=1
	s_andn2_saveexec_b32 s18, s18
	s_cbranch_execz .LBB71_25
; %bb.24:                               ;   in Loop: Header=BB71_9 Depth=1
	v_mul_f32_e32 v82, v80, v80
	v_fmaak_f32 v90, s15, v82, 0x3ca908c9
	v_fmaak_f32 v90, v82, v90, 0xbd5c1c4e
	;; [unrolled: 1-line block ×4, first 2 shown]
	v_mul_f32_e64 v90, |v80|, v90
	v_fma_f32 v90, v82, v90, |v80|
.LBB71_25:                              ;   in Loop: Header=BB71_9 Depth=1
	s_or_b32 exec_lo, exec_lo, s18
	v_cvt_f32_f16_e32 v82, v4
	v_cvt_f32_f16_e32 v81, v81
	v_bfi_b32 v4, 0x7fffffff, v89, v78
	v_bfi_b32 v80, 0x7fffffff, v90, v80
	v_cmp_ngt_f32_e64 s18, 0x3f200000, |v76|
	v_fma_f32 v78, s10, v4, v82
	v_fma_f32 v80, s10, v80, v81
	v_add_f32_e32 v4, 0x40051340, v78
	v_add_f32_e32 v89, 0x40051340, v80
	v_max3_f32 v4, v64, v4, v89
	ds_bpermute_b32 v89, v1, v4
	s_waitcnt lgkmcnt(0)
	v_max_f32_e32 v89, v89, v89
	v_max_f32_e32 v4, v4, v89
	ds_bpermute_b32 v89, v88, v4
	s_waitcnt lgkmcnt(0)
	v_max_f32_e32 v89, v89, v89
	v_max_f32_e32 v4, v4, v89
	;; [unrolled: 4-line block ×4, first 2 shown]
                                        ; implicit-def: $vgpr89
	ds_bpermute_b32 v94, v83, v4
	s_and_saveexec_b32 s19, s18
	s_xor_b32 s18, exec_lo, s19
	s_cbranch_execz .LBB71_27
; %bb.26:                               ;   in Loop: Header=BB71_9 Depth=1
	v_add_f32_e64 v89, |v76|, |v76|
	v_mul_f32_e32 v90, 0x3fb8aa3b, v89
	v_cmp_ngt_f32_e32 vcc_lo, 0xc2ce8ed0, v89
	v_rndne_f32_e32 v91, v90
	v_fma_f32 v92, 0x3fb8aa3b, v89, -v90
	v_sub_f32_e32 v90, v90, v91
	v_fmac_f32_e32 v92, 0x32a5705f, v89
	v_cvt_i32_f32_e32 v91, v91
	v_add_f32_e32 v90, v90, v92
	v_exp_f32_e32 v90, v90
	v_ldexp_f32 v90, v90, v91
	v_cndmask_b32_e32 v90, 0, v90, vcc_lo
	v_cmp_nlt_f32_e32 vcc_lo, 0x42b17218, v89
	v_cndmask_b32_e32 v89, 0x7f800000, v90, vcc_lo
	v_add_f32_e32 v89, 1.0, v89
	v_rcp_f32_e32 v89, v89
	v_fma_f32 v89, v89, -2.0, 1.0
.LBB71_27:                              ;   in Loop: Header=BB71_9 Depth=1
	s_andn2_saveexec_b32 s18, s18
	s_cbranch_execz .LBB71_29
; %bb.28:                               ;   in Loop: Header=BB71_9 Depth=1
	v_mul_f32_e32 v89, v76, v76
	v_fmaak_f32 v90, s15, v89, 0x3ca908c9
	v_fmaak_f32 v90, v89, v90, 0xbd5c1c4e
	;; [unrolled: 1-line block ×4, first 2 shown]
	v_mul_f32_e64 v90, |v76|, v90
	v_fma_f32 v89, v89, v90, |v76|
.LBB71_29:                              ;   in Loop: Header=BB71_9 Depth=1
	s_or_b32 exec_lo, exec_lo, s18
	v_cmp_ngt_f32_e64 s18, 0x3f200000, |v79|
                                        ; implicit-def: $vgpr90
	s_and_saveexec_b32 s19, s18
	s_xor_b32 s18, exec_lo, s19
	s_cbranch_execz .LBB71_31
; %bb.30:                               ;   in Loop: Header=BB71_9 Depth=1
	v_add_f32_e64 v90, |v79|, |v79|
	v_mul_f32_e32 v91, 0x3fb8aa3b, v90
	v_cmp_ngt_f32_e32 vcc_lo, 0xc2ce8ed0, v90
	v_rndne_f32_e32 v92, v91
	v_fma_f32 v93, 0x3fb8aa3b, v90, -v91
	v_sub_f32_e32 v91, v91, v92
	v_fmac_f32_e32 v93, 0x32a5705f, v90
	v_cvt_i32_f32_e32 v92, v92
	v_add_f32_e32 v91, v91, v93
	v_exp_f32_e32 v91, v91
	v_ldexp_f32 v91, v91, v92
	v_cndmask_b32_e32 v91, 0, v91, vcc_lo
	v_cmp_nlt_f32_e32 vcc_lo, 0x42b17218, v90
	v_cndmask_b32_e32 v90, 0x7f800000, v91, vcc_lo
	v_add_f32_e32 v90, 1.0, v90
	v_rcp_f32_e32 v90, v90
	v_fma_f32 v90, v90, -2.0, 1.0
.LBB71_31:                              ;   in Loop: Header=BB71_9 Depth=1
	s_andn2_saveexec_b32 s18, s18
	s_cbranch_execz .LBB71_33
; %bb.32:                               ;   in Loop: Header=BB71_9 Depth=1
	v_mul_f32_e32 v90, v79, v79
	v_fmaak_f32 v91, s15, v90, 0x3ca908c9
	v_fmaak_f32 v91, v90, v91, 0xbd5c1c4e
	;; [unrolled: 1-line block ×4, first 2 shown]
	v_mul_f32_e64 v91, |v79|, v91
	v_fma_f32 v90, v90, v91, |v79|
.LBB71_33:                              ;   in Loop: Header=BB71_9 Depth=1
	s_or_b32 exec_lo, exec_lo, s18
	v_bfi_b32 v76, 0x7fffffff, v89, v76
	v_bfi_b32 v89, 0x7fffffff, v90, v79
	v_cmp_ngt_f32_e64 s18, 0x3f200000, |v74|
	v_fma_f32 v79, s10, v76, v82
	v_fma_f32 v89, s10, v89, v81
	v_add_f32_e32 v76, 0x40051340, v79
	v_add_f32_e32 v90, 0x40051340, v89
	v_max3_f32 v76, v61, v76, v90
	ds_bpermute_b32 v90, v1, v76
	s_waitcnt lgkmcnt(0)
	v_max_f32_e32 v90, v90, v90
	v_max_f32_e32 v76, v76, v90
	ds_bpermute_b32 v90, v88, v76
	s_waitcnt lgkmcnt(0)
	v_max_f32_e32 v90, v90, v90
	v_max_f32_e32 v76, v76, v90
	;; [unrolled: 4-line block ×4, first 2 shown]
                                        ; implicit-def: $vgpr76
	ds_bpermute_b32 v96, v83, v95
	s_and_saveexec_b32 s19, s18
	s_xor_b32 s18, exec_lo, s19
	s_cbranch_execz .LBB71_35
; %bb.34:                               ;   in Loop: Header=BB71_9 Depth=1
	v_add_f32_e64 v76, |v74|, |v74|
	v_mul_f32_e32 v90, 0x3fb8aa3b, v76
	v_cmp_ngt_f32_e32 vcc_lo, 0xc2ce8ed0, v76
	v_rndne_f32_e32 v91, v90
	v_fma_f32 v92, 0x3fb8aa3b, v76, -v90
	v_sub_f32_e32 v90, v90, v91
	v_fmac_f32_e32 v92, 0x32a5705f, v76
	v_cvt_i32_f32_e32 v91, v91
	v_add_f32_e32 v90, v90, v92
	v_exp_f32_e32 v90, v90
	v_ldexp_f32 v90, v90, v91
	v_cndmask_b32_e32 v90, 0, v90, vcc_lo
	v_cmp_nlt_f32_e32 vcc_lo, 0x42b17218, v76
	v_cndmask_b32_e32 v76, 0x7f800000, v90, vcc_lo
	v_add_f32_e32 v76, 1.0, v76
	v_rcp_f32_e32 v76, v76
	v_fma_f32 v76, v76, -2.0, 1.0
.LBB71_35:                              ;   in Loop: Header=BB71_9 Depth=1
	s_andn2_saveexec_b32 s18, s18
	s_cbranch_execz .LBB71_37
; %bb.36:                               ;   in Loop: Header=BB71_9 Depth=1
	v_mul_f32_e32 v76, v74, v74
	v_fmaak_f32 v90, s15, v76, 0x3ca908c9
	v_fmaak_f32 v90, v76, v90, 0xbd5c1c4e
	v_fmaak_f32 v90, v76, v90, 0x3e088382
	v_fmaak_f32 v90, v76, v90, 0xbeaaaa99
	v_mul_f32_e64 v90, |v74|, v90
	v_fma_f32 v76, v76, v90, |v74|
.LBB71_37:                              ;   in Loop: Header=BB71_9 Depth=1
	s_or_b32 exec_lo, exec_lo, s18
	v_cmp_ngt_f32_e64 s18, 0x3f200000, |v77|
                                        ; implicit-def: $vgpr90
	s_and_saveexec_b32 s19, s18
	s_xor_b32 s18, exec_lo, s19
	s_cbranch_execz .LBB71_39
; %bb.38:                               ;   in Loop: Header=BB71_9 Depth=1
	v_add_f32_e64 v90, |v77|, |v77|
	v_mul_f32_e32 v91, 0x3fb8aa3b, v90
	v_cmp_ngt_f32_e32 vcc_lo, 0xc2ce8ed0, v90
	v_rndne_f32_e32 v92, v91
	v_fma_f32 v93, 0x3fb8aa3b, v90, -v91
	v_sub_f32_e32 v91, v91, v92
	v_fmac_f32_e32 v93, 0x32a5705f, v90
	v_cvt_i32_f32_e32 v92, v92
	v_add_f32_e32 v91, v91, v93
	v_exp_f32_e32 v91, v91
	v_ldexp_f32 v91, v91, v92
	v_cndmask_b32_e32 v91, 0, v91, vcc_lo
	v_cmp_nlt_f32_e32 vcc_lo, 0x42b17218, v90
	v_cndmask_b32_e32 v90, 0x7f800000, v91, vcc_lo
	v_add_f32_e32 v90, 1.0, v90
	v_rcp_f32_e32 v90, v90
	v_fma_f32 v90, v90, -2.0, 1.0
.LBB71_39:                              ;   in Loop: Header=BB71_9 Depth=1
	s_andn2_saveexec_b32 s18, s18
	s_cbranch_execz .LBB71_41
; %bb.40:                               ;   in Loop: Header=BB71_9 Depth=1
	v_mul_f32_e32 v90, v77, v77
	v_fmaak_f32 v91, s15, v90, 0x3ca908c9
	v_fmaak_f32 v91, v90, v91, 0xbd5c1c4e
	;; [unrolled: 1-line block ×4, first 2 shown]
	v_mul_f32_e64 v91, |v77|, v91
	v_fma_f32 v90, v90, v91, |v77|
.LBB71_41:                              ;   in Loop: Header=BB71_9 Depth=1
	s_or_b32 exec_lo, exec_lo, s18
	v_bfi_b32 v74, 0x7fffffff, v76, v74
	v_bfi_b32 v77, 0x7fffffff, v90, v77
	v_cmp_ngt_f32_e64 s18, 0x3f200000, |v72|
	v_fma_f32 v76, s10, v74, v82
	v_fma_f32 v74, s10, v77, v81
	v_add_f32_e32 v77, 0x40051340, v76
	v_add_f32_e32 v90, 0x40051340, v74
	v_max3_f32 v77, v59, v77, v90
	ds_bpermute_b32 v90, v1, v77
	s_waitcnt lgkmcnt(0)
	v_max_f32_e32 v90, v90, v90
	v_max_f32_e32 v77, v77, v90
	ds_bpermute_b32 v90, v88, v77
	s_waitcnt lgkmcnt(0)
	v_max_f32_e32 v90, v90, v90
	v_max_f32_e32 v77, v77, v90
	;; [unrolled: 4-line block ×4, first 2 shown]
                                        ; implicit-def: $vgpr77
	ds_bpermute_b32 v98, v83, v97
	s_and_saveexec_b32 s19, s18
	s_xor_b32 s18, exec_lo, s19
	s_cbranch_execz .LBB71_43
; %bb.42:                               ;   in Loop: Header=BB71_9 Depth=1
	v_add_f32_e64 v77, |v72|, |v72|
	v_mul_f32_e32 v90, 0x3fb8aa3b, v77
	v_cmp_ngt_f32_e32 vcc_lo, 0xc2ce8ed0, v77
	v_rndne_f32_e32 v91, v90
	v_fma_f32 v92, 0x3fb8aa3b, v77, -v90
	v_sub_f32_e32 v90, v90, v91
	v_fmac_f32_e32 v92, 0x32a5705f, v77
	v_cvt_i32_f32_e32 v91, v91
	v_add_f32_e32 v90, v90, v92
	v_exp_f32_e32 v90, v90
	v_ldexp_f32 v90, v90, v91
	v_cndmask_b32_e32 v90, 0, v90, vcc_lo
	v_cmp_nlt_f32_e32 vcc_lo, 0x42b17218, v77
	v_cndmask_b32_e32 v77, 0x7f800000, v90, vcc_lo
	v_add_f32_e32 v77, 1.0, v77
	v_rcp_f32_e32 v77, v77
	v_fma_f32 v77, v77, -2.0, 1.0
.LBB71_43:                              ;   in Loop: Header=BB71_9 Depth=1
	s_andn2_saveexec_b32 s18, s18
	s_cbranch_execz .LBB71_45
; %bb.44:                               ;   in Loop: Header=BB71_9 Depth=1
	v_mul_f32_e32 v77, v72, v72
	v_fmaak_f32 v90, s15, v77, 0x3ca908c9
	v_fmaak_f32 v90, v77, v90, 0xbd5c1c4e
	;; [unrolled: 1-line block ×4, first 2 shown]
	v_mul_f32_e64 v90, |v72|, v90
	v_fma_f32 v77, v77, v90, |v72|
.LBB71_45:                              ;   in Loop: Header=BB71_9 Depth=1
	s_or_b32 exec_lo, exec_lo, s18
	v_cmp_ngt_f32_e64 s18, 0x3f200000, |v75|
                                        ; implicit-def: $vgpr90
	s_and_saveexec_b32 s19, s18
	s_xor_b32 s18, exec_lo, s19
	s_cbranch_execz .LBB71_47
; %bb.46:                               ;   in Loop: Header=BB71_9 Depth=1
	v_add_f32_e64 v90, |v75|, |v75|
	v_mul_f32_e32 v91, 0x3fb8aa3b, v90
	v_cmp_ngt_f32_e32 vcc_lo, 0xc2ce8ed0, v90
	v_rndne_f32_e32 v92, v91
	v_fma_f32 v93, 0x3fb8aa3b, v90, -v91
	v_sub_f32_e32 v91, v91, v92
	v_fmac_f32_e32 v93, 0x32a5705f, v90
	v_cvt_i32_f32_e32 v92, v92
	v_add_f32_e32 v91, v91, v93
	v_exp_f32_e32 v91, v91
	v_ldexp_f32 v91, v91, v92
	v_cndmask_b32_e32 v91, 0, v91, vcc_lo
	v_cmp_nlt_f32_e32 vcc_lo, 0x42b17218, v90
	v_cndmask_b32_e32 v90, 0x7f800000, v91, vcc_lo
	v_add_f32_e32 v90, 1.0, v90
	v_rcp_f32_e32 v90, v90
	v_fma_f32 v90, v90, -2.0, 1.0
.LBB71_47:                              ;   in Loop: Header=BB71_9 Depth=1
	s_andn2_saveexec_b32 s18, s18
	s_cbranch_execz .LBB71_49
; %bb.48:                               ;   in Loop: Header=BB71_9 Depth=1
	v_mul_f32_e32 v90, v75, v75
	v_fmaak_f32 v91, s15, v90, 0x3ca908c9
	v_fmaak_f32 v91, v90, v91, 0xbd5c1c4e
	;; [unrolled: 1-line block ×4, first 2 shown]
	v_mul_f32_e64 v91, |v75|, v91
	v_fma_f32 v90, v90, v91, |v75|
.LBB71_49:                              ;   in Loop: Header=BB71_9 Depth=1
	s_or_b32 exec_lo, exec_lo, s18
	v_bfi_b32 v72, 0x7fffffff, v77, v72
	v_bfi_b32 v75, 0x7fffffff, v90, v75
	v_cmp_ngt_f32_e64 s18, 0x3f200000, |v71|
	v_fma_f32 v77, s10, v72, v82
	v_fma_f32 v75, s10, v75, v81
	v_add_f32_e32 v72, 0x40051340, v77
	v_add_f32_e32 v90, 0x40051340, v75
	v_max3_f32 v72, v58, v72, v90
	ds_bpermute_b32 v90, v1, v72
	s_waitcnt lgkmcnt(0)
	v_max_f32_e32 v90, v90, v90
	v_max_f32_e32 v72, v72, v90
	ds_bpermute_b32 v90, v88, v72
	s_waitcnt lgkmcnt(0)
	v_max_f32_e32 v90, v90, v90
	v_max_f32_e32 v72, v72, v90
	;; [unrolled: 4-line block ×4, first 2 shown]
                                        ; implicit-def: $vgpr90
	ds_bpermute_b32 v99, v83, v72
	s_and_saveexec_b32 s19, s18
	s_xor_b32 s18, exec_lo, s19
	s_cbranch_execz .LBB71_51
; %bb.50:                               ;   in Loop: Header=BB71_9 Depth=1
	v_add_f32_e64 v90, |v71|, |v71|
	v_mul_f32_e32 v91, 0x3fb8aa3b, v90
	v_cmp_ngt_f32_e32 vcc_lo, 0xc2ce8ed0, v90
	v_rndne_f32_e32 v92, v91
	v_fma_f32 v93, 0x3fb8aa3b, v90, -v91
	v_sub_f32_e32 v91, v91, v92
	v_fmac_f32_e32 v93, 0x32a5705f, v90
	v_cvt_i32_f32_e32 v92, v92
	v_add_f32_e32 v91, v91, v93
	v_exp_f32_e32 v91, v91
	v_ldexp_f32 v91, v91, v92
	v_cndmask_b32_e32 v91, 0, v91, vcc_lo
	v_cmp_nlt_f32_e32 vcc_lo, 0x42b17218, v90
	v_cndmask_b32_e32 v90, 0x7f800000, v91, vcc_lo
	v_add_f32_e32 v90, 1.0, v90
	v_rcp_f32_e32 v90, v90
	v_fma_f32 v90, v90, -2.0, 1.0
.LBB71_51:                              ;   in Loop: Header=BB71_9 Depth=1
	s_andn2_saveexec_b32 s18, s18
	s_cbranch_execz .LBB71_53
; %bb.52:                               ;   in Loop: Header=BB71_9 Depth=1
	v_mul_f32_e32 v90, v71, v71
	v_fmaak_f32 v91, s15, v90, 0x3ca908c9
	v_fmaak_f32 v91, v90, v91, 0xbd5c1c4e
	;; [unrolled: 1-line block ×4, first 2 shown]
	v_mul_f32_e64 v91, |v71|, v91
	v_fma_f32 v90, v90, v91, |v71|
.LBB71_53:                              ;   in Loop: Header=BB71_9 Depth=1
	s_or_b32 exec_lo, exec_lo, s18
	v_cmp_ngt_f32_e64 s18, 0x3f200000, |v73|
                                        ; implicit-def: $vgpr91
	s_and_saveexec_b32 s19, s18
	s_xor_b32 s18, exec_lo, s19
	s_cbranch_execz .LBB71_55
; %bb.54:                               ;   in Loop: Header=BB71_9 Depth=1
	v_add_f32_e64 v91, |v73|, |v73|
	v_mul_f32_e32 v92, 0x3fb8aa3b, v91
	v_cmp_ngt_f32_e32 vcc_lo, 0xc2ce8ed0, v91
	v_rndne_f32_e32 v93, v92
	v_fma_f32 v100, 0x3fb8aa3b, v91, -v92
	v_sub_f32_e32 v92, v92, v93
	v_fmac_f32_e32 v100, 0x32a5705f, v91
	v_cvt_i32_f32_e32 v93, v93
	v_add_f32_e32 v92, v92, v100
	v_exp_f32_e32 v92, v92
	v_ldexp_f32 v92, v92, v93
	v_cndmask_b32_e32 v92, 0, v92, vcc_lo
	v_cmp_nlt_f32_e32 vcc_lo, 0x42b17218, v91
	v_cndmask_b32_e32 v91, 0x7f800000, v92, vcc_lo
	v_add_f32_e32 v91, 1.0, v91
	v_rcp_f32_e32 v91, v91
	v_fma_f32 v91, v91, -2.0, 1.0
.LBB71_55:                              ;   in Loop: Header=BB71_9 Depth=1
	s_andn2_saveexec_b32 s18, s18
	s_cbranch_execz .LBB71_57
; %bb.56:                               ;   in Loop: Header=BB71_9 Depth=1
	v_mul_f32_e32 v91, v73, v73
	v_fmaak_f32 v92, s15, v91, 0x3ca908c9
	v_fmaak_f32 v92, v91, v92, 0xbd5c1c4e
	;; [unrolled: 1-line block ×4, first 2 shown]
	v_mul_f32_e64 v92, |v73|, v92
	v_fma_f32 v91, v91, v92, |v73|
.LBB71_57:                              ;   in Loop: Header=BB71_9 Depth=1
	s_or_b32 exec_lo, exec_lo, s18
	v_bfi_b32 v71, 0x7fffffff, v90, v71
	v_bfi_b32 v73, 0x7fffffff, v91, v73
	v_cmp_ngt_f32_e64 s18, 0x3f200000, |v7|
                                        ; implicit-def: $vgpr92
	v_fma_f32 v91, s10, v71, v82
	v_fma_f32 v90, s10, v73, v81
	v_add_f32_e32 v71, 0x40051340, v91
	v_add_f32_e32 v73, 0x40051340, v90
	v_max3_f32 v71, v55, v71, v73
	ds_bpermute_b32 v73, v1, v71
	s_waitcnt lgkmcnt(0)
	v_max_f32_e32 v73, v73, v73
	v_max_f32_e32 v71, v71, v73
	ds_bpermute_b32 v73, v88, v71
	s_waitcnt lgkmcnt(0)
	v_max_f32_e32 v73, v73, v73
	v_max_f32_e32 v71, v71, v73
	;; [unrolled: 4-line block ×4, first 2 shown]
	ds_bpermute_b32 v73, v83, v71
	s_and_saveexec_b32 s19, s18
	s_xor_b32 s18, exec_lo, s19
	s_cbranch_execz .LBB71_59
; %bb.58:                               ;   in Loop: Header=BB71_9 Depth=1
	v_add_f32_e64 v92, |v7|, |v7|
	v_mul_f32_e32 v93, 0x3fb8aa3b, v92
	v_cmp_ngt_f32_e32 vcc_lo, 0xc2ce8ed0, v92
	v_rndne_f32_e32 v100, v93
	v_fma_f32 v101, 0x3fb8aa3b, v92, -v93
	v_sub_f32_e32 v93, v93, v100
	v_fmac_f32_e32 v101, 0x32a5705f, v92
	v_cvt_i32_f32_e32 v100, v100
	v_add_f32_e32 v93, v93, v101
	v_exp_f32_e32 v93, v93
	v_ldexp_f32 v93, v93, v100
	v_cndmask_b32_e32 v93, 0, v93, vcc_lo
	v_cmp_nlt_f32_e32 vcc_lo, 0x42b17218, v92
	v_cndmask_b32_e32 v92, 0x7f800000, v93, vcc_lo
	v_add_f32_e32 v92, 1.0, v92
	v_rcp_f32_e32 v92, v92
	v_fma_f32 v92, v92, -2.0, 1.0
.LBB71_59:                              ;   in Loop: Header=BB71_9 Depth=1
	s_andn2_saveexec_b32 s18, s18
	s_cbranch_execz .LBB71_61
; %bb.60:                               ;   in Loop: Header=BB71_9 Depth=1
	v_mul_f32_e32 v92, v7, v7
	v_fmaak_f32 v93, s15, v92, 0x3ca908c9
	v_fmaak_f32 v93, v92, v93, 0xbd5c1c4e
	;; [unrolled: 1-line block ×4, first 2 shown]
	v_mul_f32_e64 v93, |v7|, v93
	v_fma_f32 v92, v92, v93, |v7|
.LBB71_61:                              ;   in Loop: Header=BB71_9 Depth=1
	s_or_b32 exec_lo, exec_lo, s18
	v_cmp_ngt_f32_e64 s18, 0x3f200000, |v69|
                                        ; implicit-def: $vgpr93
	s_and_saveexec_b32 s19, s18
	s_xor_b32 s18, exec_lo, s19
	s_cbranch_execz .LBB71_63
; %bb.62:                               ;   in Loop: Header=BB71_9 Depth=1
	v_add_f32_e64 v93, |v69|, |v69|
	v_mul_f32_e32 v100, 0x3fb8aa3b, v93
	v_cmp_ngt_f32_e32 vcc_lo, 0xc2ce8ed0, v93
	v_rndne_f32_e32 v101, v100
	v_fma_f32 v102, 0x3fb8aa3b, v93, -v100
	v_sub_f32_e32 v100, v100, v101
	v_fmac_f32_e32 v102, 0x32a5705f, v93
	v_cvt_i32_f32_e32 v101, v101
	v_add_f32_e32 v100, v100, v102
	v_exp_f32_e32 v100, v100
	v_ldexp_f32 v100, v100, v101
	v_cndmask_b32_e32 v100, 0, v100, vcc_lo
	v_cmp_nlt_f32_e32 vcc_lo, 0x42b17218, v93
	v_cndmask_b32_e32 v93, 0x7f800000, v100, vcc_lo
	v_add_f32_e32 v93, 1.0, v93
	v_rcp_f32_e32 v93, v93
	v_fma_f32 v93, v93, -2.0, 1.0
.LBB71_63:                              ;   in Loop: Header=BB71_9 Depth=1
	s_andn2_saveexec_b32 s18, s18
	s_cbranch_execz .LBB71_65
; %bb.64:                               ;   in Loop: Header=BB71_9 Depth=1
	v_mul_f32_e32 v93, v69, v69
	v_fmaak_f32 v100, s15, v93, 0x3ca908c9
	v_fmaak_f32 v100, v93, v100, 0xbd5c1c4e
	;; [unrolled: 1-line block ×4, first 2 shown]
	v_mul_f32_e64 v100, |v69|, v100
	v_fma_f32 v93, v93, v100, |v69|
.LBB71_65:                              ;   in Loop: Header=BB71_9 Depth=1
	s_or_b32 exec_lo, exec_lo, s18
	v_bfi_b32 v7, 0x7fffffff, v92, v7
	v_bfi_b32 v69, 0x7fffffff, v93, v69
	v_cmp_ngt_f32_e64 s18, 0x3f200000, |v5|
                                        ; implicit-def: $vgpr100
	v_fma_f32 v93, s10, v7, v82
	v_fma_f32 v92, s10, v69, v81
	v_add_f32_e32 v7, 0x40051340, v93
	v_add_f32_e32 v69, 0x40051340, v92
	v_max3_f32 v7, v54, v7, v69
	ds_bpermute_b32 v69, v1, v7
	s_waitcnt lgkmcnt(0)
	v_max_f32_e32 v69, v69, v69
	v_max_f32_e32 v7, v7, v69
	ds_bpermute_b32 v69, v88, v7
	s_waitcnt lgkmcnt(0)
	v_max_f32_e32 v69, v69, v69
	v_max_f32_e32 v7, v7, v69
	;; [unrolled: 4-line block ×4, first 2 shown]
	ds_bpermute_b32 v69, v83, v7
	s_and_saveexec_b32 s19, s18
	s_xor_b32 s18, exec_lo, s19
	s_cbranch_execz .LBB71_67
; %bb.66:                               ;   in Loop: Header=BB71_9 Depth=1
	v_add_f32_e64 v100, |v5|, |v5|
	v_mul_f32_e32 v101, 0x3fb8aa3b, v100
	v_cmp_ngt_f32_e32 vcc_lo, 0xc2ce8ed0, v100
	v_rndne_f32_e32 v102, v101
	v_fma_f32 v103, 0x3fb8aa3b, v100, -v101
	v_sub_f32_e32 v101, v101, v102
	v_fmac_f32_e32 v103, 0x32a5705f, v100
	v_cvt_i32_f32_e32 v102, v102
	v_add_f32_e32 v101, v101, v103
	v_exp_f32_e32 v101, v101
	v_ldexp_f32 v101, v101, v102
	v_cndmask_b32_e32 v101, 0, v101, vcc_lo
	v_cmp_nlt_f32_e32 vcc_lo, 0x42b17218, v100
	v_cndmask_b32_e32 v100, 0x7f800000, v101, vcc_lo
	v_add_f32_e32 v100, 1.0, v100
	v_rcp_f32_e32 v100, v100
	v_fma_f32 v100, v100, -2.0, 1.0
.LBB71_67:                              ;   in Loop: Header=BB71_9 Depth=1
	s_andn2_saveexec_b32 s18, s18
	s_cbranch_execz .LBB71_69
; %bb.68:                               ;   in Loop: Header=BB71_9 Depth=1
	v_mul_f32_e32 v100, v5, v5
	v_fmaak_f32 v101, s15, v100, 0x3ca908c9
	v_fmaak_f32 v101, v100, v101, 0xbd5c1c4e
	;; [unrolled: 1-line block ×4, first 2 shown]
	v_mul_f32_e64 v101, |v5|, v101
	v_fma_f32 v100, v100, v101, |v5|
.LBB71_69:                              ;   in Loop: Header=BB71_9 Depth=1
	s_or_b32 exec_lo, exec_lo, s18
	v_cmp_ngt_f32_e64 s18, 0x3f200000, |v6|
                                        ; implicit-def: $vgpr101
	s_and_saveexec_b32 s19, s18
	s_xor_b32 s18, exec_lo, s19
	s_cbranch_execz .LBB71_71
; %bb.70:                               ;   in Loop: Header=BB71_9 Depth=1
	v_add_f32_e64 v101, |v6|, |v6|
	v_mul_f32_e32 v102, 0x3fb8aa3b, v101
	v_cmp_ngt_f32_e32 vcc_lo, 0xc2ce8ed0, v101
	v_rndne_f32_e32 v103, v102
	v_fma_f32 v104, 0x3fb8aa3b, v101, -v102
	v_sub_f32_e32 v102, v102, v103
	v_fmac_f32_e32 v104, 0x32a5705f, v101
	v_cvt_i32_f32_e32 v103, v103
	v_add_f32_e32 v102, v102, v104
	v_exp_f32_e32 v102, v102
	v_ldexp_f32 v102, v102, v103
	v_cndmask_b32_e32 v102, 0, v102, vcc_lo
	v_cmp_nlt_f32_e32 vcc_lo, 0x42b17218, v101
	v_cndmask_b32_e32 v101, 0x7f800000, v102, vcc_lo
	v_add_f32_e32 v101, 1.0, v101
	v_rcp_f32_e32 v101, v101
	v_fma_f32 v101, v101, -2.0, 1.0
.LBB71_71:                              ;   in Loop: Header=BB71_9 Depth=1
	s_andn2_saveexec_b32 s18, s18
	s_cbranch_execz .LBB71_73
; %bb.72:                               ;   in Loop: Header=BB71_9 Depth=1
	v_mul_f32_e32 v101, v6, v6
	v_fmaak_f32 v102, s15, v101, 0x3ca908c9
	v_fmaak_f32 v102, v101, v102, 0xbd5c1c4e
	;; [unrolled: 1-line block ×4, first 2 shown]
	v_mul_f32_e64 v102, |v6|, v102
	v_fma_f32 v101, v101, v102, |v6|
.LBB71_73:                              ;   in Loop: Header=BB71_9 Depth=1
	s_or_b32 exec_lo, exec_lo, s18
	v_bfi_b32 v5, 0x7fffffff, v100, v5
	v_bfi_b32 v6, 0x7fffffff, v101, v6
	v_max_f32_e32 v73, v73, v73
	v_max_f32_e32 v71, v71, v71
	v_max_f32_e32 v101, v3, v3
	v_fmac_f32_e32 v82, s10, v5
	v_fmac_f32_e32 v81, s10, v6
	s_waitcnt lgkmcnt(0)
	v_max_f32_e32 v5, v69, v69
	v_max_f32_e32 v6, v7, v7
	;; [unrolled: 1-line block ×3, first 2 shown]
	v_add_f32_e32 v7, 0x40051340, v82
	v_add_f32_e32 v69, 0x40051340, v81
	v_max_f32_e32 v99, v99, v99
	v_max_f32_e32 v72, v72, v72
	s_mul_hi_i32 s19, s6, s8
	s_mul_i32 s18, s6, s8
	v_max3_f32 v69, v53, v7, v69
	v_max_f32_e32 v7, v6, v5
	v_max_f32_e32 v6, v71, v73
	v_max_f32_e32 v5, v72, v99
	s_lshl_b64 s[18:19], s[18:19], 2
	ds_bpermute_b32 v100, v1, v69
	v_max_f32_e32 v1, v94, v94
	v_max_f32_e32 v94, v4, v4
	s_add_u32 s18, s12, s18
	v_max_f32_e32 v98, v98, v98
	v_max_f32_e32 v97, v97, v97
	s_addc_u32 s19, s13, s19
	v_max_f32_e32 v2, v94, v1
	v_max_f32_e32 v1, v102, v101
	v_add_co_u32 v72, vcc_lo, s18, v14
	v_add_co_ci_u32_e64 v73, null, s19, v15, vcc_lo
	v_sub_f32_e32 v99, v86, v1
	v_max_f32_e32 v96, v96, v96
	v_max_f32_e32 v95, v95, v95
	;; [unrolled: 1-line block ×3, first 2 shown]
	v_sub_f32_e32 v98, v63, v1
	v_sub_f32_e32 v101, v64, v2
	s_waitcnt lgkmcnt(0)
	v_max_f32_e32 v71, v100, v100
	v_max_f32_e32 v3, v95, v96
	s_barrier
	buffer_gl0_inv
	v_sub_f32_e32 v100, v87, v1
	v_max_f32_e32 v69, v69, v71
	v_add_co_u32 v71, vcc_lo, s18, v16
	v_add_co_ci_u32_e64 v94, null, s19, v17, vcc_lo
	ds_bpermute_b32 v86, v88, v69
	v_add_co_u32 v63, vcc_lo, v72, v32
	v_add_co_ci_u32_e64 v64, null, 0, v73, vcc_lo
	v_add_co_u32 v71, vcc_lo, v71, v32
	v_add_co_ci_u32_e64 v72, null, 0, v94, vcc_lo
	v_sub_f32_e32 v102, v89, v3
	v_mul_f32_e32 v73, 0x3fb8aa3b, v99
	v_mul_f32_e32 v103, 0x3fb8aa3b, v100
	v_sub_f32_e32 v78, v78, v2
	v_mul_f32_e32 v104, 0x3fb8aa3b, v98
	v_sub_f32_e32 v80, v80, v2
	v_mul_f32_e32 v107, 0x3fb8aa3b, v101
	v_cmp_ngt_f32_e32 vcc_lo, 0xc2ce8ed0, v99
	v_mul_f32_e32 v105, 0x3fb8aa3b, v78
	v_rndne_f32_e32 v111, v104
	v_mul_f32_e32 v106, 0x3fb8aa3b, v80
	s_waitcnt lgkmcnt(0)
	v_max_f32_e32 v108, v86, v86
	s_clause 0x1
	global_load_dwordx4 v[86:89], v[63:64], off
	global_load_dwordx4 v[94:97], v[71:72], off
	v_fma_f32 v64, 0x3fb8aa3b, v99, -v73
	v_fma_f32 v71, 0x3fb8aa3b, v100, -v103
	v_rndne_f32_e32 v72, v103
	v_max_f32_e32 v63, v69, v108
	v_rndne_f32_e32 v69, v73
	v_fmac_f32_e32 v64, 0x32a5705f, v99
	v_fma_f32 v108, 0x3fb8aa3b, v98, -v104
	v_fmac_f32_e32 v71, 0x32a5705f, v100
	ds_bpermute_b32 v85, v85, v63
	v_sub_f32_e32 v73, v73, v69
	v_sub_f32_e32 v103, v103, v72
	v_fma_f32 v112, 0x3fb8aa3b, v78, -v105
	v_rndne_f32_e32 v113, v105
	v_fmac_f32_e32 v108, 0x32a5705f, v98
	v_add_f32_e32 v64, v73, v64
	v_sub_f32_e32 v104, v104, v111
	v_add_f32_e32 v71, v103, v71
	v_fma_f32 v114, 0x3fb8aa3b, v80, -v106
	v_rndne_f32_e32 v115, v106
	v_exp_f32_e32 v64, v64
	v_cvt_i32_f32_e32 v69, v69
	v_fmac_f32_e32 v112, 0x32a5705f, v78
	v_sub_f32_e32 v105, v105, v113
	v_exp_f32_e32 v71, v71
	v_fma_f32 v116, 0x3fb8aa3b, v101, -v107
	v_rndne_f32_e32 v117, v107
	v_cvt_i32_f32_e32 v72, v72
	v_fmac_f32_e32 v114, 0x32a5705f, v80
	s_waitcnt lgkmcnt(0)
	v_max_f32_e32 v85, v85, v85
	v_add_f32_e32 v103, v105, v112
	v_ldexp_f32 v64, v64, v69
	v_cvt_i32_f32_e32 v111, v111
	v_fmac_f32_e32 v116, 0x32a5705f, v101
	v_max_f32_e32 v63, v63, v85
	v_sub_f32_e32 v85, v106, v115
	v_sub_f32_e32 v106, v107, v117
	v_exp_f32_e32 v103, v103
	v_ldexp_f32 v69, v71, v72
	ds_bpermute_b32 v73, v84, v63
	v_add_f32_e32 v84, v104, v108
	v_add_f32_e32 v85, v85, v114
	v_cndmask_b32_e32 v64, 0, v64, vcc_lo
	v_cmp_ngt_f32_e32 vcc_lo, 0xc2ce8ed0, v100
	v_cvt_i32_f32_e32 v113, v113
	v_exp_f32_e32 v84, v84
	v_add_f32_e32 v104, v106, v116
	v_exp_f32_e32 v85, v85
	v_cndmask_b32_e32 v69, 0, v69, vcc_lo
	v_cmp_ngt_f32_e32 vcc_lo, 0xc2ce8ed0, v98
	v_cvt_i32_f32_e32 v105, v115
	v_exp_f32_e32 v104, v104
	v_ldexp_f32 v72, v103, v113
	v_cvt_i32_f32_e32 v106, v117
	v_sub_f32_e32 v79, v79, v3
	v_ldexp_f32 v71, v84, v111
	v_mul_f32_e32 v110, 0x3fb8aa3b, v102
	v_ldexp_f32 v84, v85, v105
	v_sub_f32_e32 v61, v61, v3
	s_waitcnt lgkmcnt(0)
	v_max_f32_e32 v73, v73, v73
	v_cndmask_b32_e32 v71, 0, v71, vcc_lo
	v_cmp_ngt_f32_e32 vcc_lo, 0xc2ce8ed0, v78
	v_ldexp_f32 v85, v104, v106
	v_mul_f32_e32 v109, 0x3fb8aa3b, v79
	v_max_f32_e32 v63, v63, v73
	v_sub_f32_e32 v74, v74, v4
	v_cndmask_b32_e32 v72, 0, v72, vcc_lo
	v_cmp_ngt_f32_e32 vcc_lo, 0xc2ce8ed0, v80
	v_fma_f32 v118, 0x3fb8aa3b, v79, -v109
	ds_bpermute_b32 v73, v83, v63
	v_rndne_f32_e32 v119, v109
	v_sub_f32_e32 v59, v59, v4
	v_cndmask_b32_e32 v83, 0, v84, vcc_lo
	v_cmp_ngt_f32_e32 vcc_lo, 0xc2ce8ed0, v101
	v_fmac_f32_e32 v118, 0x32a5705f, v79
	v_sub_f32_e32 v107, v109, v119
	v_sub_f32_e32 v75, v75, v5
	v_sub_f32_e32 v54, v54, v7
	v_cndmask_b32_e32 v84, 0, v85, vcc_lo
	v_cmp_nlt_f32_e32 vcc_lo, 0x42b17218, v98
	s_or_b32 s18, s6, 32
	s_mul_hi_i32 s19, s18, s8
	s_mul_i32 s18, s18, s8
	v_cndmask_b32_e32 v71, 0x7f800000, v71, vcc_lo
	v_cmp_nlt_f32_e32 vcc_lo, 0x42b17218, v99
	s_lshl_b64 s[18:19], s[18:19], 2
	s_add_u32 s18, s12, s18
	v_cvt_f16_f32_e32 v98, v71
	v_cndmask_b32_e32 v64, 0x7f800000, v64, vcc_lo
	v_cmp_nlt_f32_e32 vcc_lo, 0x42b17218, v100
	s_waitcnt lgkmcnt(0)
	v_max_f32_e32 v73, v73, v73
	v_mul_f32_e32 v100, 0x3fb8aa3b, v74
	s_addc_u32 s19, s13, s19
	v_cndmask_b32_e32 v85, 0x7f800000, v69, vcc_lo
	v_cmp_nlt_f32_e32 vcc_lo, 0x42b17218, v78
	v_cvt_f16_f32_e32 v78, v64
	v_add_f32_e32 v69, v64, v85
	v_cndmask_b32_e32 v72, 0x7f800000, v72, vcc_lo
	v_mul_u32_u24_sdwa v64, v98, v33 dst_sel:DWORD dst_unused:UNUSED_PAD src0_sel:WORD_0 src1_sel:DWORD
	v_cmp_nlt_f32_e32 vcc_lo, 0x42b17218, v80
	v_rndne_f32_e32 v80, v110
	v_fmac_f32_e32 v69, v8, v71
	v_max_f32_e32 v8, v63, v73
	v_pk_mul_f16 v99, v48, v64
	v_cndmask_b32_e32 v48, 0x7f800000, v83, vcc_lo
	v_cmp_nlt_f32_e32 vcc_lo, 0x42b17218, v101
	v_pk_mul_f16 v64, v49, v64
	v_add_f32_e32 v63, v107, v118
	v_fma_f32 v73, 0x3fb8aa3b, v102, -v110
	v_cvt_f16_f32_e32 v98, v72
	v_cndmask_b32_e32 v49, 0x7f800000, v84, vcc_lo
	v_add_f32_e32 v71, v72, v48
	v_exp_f32_e32 v63, v63
	v_fmac_f32_e32 v73, 0x32a5705f, v102
	v_sub_f32_e32 v83, v110, v80
	v_cvt_f16_f32_e32 v72, v49
	v_cvt_i32_f32_e32 v84, v119
	v_fmac_f32_e32 v71, v62, v49
	v_cmp_ngt_f32_e32 vcc_lo, 0xc2ce8ed0, v79
	v_add_f32_e32 v73, v83, v73
	v_mul_u32_u24_sdwa v72, v72, v33 dst_sel:DWORD dst_unused:UNUSED_PAD src0_sel:WORD_0 src1_sel:DWORD
	v_mul_f32_e32 v83, 0x3fb8aa3b, v61
	v_cvt_i32_f32_e32 v80, v80
	v_sub_f32_e32 v53, v53, v8
	v_exp_f32_e32 v49, v73
	v_pk_mul_f16 v62, v47, v72
	v_ldexp_f32 v47, v63, v84
	v_fma_f32 v63, 0x3fb8aa3b, v61, -v83
	v_rndne_f32_e32 v73, v83
	v_cvt_f16_f32_e32 v85, v85
	v_cvt_f16_f32_e32 v48, v48
	v_cndmask_b32_e32 v47, 0, v47, vcc_lo
	v_fmac_f32_e32 v63, 0x32a5705f, v61
	v_sub_f32_e32 v83, v83, v73
	v_cmp_nlt_f32_e32 vcc_lo, 0x42b17218, v79
	v_pk_mul_f16 v79, v46, v72
	v_ldexp_f32 v46, v49, v80
	v_cvt_i32_f32_e32 v73, v73
	v_add_f32_e32 v49, v83, v63
	v_cndmask_b32_e32 v47, 0x7f800000, v47, vcc_lo
	v_sub_f32_e32 v63, v76, v4
	v_cmp_ngt_f32_e32 vcc_lo, 0xc2ce8ed0, v102
	v_exp_f32_e32 v49, v49
	v_cvt_f16_f32_e32 v76, v47
	v_mul_f32_e32 v80, 0x3fb8aa3b, v63
	v_cndmask_b32_e32 v46, 0, v46, vcc_lo
	v_cmp_nlt_f32_e32 vcc_lo, 0x42b17218, v102
	v_fma_f32 v83, 0x3fb8aa3b, v63, -v80
	v_rndne_f32_e32 v84, v80
	v_cndmask_b32_e32 v46, 0x7f800000, v46, vcc_lo
	v_cmp_ngt_f32_e32 vcc_lo, 0xc2ce8ed0, v61
	v_fmac_f32_e32 v83, 0x32a5705f, v63
	v_add_f32_e32 v72, v47, v46
	v_ldexp_f32 v47, v49, v73
	v_sub_f32_e32 v49, v80, v84
	v_fma_f32 v73, 0x3fb8aa3b, v74, -v100
	v_rndne_f32_e32 v80, v100
	v_cndmask_b32_e32 v47, 0, v47, vcc_lo
	v_add_f32_e32 v49, v49, v83
	v_fmac_f32_e32 v73, 0x32a5705f, v74
	v_sub_f32_e32 v100, v100, v80
	v_cmp_nlt_f32_e32 vcc_lo, 0x42b17218, v61
	v_cvt_f16_f32_e32 v61, v46
	v_exp_f32_e32 v49, v49
	v_cvt_i32_f32_e32 v80, v80
	v_add_f32_e32 v46, v100, v73
	v_cndmask_b32_e32 v47, 0x7f800000, v47, vcc_lo
	v_mul_f32_e32 v73, 0x3fb8aa3b, v59
	v_cmp_ngt_f32_e32 vcc_lo, 0xc2ce8ed0, v63
	v_exp_f32_e32 v46, v46
	v_fmac_f32_e32 v72, v60, v47
	v_cvt_f16_f32_e32 v47, v47
	v_cvt_i32_f32_e32 v60, v84
	v_fma_f32 v83, 0x3fb8aa3b, v59, -v73
	v_rndne_f32_e32 v84, v73
	v_mul_u32_u24_sdwa v47, v47, v33 dst_sel:DWORD dst_unused:UNUSED_PAD src0_sel:WORD_0 src1_sel:DWORD
	v_ldexp_f32 v49, v49, v60
	v_fmac_f32_e32 v83, 0x32a5705f, v59
	v_sub_f32_e32 v60, v73, v84
	v_pk_mul_f16 v100, v45, v47
	v_ldexp_f32 v45, v46, v80
	v_cndmask_b32_e32 v46, 0, v49, vcc_lo
	v_cmp_ngt_f32_e32 vcc_lo, 0xc2ce8ed0, v74
	v_add_f32_e32 v49, v60, v83
	v_sub_f32_e32 v60, v77, v5
	v_mul_f32_e32 v80, 0x3fb8aa3b, v75
	v_cndmask_b32_e32 v45, 0, v45, vcc_lo
	v_cmp_nlt_f32_e32 vcc_lo, 0x42b17218, v63
	v_exp_f32_e32 v49, v49
	v_pk_mul_f16 v63, v44, v47
	v_cvt_i32_f32_e32 v44, v84
	v_rndne_f32_e32 v84, v80
	v_cndmask_b32_e32 v46, 0x7f800000, v46, vcc_lo
	v_cmp_nlt_f32_e32 vcc_lo, 0x42b17218, v74
	v_mul_f32_e32 v74, 0x3fb8aa3b, v60
	v_cvt_f16_f32_e32 v47, v46
	v_cndmask_b32_e32 v45, 0x7f800000, v45, vcc_lo
	v_ldexp_f32 v44, v49, v44
	v_fma_f32 v49, 0x3fb8aa3b, v60, -v74
	v_cmp_ngt_f32_e32 vcc_lo, 0xc2ce8ed0, v59
	v_add_f32_e32 v73, v46, v45
	v_sub_f32_e32 v46, v58, v5
	v_rndne_f32_e32 v58, v74
	v_cndmask_b32_e32 v44, 0, v44, vcc_lo
	v_fmac_f32_e32 v49, 0x32a5705f, v60
	v_cmp_nlt_f32_e32 vcc_lo, 0x42b17218, v59
	v_mul_f32_e32 v77, 0x3fb8aa3b, v46
	v_sub_f32_e32 v74, v74, v58
	v_cvt_f16_f32_e32 v45, v45
	v_cndmask_b32_e32 v44, 0x7f800000, v44, vcc_lo
	v_fma_f32 v59, 0x3fb8aa3b, v46, -v77
	v_rndne_f32_e32 v83, v77
	v_add_f32_e32 v49, v74, v49
	v_fma_f32 v74, 0x3fb8aa3b, v75, -v80
	v_cvt_f16_f32_e32 v101, v44
	v_fmac_f32_e32 v59, 0x32a5705f, v46
	v_sub_f32_e32 v77, v77, v83
	v_exp_f32_e32 v49, v49
	v_fmac_f32_e32 v74, 0x32a5705f, v75
	v_sub_f32_e32 v80, v80, v84
	v_fmac_f32_e32 v73, v57, v44
	v_add_f32_e32 v59, v77, v59
	v_mul_u32_u24_sdwa v77, v101, v33 dst_sel:DWORD dst_unused:UNUSED_PAD src0_sel:WORD_0 src1_sel:DWORD
	v_cvt_i32_f32_e32 v44, v58
	v_add_f32_e32 v57, v80, v74
	v_cmp_ngt_f32_e32 vcc_lo, 0xc2ce8ed0, v60
	v_exp_f32_e32 v58, v59
	v_pk_mul_f16 v59, v42, v77
	v_ldexp_f32 v42, v49, v44
	v_pk_mul_f16 v80, v43, v77
	v_exp_f32_e32 v43, v57
	v_cvt_i32_f32_e32 v44, v83
	v_sub_f32_e32 v49, v91, v6
	v_cndmask_b32_e32 v42, 0, v42, vcc_lo
	v_cmp_nlt_f32_e32 vcc_lo, 0x42b17218, v60
	v_cvt_i32_f32_e32 v57, v84
	v_ldexp_f32 v44, v58, v44
	v_mul_f32_e32 v58, 0x3fb8aa3b, v49
	v_sub_f32_e32 v84, v92, v7
	v_cndmask_b32_e32 v42, 0x7f800000, v42, vcc_lo
	v_cmp_ngt_f32_e32 vcc_lo, 0xc2ce8ed0, v46
	v_ldexp_f32 v43, v43, v57
	v_fma_f32 v57, 0x3fb8aa3b, v49, -v58
	v_rndne_f32_e32 v60, v58
	v_pack_b32_f16 v45, v61, v45
	v_cndmask_b32_e32 v44, 0, v44, vcc_lo
	v_cmp_ngt_f32_e32 vcc_lo, 0xc2ce8ed0, v75
	v_fmac_f32_e32 v57, 0x32a5705f, v49
	v_cndmask_b32_e32 v43, 0, v43, vcc_lo
	v_cmp_nlt_f32_e32 vcc_lo, 0x42b17218, v46
	v_sub_f32_e32 v46, v58, v60
	v_cvt_f16_f32_e32 v58, v42
	v_cndmask_b32_e32 v44, 0x7f800000, v44, vcc_lo
	v_cmp_nlt_f32_e32 vcc_lo, 0x42b17218, v75
	v_add_f32_e32 v46, v46, v57
	v_sub_f32_e32 v57, v90, v6
	v_mul_f32_e32 v90, 0x3fb8aa3b, v84
	v_cvt_f16_f32_e32 v75, v44
	v_cndmask_b32_e32 v43, 0x7f800000, v43, vcc_lo
	v_cmp_ngt_f32_e32 vcc_lo, 0xc2ce8ed0, v49
	v_rndne_f32_e32 v92, v90
	v_add_f32_e32 v74, v42, v43
	v_cvt_f16_f32_e32 v77, v43
	v_mul_u32_u24_sdwa v42, v75, v33 dst_sel:DWORD dst_unused:UNUSED_PAD src0_sel:WORD_0 src1_sel:DWORD
	v_exp_f32_e32 v43, v46
	v_mul_f32_e32 v46, 0x3fb8aa3b, v57
	v_fmac_f32_e32 v74, v56, v44
	v_sub_f32_e32 v44, v55, v6
	v_pk_mul_f16 v56, v41, v42
	v_cvt_i32_f32_e32 v41, v60
	v_fma_f32 v55, 0x3fb8aa3b, v57, -v46
	v_rndne_f32_e32 v60, v46
	v_mul_f32_e32 v75, 0x3fb8aa3b, v44
	v_pk_mul_f16 v83, v40, v42
	v_ldexp_f32 v40, v43, v41
	v_fmac_f32_e32 v55, 0x32a5705f, v57
	v_sub_f32_e32 v41, v46, v60
	v_fma_f32 v42, 0x3fb8aa3b, v44, -v75
	v_rndne_f32_e32 v43, v75
	v_sub_f32_e32 v46, v93, v7
	v_cndmask_b32_e32 v40, 0, v40, vcc_lo
	v_add_f32_e32 v41, v41, v55
	v_fmac_f32_e32 v42, 0x32a5705f, v44
	v_sub_f32_e32 v55, v75, v43
	v_mul_f32_e32 v75, 0x3fb8aa3b, v46
	v_cmp_nlt_f32_e32 vcc_lo, 0x42b17218, v49
	v_exp_f32_e32 v41, v41
	v_cvt_i32_f32_e32 v60, v60
	v_add_f32_e32 v42, v55, v42
	v_fma_f32 v49, 0x3fb8aa3b, v46, -v75
	v_rndne_f32_e32 v55, v75
	v_cndmask_b32_e32 v40, 0x7f800000, v40, vcc_lo
	v_cmp_ngt_f32_e32 vcc_lo, 0xc2ce8ed0, v57
	v_exp_f32_e32 v42, v42
	v_fmac_f32_e32 v49, 0x32a5705f, v46
	v_sub_f32_e32 v75, v75, v55
	v_ldexp_f32 v41, v41, v60
	v_cvt_i32_f32_e32 v43, v43
	v_fma_f32 v60, 0x3fb8aa3b, v84, -v90
	v_cvt_i32_f32_e32 v55, v55
	v_add_f32_e32 v49, v75, v49
	v_cndmask_b32_e32 v41, 0, v41, vcc_lo
	v_cmp_nlt_f32_e32 vcc_lo, 0x42b17218, v57
	v_ldexp_f32 v42, v42, v43
	v_fmac_f32_e32 v60, 0x32a5705f, v84
	v_exp_f32_e32 v43, v49
	v_sub_f32_e32 v49, v90, v92
	v_cndmask_b32_e32 v41, 0x7f800000, v41, vcc_lo
	v_cmp_ngt_f32_e32 vcc_lo, 0xc2ce8ed0, v44
	v_cvt_f16_f32_e32 v91, v40
	v_add_f32_e32 v49, v49, v60
	v_add_f32_e32 v75, v40, v41
	v_cndmask_b32_e32 v42, 0, v42, vcc_lo
	v_cmp_nlt_f32_e32 vcc_lo, 0x42b17218, v44
	v_ldexp_f32 v40, v43, v55
	v_cvt_f16_f32_e32 v44, v41
	v_cvt_i32_f32_e32 v43, v92
	v_mul_f32_e32 v60, 0x3fb8aa3b, v54
	v_cndmask_b32_e32 v55, 0x7f800000, v42, vcc_lo
	v_exp_f32_e32 v42, v49
	v_cmp_ngt_f32_e32 vcc_lo, 0xc2ce8ed0, v46
	v_fma_f32 v90, 0x3fb8aa3b, v54, -v60
	v_cvt_f16_f32_e32 v41, v55
	v_rndne_f32_e32 v101, v60
	v_cndmask_b32_e32 v40, 0, v40, vcc_lo
	v_cmp_nlt_f32_e32 vcc_lo, 0x42b17218, v46
	v_sub_f32_e32 v46, v81, v8
	v_mul_u32_u24_sdwa v57, v41, v33 dst_sel:DWORD dst_unused:UNUSED_PAD src0_sel:WORD_0 src1_sel:DWORD
	v_ldexp_f32 v41, v42, v43
	v_fmac_f32_e32 v90, 0x32a5705f, v54
	v_cndmask_b32_e32 v49, 0x7f800000, v40, vcc_lo
	v_sub_f32_e32 v40, v82, v8
	v_cmp_ngt_f32_e32 vcc_lo, 0xc2ce8ed0, v84
	v_mul_f32_e32 v82, 0x3fb8aa3b, v46
	v_sub_f32_e32 v60, v60, v101
	v_cvt_f16_f32_e32 v42, v49
	v_mul_f32_e32 v43, 0x3fb8aa3b, v40
	v_cndmask_b32_e32 v41, 0, v41, vcc_lo
	v_cmp_nlt_f32_e32 vcc_lo, 0x42b17218, v84
	v_fma_f32 v92, 0x3fb8aa3b, v46, -v82
	v_rndne_f32_e32 v93, v82
	v_fma_f32 v81, 0x3fb8aa3b, v40, -v43
	v_add_f32_e32 v60, v60, v90
	v_cndmask_b32_e32 v84, 0x7f800000, v41, vcc_lo
	v_rndne_f32_e32 v41, v43
	v_fmac_f32_e32 v92, 0x32a5705f, v46
	v_fmac_f32_e32 v81, 0x32a5705f, v40
	v_sub_f32_e32 v82, v82, v93
	v_cvt_i32_f32_e32 v93, v93
	v_sub_f32_e32 v43, v43, v41
	v_cvt_i32_f32_e32 v41, v41
	v_cmp_ngt_f32_e32 vcc_lo, 0xc2ce8ed0, v40
	v_add_f32_e32 v82, v82, v92
	v_exp_f32_e32 v60, v60
	v_add_f32_e32 v43, v43, v81
	v_mul_f32_e32 v81, 0x3fb8aa3b, v53
	v_cvt_f16_f32_e32 v90, v84
	v_exp_f32_e32 v82, v82
	v_fmac_f32_e32 v75, v52, v55
	v_exp_f32_e32 v43, v43
	v_fma_f32 v92, 0x3fb8aa3b, v53, -v81
	v_rndne_f32_e32 v102, v81
	v_pk_mul_f16 v38, v38, v57
	v_pk_mul_f16 v39, v39, v57
	v_fmac_f32_e32 v92, 0x32a5705f, v53
	v_sub_f32_e32 v81, v81, v102
	v_ldexp_f32 v82, v82, v93
	v_ldexp_f32 v41, v43, v41
	v_add_f32_e32 v43, v81, v92
	v_cvt_i32_f32_e32 v81, v101
	v_cndmask_b32_e32 v41, 0, v41, vcc_lo
	v_cmp_ngt_f32_e32 vcc_lo, 0xc2ce8ed0, v46
	v_exp_f32_e32 v43, v43
	v_cndmask_b32_e32 v82, 0, v82, vcc_lo
	v_cmp_nlt_f32_e32 vcc_lo, 0x42b17218, v40
	v_cvt_i32_f32_e32 v40, v102
	v_cndmask_b32_e32 v92, 0x7f800000, v41, vcc_lo
	v_cmp_nlt_f32_e32 vcc_lo, 0x42b17218, v46
	v_ldexp_f32 v41, v60, v81
	v_ldexp_f32 v40, v43, v40
	v_cvt_f16_f32_e32 v46, v92
	v_cndmask_b32_e32 v60, 0x7f800000, v82, vcc_lo
	v_cmp_ngt_f32_e32 vcc_lo, 0xc2ce8ed0, v54
	v_pack_b32_f16 v43, v42, v46
	v_pack_b32_f16 v46, v77, v44
	v_cndmask_b32_e32 v81, 0, v41, vcc_lo
	v_cmp_ngt_f32_e32 vcc_lo, 0xc2ce8ed0, v53
	v_pack_b32_f16 v44, v85, v48
	v_cvt_f16_f32_e32 v82, v60
	v_pack_b32_f16 v42, v58, v91
	v_pack_b32_f16 v41, v76, v47
	v_cndmask_b32_e32 v93, 0, v40, vcc_lo
	v_cmp_nlt_f32_e32 vcc_lo, 0x42b17218, v54
	v_pack_b32_f16 v40, v78, v98
	v_pack_b32_f16 v47, v90, v82
	ds_write_b128 v31, v[40:43]
	ds_write_b128 v31, v[44:47] offset:512
	s_waitcnt vmcnt(1)
	ds_write_b128 v26, v[86:89]
	s_waitcnt vmcnt(0)
	ds_write_b128 v28, v[94:97]
	v_cndmask_b32_e32 v48, 0x7f800000, v81, vcc_lo
	v_cmp_nlt_f32_e32 vcc_lo, 0x42b17218, v53
	s_waitcnt lgkmcnt(0)
	s_barrier
	buffer_gl0_inv
	v_cvt_f16_f32_e32 v44, v48
	v_cndmask_b32_e32 v53, 0x7f800000, v93, vcc_lo
	ds_read_b128 v[40:43], v24
	v_add_f32_e32 v77, v49, v84
	v_add_f32_e32 v76, v92, v60
	v_mul_u32_u24_sdwa v49, v44, v33 dst_sel:DWORD dst_unused:UNUSED_PAD src0_sel:WORD_0 src1_sel:DWORD
	v_cvt_f16_f32_e32 v52, v53
	ds_read2_b64 v[44:47], v29 offset1:32
	v_fmac_f32_e32 v77, v51, v48
	v_fmac_f32_e32 v76, v50, v53
	v_pk_mul_f16 v57, v36, v49
	v_mul_u32_u24_sdwa v52, v52, v33 dst_sel:DWORD dst_unused:UNUSED_PAD src0_sel:WORD_0 src1_sel:DWORD
	v_pk_mul_f16 v58, v37, v49
	v_add_co_u32 v134, vcc_lo, s18, v14
	v_add_co_ci_u32_e64 v135, null, s19, v15, vcc_lo
	v_pk_mul_f16 v60, v35, v52
	v_pk_mul_f16 v61, v34, v52
	ds_read_b128 v[34:37], v24 offset:16
	ds_read_b128 v[48:51], v24 offset:32
	;; [unrolled: 1-line block ×3, first 2 shown]
	v_add_co_u32 v136, vcc_lo, s18, v16
	s_waitcnt lgkmcnt(4)
	v_mul_u32_u24_sdwa v78, v40, v33 dst_sel:DWORD dst_unused:UNUSED_PAD src0_sel:WORD_0 src1_sel:DWORD
	v_mul_u32_u24_sdwa v40, v40, v33 dst_sel:DWORD dst_unused:UNUSED_PAD src0_sel:WORD_1 src1_sel:DWORD
	v_mul_u32_u24_sdwa v81, v41, v33 dst_sel:DWORD dst_unused:UNUSED_PAD src0_sel:WORD_0 src1_sel:DWORD
	v_mul_u32_u24_sdwa v41, v41, v33 dst_sel:DWORD dst_unused:UNUSED_PAD src0_sel:WORD_1 src1_sel:DWORD
	;; [unrolled: 2-line block ×4, first 2 shown]
	s_waitcnt lgkmcnt(3)
	v_pk_fma_f16 v85, v44, v78, v99
	v_pk_fma_f16 v62, v44, v40, v62
	;; [unrolled: 1-line block ×16, first 2 shown]
	s_waitcnt lgkmcnt(2)
	v_mul_u32_u24_sdwa v45, v34, v33 dst_sel:DWORD dst_unused:UNUSED_PAD src0_sel:WORD_0 src1_sel:DWORD
	v_mul_u32_u24_sdwa v58, v34, v33 dst_sel:DWORD dst_unused:UNUSED_PAD src0_sel:WORD_1 src1_sel:DWORD
	v_mul_u32_u24_sdwa v61, v35, v33 dst_sel:DWORD dst_unused:UNUSED_PAD src0_sel:WORD_0 src1_sel:DWORD
	v_mul_u32_u24_sdwa v78, v35, v33 dst_sel:DWORD dst_unused:UNUSED_PAD src0_sel:WORD_1 src1_sel:DWORD
	;; [unrolled: 2-line block ×4, first 2 shown]
	ds_read2_b64 v[34:37], v29 offset0:64 offset1:96
	v_pk_fma_f16 v83, v46, v45, v85
	v_pk_fma_f16 v62, v46, v58, v62
	;; [unrolled: 1-line block ×16, first 2 shown]
	s_waitcnt lgkmcnt(2)
	v_mul_u32_u24_sdwa v47, v48, v33 dst_sel:DWORD dst_unused:UNUSED_PAD src0_sel:WORD_0 src1_sel:DWORD
	v_mul_u32_u24_sdwa v48, v48, v33 dst_sel:DWORD dst_unused:UNUSED_PAD src0_sel:WORD_1 src1_sel:DWORD
	v_mul_u32_u24_sdwa v60, v49, v33 dst_sel:DWORD dst_unused:UNUSED_PAD src0_sel:WORD_0 src1_sel:DWORD
	v_mul_u32_u24_sdwa v49, v49, v33 dst_sel:DWORD dst_unused:UNUSED_PAD src0_sel:WORD_1 src1_sel:DWORD
	;; [unrolled: 2-line block ×4, first 2 shown]
	s_waitcnt lgkmcnt(0)
	v_pk_fma_f16 v64, v34, v47, v83
	v_pk_fma_f16 v62, v34, v48, v62
	;; [unrolled: 1-line block ×16, first 2 shown]
	v_mul_u32_u24_sdwa v51, v52, v33 dst_sel:DWORD dst_unused:UNUSED_PAD src0_sel:WORD_0 src1_sel:DWORD
	v_mul_u32_u24_sdwa v52, v52, v33 dst_sel:DWORD dst_unused:UNUSED_PAD src0_sel:WORD_1 src1_sel:DWORD
	v_mul_u32_u24_sdwa v61, v53, v33 dst_sel:DWORD dst_unused:UNUSED_PAD src0_sel:WORD_0 src1_sel:DWORD
	v_mul_u32_u24_sdwa v53, v53, v33 dst_sel:DWORD dst_unused:UNUSED_PAD src0_sel:WORD_1 src1_sel:DWORD
	;; [unrolled: 2-line block ×3, first 2 shown]
	v_mul_u32_u24_sdwa v80, v55, v33 dst_sel:DWORD dst_unused:UNUSED_PAD src0_sel:WORD_0 src1_sel:DWORD
	ds_read_b128 v[38:41], v24 offset:64
	v_mul_u32_u24_sdwa v55, v55, v33 dst_sel:DWORD dst_unused:UNUSED_PAD src0_sel:WORD_1 src1_sel:DWORD
	v_pk_fma_f16 v64, v36, v51, v64
	v_pk_fma_f16 v62, v36, v52, v62
	;; [unrolled: 1-line block ×6, first 2 shown]
	ds_read2_b64 v[42:45], v29 offset0:128 offset1:160
	v_pk_fma_f16 v57, v36, v80, v57
	v_pk_fma_f16 v81, v36, v55, v34
	;; [unrolled: 1-line block ×10, first 2 shown]
	ds_read_b128 v[34:37], v24 offset:80
	s_waitcnt lgkmcnt(2)
	v_mul_u32_u24_sdwa v54, v38, v33 dst_sel:DWORD dst_unused:UNUSED_PAD src0_sel:WORD_0 src1_sel:DWORD
	v_mul_u32_u24_sdwa v38, v38, v33 dst_sel:DWORD dst_unused:UNUSED_PAD src0_sel:WORD_1 src1_sel:DWORD
	v_mul_u32_u24_sdwa v55, v39, v33 dst_sel:DWORD dst_unused:UNUSED_PAD src0_sel:WORD_0 src1_sel:DWORD
	v_mul_u32_u24_sdwa v39, v39, v33 dst_sel:DWORD dst_unused:UNUSED_PAD src0_sel:WORD_1 src1_sel:DWORD
	;; [unrolled: 2-line block ×4, first 2 shown]
	s_waitcnt lgkmcnt(1)
	v_pk_fma_f16 v61, v42, v54, v64
	v_pk_fma_f16 v62, v42, v38, v62
	;; [unrolled: 1-line block ×16, first 2 shown]
	s_waitcnt lgkmcnt(0)
	v_mul_u32_u24_sdwa v53, v34, v33 dst_sel:DWORD dst_unused:UNUSED_PAD src0_sel:WORD_0 src1_sel:DWORD
	v_mul_u32_u24_sdwa v54, v34, v33 dst_sel:DWORD dst_unused:UNUSED_PAD src0_sel:WORD_1 src1_sel:DWORD
	v_mul_u32_u24_sdwa v55, v35, v33 dst_sel:DWORD dst_unused:UNUSED_PAD src0_sel:WORD_0 src1_sel:DWORD
	v_mul_u32_u24_sdwa v58, v35, v33 dst_sel:DWORD dst_unused:UNUSED_PAD src0_sel:WORD_1 src1_sel:DWORD
	;; [unrolled: 2-line block ×3, first 2 shown]
	v_mul_u32_u24_sdwa v79, v37, v33 dst_sel:DWORD dst_unused:UNUSED_PAD src0_sel:WORD_0 src1_sel:DWORD
	ds_read_b128 v[38:41], v24 offset:96
	v_mul_u32_u24_sdwa v80, v37, v33 dst_sel:DWORD dst_unused:UNUSED_PAD src0_sel:WORD_1 src1_sel:DWORD
	v_pk_fma_f16 v61, v44, v53, v61
	v_pk_fma_f16 v62, v44, v54, v62
	;; [unrolled: 1-line block ×6, first 2 shown]
	ds_read2_b64 v[34:37], v29 offset0:192 offset1:224
	v_pk_fma_f16 v57, v44, v79, v57
	v_pk_fma_f16 v81, v44, v80, v42
	;; [unrolled: 1-line block ×10, first 2 shown]
	ds_read_b128 v[42:45], v24 offset:112
	s_waitcnt lgkmcnt(2)
	v_mul_u32_u24_sdwa v54, v38, v33 dst_sel:DWORD dst_unused:UNUSED_PAD src0_sel:WORD_0 src1_sel:DWORD
	v_mul_u32_u24_sdwa v38, v38, v33 dst_sel:DWORD dst_unused:UNUSED_PAD src0_sel:WORD_1 src1_sel:DWORD
	v_mul_u32_u24_sdwa v55, v39, v33 dst_sel:DWORD dst_unused:UNUSED_PAD src0_sel:WORD_0 src1_sel:DWORD
	v_mul_u32_u24_sdwa v39, v39, v33 dst_sel:DWORD dst_unused:UNUSED_PAD src0_sel:WORD_1 src1_sel:DWORD
	;; [unrolled: 2-line block ×4, first 2 shown]
	s_waitcnt lgkmcnt(1)
	v_pk_fma_f16 v61, v34, v54, v61
	v_pk_fma_f16 v62, v34, v38, v62
	;; [unrolled: 1-line block ×16, first 2 shown]
	s_waitcnt lgkmcnt(0)
	v_mul_u32_u24_sdwa v54, v42, v33 dst_sel:DWORD dst_unused:UNUSED_PAD src0_sel:WORD_0 src1_sel:DWORD
	v_mul_u32_u24_sdwa v55, v42, v33 dst_sel:DWORD dst_unused:UNUSED_PAD src0_sel:WORD_1 src1_sel:DWORD
	v_mul_u32_u24_sdwa v58, v43, v33 dst_sel:DWORD dst_unused:UNUSED_PAD src0_sel:WORD_0 src1_sel:DWORD
	v_mul_u32_u24_sdwa v60, v43, v33 dst_sel:DWORD dst_unused:UNUSED_PAD src0_sel:WORD_1 src1_sel:DWORD
	;; [unrolled: 2-line block ×4, first 2 shown]
	ds_read_b128 v[38:41], v24 offset:128
	v_add_nc_u32_e32 v35, 0x800, v29
	v_pk_fma_f16 v61, v36, v54, v61
	v_pk_fma_f16 v62, v36, v55, v62
	;; [unrolled: 1-line block ×6, first 2 shown]
	ds_read2_b64 v[42:45], v35 offset1:32
	v_pk_fma_f16 v57, v36, v80, v57
	v_pk_fma_f16 v34, v36, v81, v34
	;; [unrolled: 1-line block ×6, first 2 shown]
	ds_read_b128 v[46:49], v24 offset:144
	v_pk_fma_f16 v51, v37, v78, v51
	v_pk_fma_f16 v50, v37, v79, v50
	;; [unrolled: 1-line block ×4, first 2 shown]
	s_waitcnt lgkmcnt(2)
	v_mul_u32_u24_sdwa v53, v38, v33 dst_sel:DWORD dst_unused:UNUSED_PAD src0_sel:WORD_0 src1_sel:DWORD
	v_mul_u32_u24_sdwa v38, v38, v33 dst_sel:DWORD dst_unused:UNUSED_PAD src0_sel:WORD_1 src1_sel:DWORD
	v_mul_u32_u24_sdwa v60, v39, v33 dst_sel:DWORD dst_unused:UNUSED_PAD src0_sel:WORD_0 src1_sel:DWORD
	v_mul_u32_u24_sdwa v39, v39, v33 dst_sel:DWORD dst_unused:UNUSED_PAD src0_sel:WORD_1 src1_sel:DWORD
	v_mul_u32_u24_sdwa v78, v40, v33 dst_sel:DWORD dst_unused:UNUSED_PAD src0_sel:WORD_0 src1_sel:DWORD
	v_mul_u32_u24_sdwa v40, v40, v33 dst_sel:DWORD dst_unused:UNUSED_PAD src0_sel:WORD_1 src1_sel:DWORD
	v_mul_u32_u24_sdwa v79, v41, v33 dst_sel:DWORD dst_unused:UNUSED_PAD src0_sel:WORD_0 src1_sel:DWORD
	v_mul_u32_u24_sdwa v41, v41, v33 dst_sel:DWORD dst_unused:UNUSED_PAD src0_sel:WORD_1 src1_sel:DWORD
	s_waitcnt lgkmcnt(1)
	v_pk_fma_f16 v61, v42, v53, v61
	v_pk_fma_f16 v62, v42, v38, v62
	v_pk_fma_f16 v63, v42, v60, v63
	v_pk_fma_f16 v59, v42, v39, v59
	v_pk_fma_f16 v56, v42, v78, v56
	v_pk_fma_f16 v64, v42, v40, v64
	v_pk_fma_f16 v57, v42, v79, v57
	v_pk_fma_f16 v34, v42, v41, v34
	v_pk_fma_f16 v53, v43, v53, v36
	v_pk_fma_f16 v54, v43, v38, v54
	v_pk_fma_f16 v55, v43, v60, v55
	v_pk_fma_f16 v58, v43, v39, v58
	v_pk_fma_f16 v51, v43, v78, v51
	v_pk_fma_f16 v50, v43, v40, v50
	v_pk_fma_f16 v52, v43, v79, v52
	v_pk_fma_f16 v60, v43, v41, v37
	s_waitcnt lgkmcnt(0)
	v_mul_u32_u24_sdwa v78, v46, v33 dst_sel:DWORD dst_unused:UNUSED_PAD src0_sel:WORD_0 src1_sel:DWORD
	v_mul_u32_u24_sdwa v46, v46, v33 dst_sel:DWORD dst_unused:UNUSED_PAD src0_sel:WORD_1 src1_sel:DWORD
	v_mul_u32_u24_sdwa v79, v47, v33 dst_sel:DWORD dst_unused:UNUSED_PAD src0_sel:WORD_0 src1_sel:DWORD
	v_mul_u32_u24_sdwa v47, v47, v33 dst_sel:DWORD dst_unused:UNUSED_PAD src0_sel:WORD_1 src1_sel:DWORD
	v_mul_u32_u24_sdwa v80, v48, v33 dst_sel:DWORD dst_unused:UNUSED_PAD src0_sel:WORD_0 src1_sel:DWORD
	v_mul_u32_u24_sdwa v48, v48, v33 dst_sel:DWORD dst_unused:UNUSED_PAD src0_sel:WORD_1 src1_sel:DWORD
	v_mul_u32_u24_sdwa v81, v49, v33 dst_sel:DWORD dst_unused:UNUSED_PAD src0_sel:WORD_0 src1_sel:DWORD
	ds_read_b128 v[36:39], v24 offset:160
	v_mul_u32_u24_sdwa v49, v49, v33 dst_sel:DWORD dst_unused:UNUSED_PAD src0_sel:WORD_1 src1_sel:DWORD
	v_pk_fma_f16 v61, v44, v78, v61
	v_pk_fma_f16 v62, v44, v46, v62
	v_pk_fma_f16 v63, v44, v79, v63
	v_pk_fma_f16 v59, v44, v47, v59
	v_pk_fma_f16 v56, v44, v80, v56
	v_pk_fma_f16 v64, v44, v48, v64
	ds_read2_b64 v[40:43], v35 offset0:64 offset1:96
	v_pk_fma_f16 v57, v44, v81, v57
	v_pk_fma_f16 v34, v44, v49, v34
	v_pk_fma_f16 v53, v45, v78, v53
	v_pk_fma_f16 v54, v45, v46, v54
	v_pk_fma_f16 v55, v45, v79, v55
	v_pk_fma_f16 v58, v45, v47, v58
	v_pk_fma_f16 v51, v45, v80, v51
	v_pk_fma_f16 v48, v45, v48, v50
	v_pk_fma_f16 v50, v45, v81, v52
	v_pk_fma_f16 v49, v45, v49, v60
	ds_read_b128 v[44:47], v24 offset:176
	s_waitcnt lgkmcnt(2)
	v_mul_u32_u24_sdwa v52, v36, v33 dst_sel:DWORD dst_unused:UNUSED_PAD src0_sel:WORD_0 src1_sel:DWORD
	v_mul_u32_u24_sdwa v36, v36, v33 dst_sel:DWORD dst_unused:UNUSED_PAD src0_sel:WORD_1 src1_sel:DWORD
	v_mul_u32_u24_sdwa v60, v37, v33 dst_sel:DWORD dst_unused:UNUSED_PAD src0_sel:WORD_0 src1_sel:DWORD
	v_mul_u32_u24_sdwa v37, v37, v33 dst_sel:DWORD dst_unused:UNUSED_PAD src0_sel:WORD_1 src1_sel:DWORD
	v_mul_u32_u24_sdwa v78, v38, v33 dst_sel:DWORD dst_unused:UNUSED_PAD src0_sel:WORD_0 src1_sel:DWORD
	v_mul_u32_u24_sdwa v38, v38, v33 dst_sel:DWORD dst_unused:UNUSED_PAD src0_sel:WORD_1 src1_sel:DWORD
	v_mul_u32_u24_sdwa v79, v39, v33 dst_sel:DWORD dst_unused:UNUSED_PAD src0_sel:WORD_0 src1_sel:DWORD
	v_mul_u32_u24_sdwa v39, v39, v33 dst_sel:DWORD dst_unused:UNUSED_PAD src0_sel:WORD_1 src1_sel:DWORD
	s_waitcnt lgkmcnt(1)
	v_pk_fma_f16 v61, v40, v52, v61
	v_pk_fma_f16 v62, v40, v36, v62
	v_pk_fma_f16 v63, v40, v60, v63
	v_pk_fma_f16 v59, v40, v37, v59
	v_pk_fma_f16 v56, v40, v78, v56
	v_pk_fma_f16 v64, v40, v38, v64
	v_pk_fma_f16 v57, v40, v79, v57
	v_pk_fma_f16 v34, v40, v39, v34
	v_pk_fma_f16 v40, v41, v52, v53
	v_pk_fma_f16 v52, v41, v36, v54
	v_pk_fma_f16 v53, v41, v60, v55
	v_pk_fma_f16 v54, v41, v37, v58
	v_pk_fma_f16 v51, v41, v78, v51
	v_pk_fma_f16 v48, v41, v38, v48
	v_pk_fma_f16 v50, v41, v79, v50
	v_pk_fma_f16 v41, v41, v39, v49
	s_waitcnt lgkmcnt(0)
	v_mul_u32_u24_sdwa v49, v44, v33 dst_sel:DWORD dst_unused:UNUSED_PAD src0_sel:WORD_0 src1_sel:DWORD
	v_mul_u32_u24_sdwa v55, v44, v33 dst_sel:DWORD dst_unused:UNUSED_PAD src0_sel:WORD_1 src1_sel:DWORD
	v_mul_u32_u24_sdwa v58, v45, v33 dst_sel:DWORD dst_unused:UNUSED_PAD src0_sel:WORD_0 src1_sel:DWORD
	v_mul_u32_u24_sdwa v60, v45, v33 dst_sel:DWORD dst_unused:UNUSED_PAD src0_sel:WORD_1 src1_sel:DWORD
	v_mul_u32_u24_sdwa v78, v46, v33 dst_sel:DWORD dst_unused:UNUSED_PAD src0_sel:WORD_0 src1_sel:DWORD
	v_mul_u32_u24_sdwa v79, v46, v33 dst_sel:DWORD dst_unused:UNUSED_PAD src0_sel:WORD_1 src1_sel:DWORD
	v_mul_u32_u24_sdwa v80, v47, v33 dst_sel:DWORD dst_unused:UNUSED_PAD src0_sel:WORD_0 src1_sel:DWORD
	ds_read_b128 v[36:39], v24 offset:192
	v_mul_u32_u24_sdwa v81, v47, v33 dst_sel:DWORD dst_unused:UNUSED_PAD src0_sel:WORD_1 src1_sel:DWORD
	v_pk_fma_f16 v61, v42, v49, v61
	v_pk_fma_f16 v62, v42, v55, v62
	v_pk_fma_f16 v63, v42, v58, v63
	v_pk_fma_f16 v59, v42, v60, v59
	v_pk_fma_f16 v56, v42, v78, v56
	v_pk_fma_f16 v64, v42, v79, v64
	ds_read2_b64 v[44:47], v35 offset0:128 offset1:160
	v_pk_fma_f16 v57, v42, v80, v57
	v_pk_fma_f16 v34, v42, v81, v34
	v_pk_fma_f16 v49, v43, v49, v40
	v_pk_fma_f16 v52, v43, v55, v52
	v_pk_fma_f16 v53, v43, v58, v53
	v_pk_fma_f16 v54, v43, v60, v54
	v_pk_fma_f16 v51, v43, v78, v51
	v_pk_fma_f16 v48, v43, v79, v48
	v_pk_fma_f16 v50, v43, v80, v50
	v_pk_fma_f16 v55, v43, v81, v41
	ds_read_b128 v[40:43], v24 offset:208
	;; [unrolled: 54-line block ×3, first 2 shown]
	s_waitcnt lgkmcnt(2)
	v_mul_u32_u24_sdwa v58, v36, v33 dst_sel:DWORD dst_unused:UNUSED_PAD src0_sel:WORD_0 src1_sel:DWORD
	v_mul_u32_u24_sdwa v36, v36, v33 dst_sel:DWORD dst_unused:UNUSED_PAD src0_sel:WORD_1 src1_sel:DWORD
	v_mul_u32_u24_sdwa v60, v37, v33 dst_sel:DWORD dst_unused:UNUSED_PAD src0_sel:WORD_0 src1_sel:DWORD
	v_mul_u32_u24_sdwa v37, v37, v33 dst_sel:DWORD dst_unused:UNUSED_PAD src0_sel:WORD_1 src1_sel:DWORD
	;; [unrolled: 2-line block ×4, first 2 shown]
	s_waitcnt lgkmcnt(1)
	v_pk_fma_f16 v61, v40, v58, v61
	v_pk_fma_f16 v62, v40, v36, v62
	;; [unrolled: 1-line block ×16, first 2 shown]
	s_waitcnt lgkmcnt(0)
	v_mul_u32_u24_sdwa v55, v44, v33 dst_sel:DWORD dst_unused:UNUSED_PAD src0_sel:WORD_0 src1_sel:DWORD
	v_mul_u32_u24_sdwa v58, v44, v33 dst_sel:DWORD dst_unused:UNUSED_PAD src0_sel:WORD_1 src1_sel:DWORD
	v_mul_u32_u24_sdwa v60, v45, v33 dst_sel:DWORD dst_unused:UNUSED_PAD src0_sel:WORD_0 src1_sel:DWORD
	v_mul_u32_u24_sdwa v78, v45, v33 dst_sel:DWORD dst_unused:UNUSED_PAD src0_sel:WORD_1 src1_sel:DWORD
	;; [unrolled: 2-line block ×4, first 2 shown]
	ds_read_b128 v[37:40], v24 offset:256
	v_add_nc_u32_e32 v36, 0x1000, v29
	v_pk_fma_f16 v61, v42, v55, v61
	v_pk_fma_f16 v62, v42, v58, v62
	;; [unrolled: 1-line block ×6, first 2 shown]
	ds_read2_b64 v[44:47], v36 offset1:32
	v_pk_fma_f16 v57, v42, v81, v57
	v_pk_fma_f16 v34, v42, v82, v34
	;; [unrolled: 1-line block ×8, first 2 shown]
	ds_read_b128 v[48:51], v24 offset:272
	v_pk_fma_f16 v53, v43, v78, v53
	v_pk_fma_f16 v41, v43, v82, v41
	s_waitcnt lgkmcnt(2)
	v_mul_u32_u24_sdwa v43, v37, v33 dst_sel:DWORD dst_unused:UNUSED_PAD src0_sel:WORD_0 src1_sel:DWORD
	v_mul_u32_u24_sdwa v37, v37, v33 dst_sel:DWORD dst_unused:UNUSED_PAD src0_sel:WORD_1 src1_sel:DWORD
	v_mul_u32_u24_sdwa v78, v38, v33 dst_sel:DWORD dst_unused:UNUSED_PAD src0_sel:WORD_0 src1_sel:DWORD
	v_mul_u32_u24_sdwa v38, v38, v33 dst_sel:DWORD dst_unused:UNUSED_PAD src0_sel:WORD_1 src1_sel:DWORD
	;; [unrolled: 2-line block ×4, first 2 shown]
	s_waitcnt lgkmcnt(1)
	v_pk_fma_f16 v61, v44, v43, v61
	v_pk_fma_f16 v62, v44, v37, v62
	;; [unrolled: 1-line block ×9, first 2 shown]
	s_waitcnt lgkmcnt(0)
	v_mul_u32_u24_sdwa v78, v51, v33 dst_sel:DWORD dst_unused:UNUSED_PAD src0_sel:WORD_0 src1_sel:DWORD
	v_mul_u32_u24_sdwa v51, v51, v33 dst_sel:DWORD dst_unused:UNUSED_PAD src0_sel:WORD_1 src1_sel:DWORD
	v_add_co_ci_u32_e64 v137, null, s19, v17, vcc_lo
	v_add_co_u32 v134, vcc_lo, v134, v32
	v_add_co_ci_u32_e64 v135, null, 0, v135, vcc_lo
	v_add_co_u32 v138, vcc_lo, v136, v32
	v_pk_fma_f16 v42, v45, v43, v42
	v_pk_fma_f16 v43, v45, v37, v54
	;; [unrolled: 1-line block ×7, first 2 shown]
	v_mul_u32_u24_sdwa v45, v48, v33 dst_sel:DWORD dst_unused:UNUSED_PAD src0_sel:WORD_0 src1_sel:DWORD
	v_mul_u32_u24_sdwa v48, v48, v33 dst_sel:DWORD dst_unused:UNUSED_PAD src0_sel:WORD_1 src1_sel:DWORD
	v_mul_u32_u24_sdwa v58, v49, v33 dst_sel:DWORD dst_unused:UNUSED_PAD src0_sel:WORD_0 src1_sel:DWORD
	v_mul_u32_u24_sdwa v49, v49, v33 dst_sel:DWORD dst_unused:UNUSED_PAD src0_sel:WORD_1 src1_sel:DWORD
	;; [unrolled: 2-line block ×3, first 2 shown]
	v_pk_fma_f16 v149, v46, v51, v34
	v_add_nc_u32_e32 v34, 0x1800, v29
	v_add_co_ci_u32_e64 v139, null, 0, v137, vcc_lo
	ds_read_b128 v[37:40], v24 offset:288
	v_pk_fma_f16 v142, v46, v45, v61
	v_pk_fma_f16 v143, v46, v48, v62
	;; [unrolled: 1-line block ×15, first 2 shown]
	ds_read2_b64 v[41:44], v36 offset0:64 offset1:96
	ds_read_b128 v[45:48], v24 offset:304
	ds_read2_b64 v[49:52], v36 offset0:128 offset1:160
	ds_read_b128 v[53:56], v24 offset:320
	ds_read_b128 v[57:60], v24 offset:336
	ds_read2_b64 v[61:64], v36 offset0:192 offset1:224
	ds_read_b128 v[78:81], v24 offset:352
	ds_read_b128 v[82:85], v24 offset:368
	ds_read2_b64 v[86:89], v34 offset1:32
	ds_read_b128 v[90:93], v24 offset:384
	ds_read_b128 v[94:97], v24 offset:400
	ds_read2_b64 v[98:101], v34 offset0:64 offset1:96
	ds_read_b128 v[102:105], v24 offset:416
	ds_read_b128 v[106:109], v24 offset:432
	ds_read2_b64 v[110:113], v34 offset0:128 offset1:160
	;; [unrolled: 3-line block ×3, first 2 shown]
	ds_read_b128 v[126:129], v24 offset:480
	ds_read_b128 v[130:133], v24 offset:496
	s_waitcnt lgkmcnt(0)
	s_barrier
	buffer_gl0_inv
	s_clause 0x1
	global_load_dwordx4 v[134:137], v[134:135], off
	global_load_dwordx4 v[138:141], v[138:139], off
	v_mul_u32_u24_sdwa v158, v37, v33 dst_sel:DWORD dst_unused:UNUSED_PAD src0_sel:WORD_0 src1_sel:DWORD
	v_mul_u32_u24_sdwa v37, v37, v33 dst_sel:DWORD dst_unused:UNUSED_PAD src0_sel:WORD_1 src1_sel:DWORD
	v_mul_u32_u24_sdwa v159, v38, v33 dst_sel:DWORD dst_unused:UNUSED_PAD src0_sel:WORD_0 src1_sel:DWORD
	v_mul_u32_u24_sdwa v38, v38, v33 dst_sel:DWORD dst_unused:UNUSED_PAD src0_sel:WORD_1 src1_sel:DWORD
	v_mul_u32_u24_sdwa v160, v39, v33 dst_sel:DWORD dst_unused:UNUSED_PAD src0_sel:WORD_0 src1_sel:DWORD
	v_mul_u32_u24_sdwa v39, v39, v33 dst_sel:DWORD dst_unused:UNUSED_PAD src0_sel:WORD_1 src1_sel:DWORD
	v_mul_u32_u24_sdwa v161, v40, v33 dst_sel:DWORD dst_unused:UNUSED_PAD src0_sel:WORD_0 src1_sel:DWORD
	v_mul_u32_u24_sdwa v40, v40, v33 dst_sel:DWORD dst_unused:UNUSED_PAD src0_sel:WORD_1 src1_sel:DWORD
	s_waitcnt vmcnt(1)
	ds_write_b128 v26, v[134:137]
	s_waitcnt vmcnt(0)
	ds_write_b128 v28, v[138:141]
	v_pk_fma_f16 v142, v41, v158, v142
	v_pk_fma_f16 v143, v41, v37, v143
	v_pk_fma_f16 v144, v41, v159, v144
	v_pk_fma_f16 v145, v41, v38, v145
	v_pk_fma_f16 v146, v41, v160, v146
	v_pk_fma_f16 v147, v41, v39, v147
	v_pk_fma_f16 v148, v41, v161, v148
	v_pk_fma_f16 v41, v41, v40, v149
	v_pk_fma_f16 v149, v42, v158, v150
	v_pk_fma_f16 v37, v42, v37, v151
	v_pk_fma_f16 v150, v42, v159, v152
	v_pk_fma_f16 v38, v42, v38, v153
	v_pk_fma_f16 v151, v42, v160, v154
	v_pk_fma_f16 v39, v42, v39, v155
	v_pk_fma_f16 v152, v42, v161, v156
	v_pk_fma_f16 v40, v42, v40, v157
	v_mul_u32_u24_sdwa v42, v45, v33 dst_sel:DWORD dst_unused:UNUSED_PAD src0_sel:WORD_0 src1_sel:DWORD
	v_mul_u32_u24_sdwa v45, v45, v33 dst_sel:DWORD dst_unused:UNUSED_PAD src0_sel:WORD_1 src1_sel:DWORD
	v_mul_u32_u24_sdwa v153, v46, v33 dst_sel:DWORD dst_unused:UNUSED_PAD src0_sel:WORD_0 src1_sel:DWORD
	v_mul_u32_u24_sdwa v46, v46, v33 dst_sel:DWORD dst_unused:UNUSED_PAD src0_sel:WORD_1 src1_sel:DWORD
	v_mul_u32_u24_sdwa v154, v47, v33 dst_sel:DWORD dst_unused:UNUSED_PAD src0_sel:WORD_0 src1_sel:DWORD
	v_mul_u32_u24_sdwa v47, v47, v33 dst_sel:DWORD dst_unused:UNUSED_PAD src0_sel:WORD_1 src1_sel:DWORD
	v_mul_u32_u24_sdwa v155, v48, v33 dst_sel:DWORD dst_unused:UNUSED_PAD src0_sel:WORD_0 src1_sel:DWORD
	v_mul_u32_u24_sdwa v48, v48, v33 dst_sel:DWORD dst_unused:UNUSED_PAD src0_sel:WORD_1 src1_sel:DWORD
	v_pk_fma_f16 v142, v43, v42, v142
	v_pk_fma_f16 v143, v43, v45, v143
	v_pk_fma_f16 v144, v43, v153, v144
	v_pk_fma_f16 v145, v43, v46, v145
	v_pk_fma_f16 v146, v43, v154, v146
	v_pk_fma_f16 v147, v43, v47, v147
	v_pk_fma_f16 v148, v43, v155, v148
	v_pk_fma_f16 v41, v43, v48, v41
	v_pk_fma_f16 v42, v44, v42, v149
	v_pk_fma_f16 v37, v44, v45, v37
	v_pk_fma_f16 v43, v44, v153, v150
	v_pk_fma_f16 v38, v44, v46, v38
	v_pk_fma_f16 v45, v44, v154, v151
	v_pk_fma_f16 v39, v44, v47, v39
	v_pk_fma_f16 v46, v44, v155, v152
	v_pk_fma_f16 v40, v44, v48, v40
	v_mul_u32_u24_sdwa v44, v53, v33 dst_sel:DWORD dst_unused:UNUSED_PAD src0_sel:WORD_0 src1_sel:DWORD
	v_mul_u32_u24_sdwa v47, v53, v33 dst_sel:DWORD dst_unused:UNUSED_PAD src0_sel:WORD_1 src1_sel:DWORD
	v_mul_u32_u24_sdwa v48, v54, v33 dst_sel:DWORD dst_unused:UNUSED_PAD src0_sel:WORD_0 src1_sel:DWORD
	v_mul_u32_u24_sdwa v53, v54, v33 dst_sel:DWORD dst_unused:UNUSED_PAD src0_sel:WORD_1 src1_sel:DWORD
	v_mul_u32_u24_sdwa v54, v55, v33 dst_sel:DWORD dst_unused:UNUSED_PAD src0_sel:WORD_0 src1_sel:DWORD
	v_mul_u32_u24_sdwa v55, v55, v33 dst_sel:DWORD dst_unused:UNUSED_PAD src0_sel:WORD_1 src1_sel:DWORD
	v_mul_u32_u24_sdwa v149, v56, v33 dst_sel:DWORD dst_unused:UNUSED_PAD src0_sel:WORD_0 src1_sel:DWORD
	v_mul_u32_u24_sdwa v56, v56, v33 dst_sel:DWORD dst_unused:UNUSED_PAD src0_sel:WORD_1 src1_sel:DWORD
	;; [unrolled: 24-line block ×4, first 2 shown]
	v_pk_fma_f16 v54, v61, v46, v56
	v_pk_fma_f16 v55, v61, v47, v57
	;; [unrolled: 1-line block ×13, first 2 shown]
	v_mul_u32_u24_sdwa v47, v82, v33 dst_sel:DWORD dst_unused:UNUSED_PAD src0_sel:WORD_1 src1_sel:DWORD
	v_mul_u32_u24_sdwa v49, v83, v33 dst_sel:DWORD dst_unused:UNUSED_PAD src0_sel:WORD_1 src1_sel:DWORD
	;; [unrolled: 1-line block ×3, first 2 shown]
	v_mul_u32_u24_sdwa v52, v85, v33 dst_sel:DWORD dst_unused:UNUSED_PAD src0_sel:WORD_0 src1_sel:DWORD
	v_mul_u32_u24_sdwa v53, v85, v33 dst_sel:DWORD dst_unused:UNUSED_PAD src0_sel:WORD_1 src1_sel:DWORD
	v_pk_fma_f16 v42, v62, v46, v42
	v_pk_fma_f16 v43, v62, v48, v43
	v_pk_fma_f16 v44, v62, v50, v44
	v_mul_u32_u24_sdwa v46, v82, v33 dst_sel:DWORD dst_unused:UNUSED_PAD src0_sel:WORD_0 src1_sel:DWORD
	v_mul_u32_u24_sdwa v48, v83, v33 dst_sel:DWORD dst_unused:UNUSED_PAD src0_sel:WORD_0 src1_sel:DWORD
	v_mul_u32_u24_sdwa v50, v84, v33 dst_sel:DWORD dst_unused:UNUSED_PAD src0_sel:WORD_0 src1_sel:DWORD
	v_pk_fma_f16 v55, v63, v47, v55
	v_pk_fma_f16 v57, v63, v49, v57
	v_pk_fma_f16 v59, v63, v51, v59
	v_pk_fma_f16 v60, v63, v52, v60
	v_pk_fma_f16 v41, v63, v53, v41
	v_pk_fma_f16 v37, v64, v47, v37
	v_pk_fma_f16 v38, v64, v49, v38
	v_pk_fma_f16 v39, v64, v51, v39
	v_pk_fma_f16 v45, v64, v52, v45
	v_pk_fma_f16 v40, v64, v53, v40
	v_mul_u32_u24_sdwa v47, v90, v33 dst_sel:DWORD dst_unused:UNUSED_PAD src0_sel:WORD_1 src1_sel:DWORD
	v_mul_u32_u24_sdwa v49, v91, v33 dst_sel:DWORD dst_unused:UNUSED_PAD src0_sel:WORD_1 src1_sel:DWORD
	v_mul_u32_u24_sdwa v51, v92, v33 dst_sel:DWORD dst_unused:UNUSED_PAD src0_sel:WORD_1 src1_sel:DWORD
	v_mul_u32_u24_sdwa v52, v93, v33 dst_sel:DWORD dst_unused:UNUSED_PAD src0_sel:WORD_0 src1_sel:DWORD
	v_mul_u32_u24_sdwa v53, v93, v33 dst_sel:DWORD dst_unused:UNUSED_PAD src0_sel:WORD_1 src1_sel:DWORD
	v_pk_fma_f16 v54, v63, v46, v54
	v_pk_fma_f16 v56, v63, v48, v56
	v_pk_fma_f16 v58, v63, v50, v58
	v_pk_fma_f16 v42, v64, v46, v42
	v_pk_fma_f16 v43, v64, v48, v43
	v_pk_fma_f16 v44, v64, v50, v44
	v_mul_u32_u24_sdwa v46, v90, v33 dst_sel:DWORD dst_unused:UNUSED_PAD src0_sel:WORD_0 src1_sel:DWORD
	v_mul_u32_u24_sdwa v48, v91, v33 dst_sel:DWORD dst_unused:UNUSED_PAD src0_sel:WORD_0 src1_sel:DWORD
	v_mul_u32_u24_sdwa v50, v92, v33 dst_sel:DWORD dst_unused:UNUSED_PAD src0_sel:WORD_0 src1_sel:DWORD
	v_pk_fma_f16 v55, v86, v47, v55
	v_pk_fma_f16 v57, v86, v49, v57
	v_pk_fma_f16 v59, v86, v51, v59
	v_pk_fma_f16 v60, v86, v52, v60
	v_pk_fma_f16 v41, v86, v53, v41
	v_pk_fma_f16 v37, v87, v47, v37
	v_pk_fma_f16 v38, v87, v49, v38
	v_pk_fma_f16 v39, v87, v51, v39
	v_pk_fma_f16 v45, v87, v52, v45
	v_pk_fma_f16 v40, v87, v53, v40
	v_mul_u32_u24_sdwa v47, v94, v33 dst_sel:DWORD dst_unused:UNUSED_PAD src0_sel:WORD_1 src1_sel:DWORD
	v_mul_u32_u24_sdwa v49, v95, v33 dst_sel:DWORD dst_unused:UNUSED_PAD src0_sel:WORD_1 src1_sel:DWORD
	v_mul_u32_u24_sdwa v51, v96, v33 dst_sel:DWORD dst_unused:UNUSED_PAD src0_sel:WORD_1 src1_sel:DWORD
	v_mul_u32_u24_sdwa v52, v97, v33 dst_sel:DWORD dst_unused:UNUSED_PAD src0_sel:WORD_0 src1_sel:DWORD
	v_mul_u32_u24_sdwa v53, v97, v33 dst_sel:DWORD dst_unused:UNUSED_PAD src0_sel:WORD_1 src1_sel:DWORD
	v_pk_fma_f16 v54, v86, v46, v54
	v_pk_fma_f16 v56, v86, v48, v56
	v_pk_fma_f16 v58, v86, v50, v58
	;; [unrolled: 24-line block ×7, first 2 shown]
	v_pk_fma_f16 v42, v113, v46, v42
	v_pk_fma_f16 v43, v113, v48, v43
	;; [unrolled: 1-line block ×3, first 2 shown]
	v_mul_u32_u24_sdwa v46, v126, v33 dst_sel:DWORD dst_unused:UNUSED_PAD src0_sel:WORD_0 src1_sel:DWORD
	v_mul_u32_u24_sdwa v48, v127, v33 dst_sel:DWORD dst_unused:UNUSED_PAD src0_sel:WORD_0 src1_sel:DWORD
	;; [unrolled: 1-line block ×3, first 2 shown]
	v_pk_fma_f16 v55, v122, v47, v55
	v_pk_fma_f16 v57, v122, v49, v57
	;; [unrolled: 1-line block ×10, first 2 shown]
	v_mul_u32_u24_sdwa v80, v133, v33 dst_sel:DWORD dst_unused:UNUSED_PAD src0_sel:WORD_1 src1_sel:DWORD
	s_waitcnt lgkmcnt(0)
	s_barrier
	buffer_gl0_inv
	ds_read_b128 v[37:40], v24 offset:512
	v_pk_fma_f16 v54, v122, v46, v54
	v_pk_fma_f16 v56, v122, v48, v56
	;; [unrolled: 1-line block ×7, first 2 shown]
	ds_read2_b64 v[41:44], v29 offset1:32
	v_mul_u32_u24_sdwa v53, v130, v33 dst_sel:DWORD dst_unused:UNUSED_PAD src0_sel:WORD_0 src1_sel:DWORD
	v_mul_u32_u24_sdwa v61, v130, v33 dst_sel:DWORD dst_unused:UNUSED_PAD src0_sel:WORD_1 src1_sel:DWORD
	v_mul_u32_u24_sdwa v62, v131, v33 dst_sel:DWORD dst_unused:UNUSED_PAD src0_sel:WORD_0 src1_sel:DWORD
	v_mul_u32_u24_sdwa v63, v131, v33 dst_sel:DWORD dst_unused:UNUSED_PAD src0_sel:WORD_1 src1_sel:DWORD
	;; [unrolled: 2-line block ×3, first 2 shown]
	v_mul_u32_u24_sdwa v79, v133, v33 dst_sel:DWORD dst_unused:UNUSED_PAD src0_sel:WORD_0 src1_sel:DWORD
	v_pk_fma_f16 v81, v124, v53, v54
	v_pk_fma_f16 v82, v124, v61, v55
	;; [unrolled: 1-line block ×15, first 2 shown]
	ds_read_b128 v[45:48], v24 offset:528
	ds_read_b128 v[49:52], v24 offset:544
	ds_read_b128 v[53:56], v24 offset:560
	s_waitcnt lgkmcnt(4)
	v_mul_u32_u24_sdwa v86, v37, v33 dst_sel:DWORD dst_unused:UNUSED_PAD src0_sel:WORD_0 src1_sel:DWORD
	v_mul_u32_u24_sdwa v37, v37, v33 dst_sel:DWORD dst_unused:UNUSED_PAD src0_sel:WORD_1 src1_sel:DWORD
	v_mul_u32_u24_sdwa v87, v38, v33 dst_sel:DWORD dst_unused:UNUSED_PAD src0_sel:WORD_0 src1_sel:DWORD
	v_mul_u32_u24_sdwa v38, v38, v33 dst_sel:DWORD dst_unused:UNUSED_PAD src0_sel:WORD_1 src1_sel:DWORD
	;; [unrolled: 2-line block ×4, first 2 shown]
	s_waitcnt lgkmcnt(3)
	v_pk_fma_f16 v81, v41, v86, v81
	v_pk_fma_f16 v82, v41, v37, v82
	;; [unrolled: 1-line block ×16, first 2 shown]
	ds_read2_b64 v[37:40], v29 offset0:64 offset1:96
	s_waitcnt lgkmcnt(3)
	v_mul_u32_u24_sdwa v80, v45, v33 dst_sel:DWORD dst_unused:UNUSED_PAD src0_sel:WORD_0 src1_sel:DWORD
	v_mul_u32_u24_sdwa v45, v45, v33 dst_sel:DWORD dst_unused:UNUSED_PAD src0_sel:WORD_1 src1_sel:DWORD
	v_mul_u32_u24_sdwa v85, v46, v33 dst_sel:DWORD dst_unused:UNUSED_PAD src0_sel:WORD_0 src1_sel:DWORD
	v_mul_u32_u24_sdwa v46, v46, v33 dst_sel:DWORD dst_unused:UNUSED_PAD src0_sel:WORD_1 src1_sel:DWORD
	;; [unrolled: 2-line block ×4, first 2 shown]
	v_pk_fma_f16 v81, v43, v80, v81
	v_pk_fma_f16 v82, v43, v45, v82
	;; [unrolled: 1-line block ×16, first 2 shown]
	s_waitcnt lgkmcnt(2)
	v_mul_u32_u24_sdwa v44, v49, v33 dst_sel:DWORD dst_unused:UNUSED_PAD src0_sel:WORD_0 src1_sel:DWORD
	v_mul_u32_u24_sdwa v48, v49, v33 dst_sel:DWORD dst_unused:UNUSED_PAD src0_sel:WORD_1 src1_sel:DWORD
	v_mul_u32_u24_sdwa v49, v50, v33 dst_sel:DWORD dst_unused:UNUSED_PAD src0_sel:WORD_0 src1_sel:DWORD
	v_mul_u32_u24_sdwa v50, v50, v33 dst_sel:DWORD dst_unused:UNUSED_PAD src0_sel:WORD_1 src1_sel:DWORD
	;; [unrolled: 2-line block ×4, first 2 shown]
	s_waitcnt lgkmcnt(0)
	v_pk_fma_f16 v79, v37, v44, v81
	v_pk_fma_f16 v80, v37, v48, v82
	;; [unrolled: 1-line block ×16, first 2 shown]
	v_mul_u32_u24_sdwa v52, v53, v33 dst_sel:DWORD dst_unused:UNUSED_PAD src0_sel:WORD_0 src1_sel:DWORD
	v_mul_u32_u24_sdwa v53, v53, v33 dst_sel:DWORD dst_unused:UNUSED_PAD src0_sel:WORD_1 src1_sel:DWORD
	v_mul_u32_u24_sdwa v63, v54, v33 dst_sel:DWORD dst_unused:UNUSED_PAD src0_sel:WORD_0 src1_sel:DWORD
	v_mul_u32_u24_sdwa v54, v54, v33 dst_sel:DWORD dst_unused:UNUSED_PAD src0_sel:WORD_1 src1_sel:DWORD
	;; [unrolled: 2-line block ×3, first 2 shown]
	v_mul_u32_u24_sdwa v78, v56, v33 dst_sel:DWORD dst_unused:UNUSED_PAD src0_sel:WORD_0 src1_sel:DWORD
	ds_read_b128 v[41:44], v24 offset:576
	v_mul_u32_u24_sdwa v56, v56, v33 dst_sel:DWORD dst_unused:UNUSED_PAD src0_sel:WORD_1 src1_sel:DWORD
	v_pk_fma_f16 v79, v39, v52, v79
	v_pk_fma_f16 v80, v39, v53, v80
	;; [unrolled: 1-line block ×6, first 2 shown]
	ds_read2_b64 v[45:48], v29 offset0:128 offset1:160
	v_pk_fma_f16 v60, v39, v78, v60
	v_pk_fma_f16 v84, v39, v56, v37
	;; [unrolled: 1-line block ×10, first 2 shown]
	ds_read_b128 v[37:40], v24 offset:592
	s_waitcnt lgkmcnt(2)
	v_mul_u32_u24_sdwa v61, v41, v33 dst_sel:DWORD dst_unused:UNUSED_PAD src0_sel:WORD_0 src1_sel:DWORD
	v_mul_u32_u24_sdwa v41, v41, v33 dst_sel:DWORD dst_unused:UNUSED_PAD src0_sel:WORD_1 src1_sel:DWORD
	v_mul_u32_u24_sdwa v62, v42, v33 dst_sel:DWORD dst_unused:UNUSED_PAD src0_sel:WORD_0 src1_sel:DWORD
	v_mul_u32_u24_sdwa v42, v42, v33 dst_sel:DWORD dst_unused:UNUSED_PAD src0_sel:WORD_1 src1_sel:DWORD
	;; [unrolled: 2-line block ×4, first 2 shown]
	s_waitcnt lgkmcnt(1)
	v_pk_fma_f16 v78, v45, v61, v79
	v_pk_fma_f16 v79, v45, v41, v80
	;; [unrolled: 1-line block ×16, first 2 shown]
	s_waitcnt lgkmcnt(0)
	v_mul_u32_u24_sdwa v56, v37, v33 dst_sel:DWORD dst_unused:UNUSED_PAD src0_sel:WORD_0 src1_sel:DWORD
	v_mul_u32_u24_sdwa v61, v37, v33 dst_sel:DWORD dst_unused:UNUSED_PAD src0_sel:WORD_1 src1_sel:DWORD
	v_mul_u32_u24_sdwa v62, v38, v33 dst_sel:DWORD dst_unused:UNUSED_PAD src0_sel:WORD_0 src1_sel:DWORD
	v_mul_u32_u24_sdwa v63, v38, v33 dst_sel:DWORD dst_unused:UNUSED_PAD src0_sel:WORD_1 src1_sel:DWORD
	;; [unrolled: 2-line block ×3, first 2 shown]
	v_mul_u32_u24_sdwa v82, v40, v33 dst_sel:DWORD dst_unused:UNUSED_PAD src0_sel:WORD_0 src1_sel:DWORD
	ds_read_b128 v[41:44], v24 offset:608
	v_mul_u32_u24_sdwa v83, v40, v33 dst_sel:DWORD dst_unused:UNUSED_PAD src0_sel:WORD_1 src1_sel:DWORD
	v_pk_fma_f16 v78, v47, v56, v78
	v_pk_fma_f16 v79, v47, v61, v79
	;; [unrolled: 1-line block ×6, first 2 shown]
	ds_read2_b64 v[37:40], v29 offset0:192 offset1:224
	v_pk_fma_f16 v60, v47, v82, v60
	v_pk_fma_f16 v84, v47, v83, v45
	;; [unrolled: 1-line block ×10, first 2 shown]
	ds_read_b128 v[45:48], v24 offset:624
	s_waitcnt lgkmcnt(2)
	v_mul_u32_u24_sdwa v61, v41, v33 dst_sel:DWORD dst_unused:UNUSED_PAD src0_sel:WORD_0 src1_sel:DWORD
	v_mul_u32_u24_sdwa v41, v41, v33 dst_sel:DWORD dst_unused:UNUSED_PAD src0_sel:WORD_1 src1_sel:DWORD
	v_mul_u32_u24_sdwa v62, v42, v33 dst_sel:DWORD dst_unused:UNUSED_PAD src0_sel:WORD_0 src1_sel:DWORD
	v_mul_u32_u24_sdwa v42, v42, v33 dst_sel:DWORD dst_unused:UNUSED_PAD src0_sel:WORD_1 src1_sel:DWORD
	;; [unrolled: 2-line block ×4, first 2 shown]
	s_waitcnt lgkmcnt(1)
	v_pk_fma_f16 v78, v37, v61, v78
	v_pk_fma_f16 v79, v37, v41, v79
	;; [unrolled: 1-line block ×16, first 2 shown]
	s_waitcnt lgkmcnt(0)
	v_mul_u32_u24_sdwa v56, v45, v33 dst_sel:DWORD dst_unused:UNUSED_PAD src0_sel:WORD_0 src1_sel:DWORD
	v_mul_u32_u24_sdwa v61, v45, v33 dst_sel:DWORD dst_unused:UNUSED_PAD src0_sel:WORD_1 src1_sel:DWORD
	v_mul_u32_u24_sdwa v62, v46, v33 dst_sel:DWORD dst_unused:UNUSED_PAD src0_sel:WORD_0 src1_sel:DWORD
	v_mul_u32_u24_sdwa v63, v46, v33 dst_sel:DWORD dst_unused:UNUSED_PAD src0_sel:WORD_1 src1_sel:DWORD
	;; [unrolled: 2-line block ×3, first 2 shown]
	v_mul_u32_u24_sdwa v82, v48, v33 dst_sel:DWORD dst_unused:UNUSED_PAD src0_sel:WORD_0 src1_sel:DWORD
	ds_read_b128 v[41:44], v24 offset:640
	v_mul_u32_u24_sdwa v83, v48, v33 dst_sel:DWORD dst_unused:UNUSED_PAD src0_sel:WORD_1 src1_sel:DWORD
	v_pk_fma_f16 v78, v39, v56, v78
	v_pk_fma_f16 v79, v39, v61, v79
	;; [unrolled: 1-line block ×6, first 2 shown]
	ds_read2_b64 v[45:48], v35 offset1:32
	v_pk_fma_f16 v60, v39, v82, v60
	v_pk_fma_f16 v84, v39, v83, v37
	v_pk_fma_f16 v52, v40, v56, v52
	v_pk_fma_f16 v53, v40, v61, v53
	v_pk_fma_f16 v49, v40, v62, v49
	v_pk_fma_f16 v50, v40, v63, v50
	v_pk_fma_f16 v54, v40, v64, v54
	v_pk_fma_f16 v51, v40, v81, v51
	v_pk_fma_f16 v55, v40, v82, v55
	v_pk_fma_f16 v56, v40, v83, v38
	ds_read_b128 v[37:40], v24 offset:656
	s_waitcnt lgkmcnt(2)
	v_mul_u32_u24_sdwa v61, v41, v33 dst_sel:DWORD dst_unused:UNUSED_PAD src0_sel:WORD_0 src1_sel:DWORD
	v_mul_u32_u24_sdwa v41, v41, v33 dst_sel:DWORD dst_unused:UNUSED_PAD src0_sel:WORD_1 src1_sel:DWORD
	v_mul_u32_u24_sdwa v62, v42, v33 dst_sel:DWORD dst_unused:UNUSED_PAD src0_sel:WORD_0 src1_sel:DWORD
	v_mul_u32_u24_sdwa v42, v42, v33 dst_sel:DWORD dst_unused:UNUSED_PAD src0_sel:WORD_1 src1_sel:DWORD
	v_mul_u32_u24_sdwa v63, v43, v33 dst_sel:DWORD dst_unused:UNUSED_PAD src0_sel:WORD_0 src1_sel:DWORD
	v_mul_u32_u24_sdwa v43, v43, v33 dst_sel:DWORD dst_unused:UNUSED_PAD src0_sel:WORD_1 src1_sel:DWORD
	v_mul_u32_u24_sdwa v64, v44, v33 dst_sel:DWORD dst_unused:UNUSED_PAD src0_sel:WORD_0 src1_sel:DWORD
	v_mul_u32_u24_sdwa v44, v44, v33 dst_sel:DWORD dst_unused:UNUSED_PAD src0_sel:WORD_1 src1_sel:DWORD
	s_waitcnt lgkmcnt(1)
	v_pk_fma_f16 v78, v45, v61, v78
	v_pk_fma_f16 v79, v45, v41, v79
	v_pk_fma_f16 v80, v45, v62, v80
	v_pk_fma_f16 v57, v45, v42, v57
	v_pk_fma_f16 v58, v45, v63, v58
	v_pk_fma_f16 v59, v45, v43, v59
	v_pk_fma_f16 v60, v45, v64, v60
	v_pk_fma_f16 v45, v45, v44, v84
	v_pk_fma_f16 v52, v46, v61, v52
	v_pk_fma_f16 v53, v46, v41, v53
	v_pk_fma_f16 v49, v46, v62, v49
	v_pk_fma_f16 v50, v46, v42, v50
	v_pk_fma_f16 v54, v46, v63, v54
	v_pk_fma_f16 v51, v46, v43, v51
	v_pk_fma_f16 v55, v46, v64, v55
	v_pk_fma_f16 v46, v46, v44, v56
	s_waitcnt lgkmcnt(0)
	v_mul_u32_u24_sdwa v56, v37, v33 dst_sel:DWORD dst_unused:UNUSED_PAD src0_sel:WORD_0 src1_sel:DWORD
	v_mul_u32_u24_sdwa v61, v37, v33 dst_sel:DWORD dst_unused:UNUSED_PAD src0_sel:WORD_1 src1_sel:DWORD
	v_mul_u32_u24_sdwa v62, v38, v33 dst_sel:DWORD dst_unused:UNUSED_PAD src0_sel:WORD_0 src1_sel:DWORD
	v_mul_u32_u24_sdwa v63, v38, v33 dst_sel:DWORD dst_unused:UNUSED_PAD src0_sel:WORD_1 src1_sel:DWORD
	v_mul_u32_u24_sdwa v64, v39, v33 dst_sel:DWORD dst_unused:UNUSED_PAD src0_sel:WORD_0 src1_sel:DWORD
	v_mul_u32_u24_sdwa v81, v39, v33 dst_sel:DWORD dst_unused:UNUSED_PAD src0_sel:WORD_1 src1_sel:DWORD
	v_mul_u32_u24_sdwa v82, v40, v33 dst_sel:DWORD dst_unused:UNUSED_PAD src0_sel:WORD_0 src1_sel:DWORD
	ds_read_b128 v[41:44], v24 offset:672
	v_mul_u32_u24_sdwa v83, v40, v33 dst_sel:DWORD dst_unused:UNUSED_PAD src0_sel:WORD_1 src1_sel:DWORD
	v_pk_fma_f16 v78, v47, v56, v78
	v_pk_fma_f16 v79, v47, v61, v79
	v_pk_fma_f16 v80, v47, v62, v80
	v_pk_fma_f16 v57, v47, v63, v57
	v_pk_fma_f16 v58, v47, v64, v58
	v_pk_fma_f16 v59, v47, v81, v59
	ds_read2_b64 v[37:40], v35 offset0:64 offset1:96
	v_pk_fma_f16 v60, v47, v82, v60
	v_pk_fma_f16 v84, v47, v83, v45
	v_pk_fma_f16 v52, v48, v56, v52
	v_pk_fma_f16 v53, v48, v61, v53
	v_pk_fma_f16 v49, v48, v62, v49
	v_pk_fma_f16 v50, v48, v63, v50
	v_pk_fma_f16 v54, v48, v64, v54
	v_pk_fma_f16 v51, v48, v81, v51
	v_pk_fma_f16 v55, v48, v82, v55
	v_pk_fma_f16 v56, v48, v83, v46
	ds_read_b128 v[45:48], v24 offset:688
	s_waitcnt lgkmcnt(2)
	v_mul_u32_u24_sdwa v61, v41, v33 dst_sel:DWORD dst_unused:UNUSED_PAD src0_sel:WORD_0 src1_sel:DWORD
	v_mul_u32_u24_sdwa v41, v41, v33 dst_sel:DWORD dst_unused:UNUSED_PAD src0_sel:WORD_1 src1_sel:DWORD
	v_mul_u32_u24_sdwa v62, v42, v33 dst_sel:DWORD dst_unused:UNUSED_PAD src0_sel:WORD_0 src1_sel:DWORD
	v_mul_u32_u24_sdwa v42, v42, v33 dst_sel:DWORD dst_unused:UNUSED_PAD src0_sel:WORD_1 src1_sel:DWORD
	v_mul_u32_u24_sdwa v63, v43, v33 dst_sel:DWORD dst_unused:UNUSED_PAD src0_sel:WORD_0 src1_sel:DWORD
	v_mul_u32_u24_sdwa v43, v43, v33 dst_sel:DWORD dst_unused:UNUSED_PAD src0_sel:WORD_1 src1_sel:DWORD
	v_mul_u32_u24_sdwa v64, v44, v33 dst_sel:DWORD dst_unused:UNUSED_PAD src0_sel:WORD_0 src1_sel:DWORD
	v_mul_u32_u24_sdwa v44, v44, v33 dst_sel:DWORD dst_unused:UNUSED_PAD src0_sel:WORD_1 src1_sel:DWORD
	s_waitcnt lgkmcnt(1)
	v_pk_fma_f16 v78, v37, v61, v78
	v_pk_fma_f16 v79, v37, v41, v79
	v_pk_fma_f16 v80, v37, v62, v80
	v_pk_fma_f16 v57, v37, v42, v57
	v_pk_fma_f16 v58, v37, v63, v58
	v_pk_fma_f16 v59, v37, v43, v59
	v_pk_fma_f16 v60, v37, v64, v60
	v_pk_fma_f16 v37, v37, v44, v84
	v_pk_fma_f16 v52, v38, v61, v52
	v_pk_fma_f16 v53, v38, v41, v53
	v_pk_fma_f16 v49, v38, v62, v49
	v_pk_fma_f16 v50, v38, v42, v50
	v_pk_fma_f16 v54, v38, v63, v54
	v_pk_fma_f16 v51, v38, v43, v51
	v_pk_fma_f16 v55, v38, v64, v55
	v_pk_fma_f16 v38, v38, v44, v56
	s_waitcnt lgkmcnt(0)
	v_mul_u32_u24_sdwa v56, v45, v33 dst_sel:DWORD dst_unused:UNUSED_PAD src0_sel:WORD_0 src1_sel:DWORD
	v_mul_u32_u24_sdwa v61, v45, v33 dst_sel:DWORD dst_unused:UNUSED_PAD src0_sel:WORD_1 src1_sel:DWORD
	v_mul_u32_u24_sdwa v62, v46, v33 dst_sel:DWORD dst_unused:UNUSED_PAD src0_sel:WORD_0 src1_sel:DWORD
	v_mul_u32_u24_sdwa v63, v46, v33 dst_sel:DWORD dst_unused:UNUSED_PAD src0_sel:WORD_1 src1_sel:DWORD
	v_mul_u32_u24_sdwa v64, v47, v33 dst_sel:DWORD dst_unused:UNUSED_PAD src0_sel:WORD_0 src1_sel:DWORD
	v_mul_u32_u24_sdwa v81, v47, v33 dst_sel:DWORD dst_unused:UNUSED_PAD src0_sel:WORD_1 src1_sel:DWORD
	v_mul_u32_u24_sdwa v82, v48, v33 dst_sel:DWORD dst_unused:UNUSED_PAD src0_sel:WORD_0 src1_sel:DWORD
	ds_read_b128 v[41:44], v24 offset:704
	v_mul_u32_u24_sdwa v83, v48, v33 dst_sel:DWORD dst_unused:UNUSED_PAD src0_sel:WORD_1 src1_sel:DWORD
	v_pk_fma_f16 v78, v39, v56, v78
	v_pk_fma_f16 v79, v39, v61, v79
	v_pk_fma_f16 v80, v39, v62, v80
	v_pk_fma_f16 v57, v39, v63, v57
	v_pk_fma_f16 v58, v39, v64, v58
	v_pk_fma_f16 v59, v39, v81, v59
	ds_read2_b64 v[45:48], v35 offset0:128 offset1:160
	v_pk_fma_f16 v60, v39, v82, v60
	v_pk_fma_f16 v84, v39, v83, v37
	v_pk_fma_f16 v52, v40, v56, v52
	v_pk_fma_f16 v53, v40, v61, v53
	v_pk_fma_f16 v49, v40, v62, v49
	v_pk_fma_f16 v50, v40, v63, v50
	v_pk_fma_f16 v54, v40, v64, v54
	v_pk_fma_f16 v51, v40, v81, v51
	v_pk_fma_f16 v55, v40, v82, v55
	v_pk_fma_f16 v56, v40, v83, v38
	ds_read_b128 v[37:40], v24 offset:720
	s_waitcnt lgkmcnt(2)
	v_mul_u32_u24_sdwa v61, v41, v33 dst_sel:DWORD dst_unused:UNUSED_PAD src0_sel:WORD_0 src1_sel:DWORD
	v_mul_u32_u24_sdwa v41, v41, v33 dst_sel:DWORD dst_unused:UNUSED_PAD src0_sel:WORD_1 src1_sel:DWORD
	v_mul_u32_u24_sdwa v62, v42, v33 dst_sel:DWORD dst_unused:UNUSED_PAD src0_sel:WORD_0 src1_sel:DWORD
	v_mul_u32_u24_sdwa v42, v42, v33 dst_sel:DWORD dst_unused:UNUSED_PAD src0_sel:WORD_1 src1_sel:DWORD
	v_mul_u32_u24_sdwa v63, v43, v33 dst_sel:DWORD dst_unused:UNUSED_PAD src0_sel:WORD_0 src1_sel:DWORD
	v_mul_u32_u24_sdwa v43, v43, v33 dst_sel:DWORD dst_unused:UNUSED_PAD src0_sel:WORD_1 src1_sel:DWORD
	v_mul_u32_u24_sdwa v64, v44, v33 dst_sel:DWORD dst_unused:UNUSED_PAD src0_sel:WORD_0 src1_sel:DWORD
	v_mul_u32_u24_sdwa v44, v44, v33 dst_sel:DWORD dst_unused:UNUSED_PAD src0_sel:WORD_1 src1_sel:DWORD
	s_waitcnt lgkmcnt(1)
	v_pk_fma_f16 v78, v45, v61, v78
	v_pk_fma_f16 v79, v45, v41, v79
	v_pk_fma_f16 v80, v45, v62, v80
	v_pk_fma_f16 v57, v45, v42, v57
	v_pk_fma_f16 v58, v45, v63, v58
	v_pk_fma_f16 v59, v45, v43, v59
	v_pk_fma_f16 v60, v45, v64, v60
	v_pk_fma_f16 v45, v45, v44, v84
	v_pk_fma_f16 v52, v46, v61, v52
	v_pk_fma_f16 v53, v46, v41, v53
	v_pk_fma_f16 v49, v46, v62, v49
	v_pk_fma_f16 v50, v46, v42, v50
	v_pk_fma_f16 v54, v46, v63, v54
	v_pk_fma_f16 v51, v46, v43, v51
	v_pk_fma_f16 v55, v46, v64, v55
	v_pk_fma_f16 v46, v46, v44, v56
	s_waitcnt lgkmcnt(0)
	v_mul_u32_u24_sdwa v56, v37, v33 dst_sel:DWORD dst_unused:UNUSED_PAD src0_sel:WORD_0 src1_sel:DWORD
	v_mul_u32_u24_sdwa v61, v37, v33 dst_sel:DWORD dst_unused:UNUSED_PAD src0_sel:WORD_1 src1_sel:DWORD
	v_mul_u32_u24_sdwa v62, v38, v33 dst_sel:DWORD dst_unused:UNUSED_PAD src0_sel:WORD_0 src1_sel:DWORD
	v_mul_u32_u24_sdwa v63, v38, v33 dst_sel:DWORD dst_unused:UNUSED_PAD src0_sel:WORD_1 src1_sel:DWORD
	v_mul_u32_u24_sdwa v64, v39, v33 dst_sel:DWORD dst_unused:UNUSED_PAD src0_sel:WORD_0 src1_sel:DWORD
	v_mul_u32_u24_sdwa v81, v39, v33 dst_sel:DWORD dst_unused:UNUSED_PAD src0_sel:WORD_1 src1_sel:DWORD
	v_mul_u32_u24_sdwa v82, v40, v33 dst_sel:DWORD dst_unused:UNUSED_PAD src0_sel:WORD_0 src1_sel:DWORD
	ds_read_b128 v[41:44], v24 offset:736
	v_mul_u32_u24_sdwa v83, v40, v33 dst_sel:DWORD dst_unused:UNUSED_PAD src0_sel:WORD_1 src1_sel:DWORD
	v_pk_fma_f16 v78, v47, v56, v78
	v_pk_fma_f16 v79, v47, v61, v79
	v_pk_fma_f16 v80, v47, v62, v80
	v_pk_fma_f16 v57, v47, v63, v57
	v_pk_fma_f16 v58, v47, v64, v58
	v_pk_fma_f16 v59, v47, v81, v59
	ds_read2_b64 v[37:40], v35 offset0:192 offset1:224
	v_pk_fma_f16 v35, v47, v82, v60
	v_pk_fma_f16 v60, v47, v83, v45
	;; [unrolled: 1-line block ×10, first 2 shown]
	ds_read_b128 v[45:48], v24 offset:752
	s_waitcnt lgkmcnt(2)
	v_mul_u32_u24_sdwa v61, v41, v33 dst_sel:DWORD dst_unused:UNUSED_PAD src0_sel:WORD_0 src1_sel:DWORD
	v_mul_u32_u24_sdwa v41, v41, v33 dst_sel:DWORD dst_unused:UNUSED_PAD src0_sel:WORD_1 src1_sel:DWORD
	v_mul_u32_u24_sdwa v62, v42, v33 dst_sel:DWORD dst_unused:UNUSED_PAD src0_sel:WORD_0 src1_sel:DWORD
	v_mul_u32_u24_sdwa v42, v42, v33 dst_sel:DWORD dst_unused:UNUSED_PAD src0_sel:WORD_1 src1_sel:DWORD
	;; [unrolled: 2-line block ×4, first 2 shown]
	s_waitcnt lgkmcnt(1)
	v_pk_fma_f16 v78, v37, v61, v78
	v_pk_fma_f16 v79, v37, v41, v79
	;; [unrolled: 1-line block ×16, first 2 shown]
	s_waitcnt lgkmcnt(0)
	v_mul_u32_u24_sdwa v56, v45, v33 dst_sel:DWORD dst_unused:UNUSED_PAD src0_sel:WORD_0 src1_sel:DWORD
	v_mul_u32_u24_sdwa v60, v45, v33 dst_sel:DWORD dst_unused:UNUSED_PAD src0_sel:WORD_1 src1_sel:DWORD
	v_mul_u32_u24_sdwa v61, v46, v33 dst_sel:DWORD dst_unused:UNUSED_PAD src0_sel:WORD_0 src1_sel:DWORD
	v_mul_u32_u24_sdwa v62, v46, v33 dst_sel:DWORD dst_unused:UNUSED_PAD src0_sel:WORD_1 src1_sel:DWORD
	v_mul_u32_u24_sdwa v63, v47, v33 dst_sel:DWORD dst_unused:UNUSED_PAD src0_sel:WORD_0 src1_sel:DWORD
	v_mul_u32_u24_sdwa v64, v47, v33 dst_sel:DWORD dst_unused:UNUSED_PAD src0_sel:WORD_1 src1_sel:DWORD
	v_mul_u32_u24_sdwa v81, v48, v33 dst_sel:DWORD dst_unused:UNUSED_PAD src0_sel:WORD_0 src1_sel:DWORD
	ds_read_b128 v[41:44], v24 offset:768
	v_mul_u32_u24_sdwa v82, v48, v33 dst_sel:DWORD dst_unused:UNUSED_PAD src0_sel:WORD_1 src1_sel:DWORD
	v_pk_fma_f16 v78, v39, v56, v78
	v_pk_fma_f16 v79, v39, v60, v79
	v_pk_fma_f16 v80, v39, v61, v80
	v_pk_fma_f16 v57, v39, v62, v57
	v_pk_fma_f16 v58, v39, v63, v58
	v_pk_fma_f16 v59, v39, v64, v59
	ds_read2_b64 v[45:48], v36 offset1:32
	v_pk_fma_f16 v35, v39, v81, v35
	v_pk_fma_f16 v83, v39, v82, v37
	v_pk_fma_f16 v52, v40, v56, v52
	v_pk_fma_f16 v53, v40, v60, v53
	v_pk_fma_f16 v49, v40, v61, v49
	v_pk_fma_f16 v50, v40, v62, v50
	v_pk_fma_f16 v54, v40, v63, v54
	v_pk_fma_f16 v51, v40, v64, v51
	v_pk_fma_f16 v55, v40, v81, v55
	v_pk_fma_f16 v56, v40, v82, v38
	ds_read_b128 v[37:40], v24 offset:784
	s_waitcnt lgkmcnt(2)
	v_mul_u32_u24_sdwa v60, v41, v33 dst_sel:DWORD dst_unused:UNUSED_PAD src0_sel:WORD_0 src1_sel:DWORD
	v_mul_u32_u24_sdwa v41, v41, v33 dst_sel:DWORD dst_unused:UNUSED_PAD src0_sel:WORD_1 src1_sel:DWORD
	v_mul_u32_u24_sdwa v61, v42, v33 dst_sel:DWORD dst_unused:UNUSED_PAD src0_sel:WORD_0 src1_sel:DWORD
	v_mul_u32_u24_sdwa v42, v42, v33 dst_sel:DWORD dst_unused:UNUSED_PAD src0_sel:WORD_1 src1_sel:DWORD
	v_mul_u32_u24_sdwa v62, v43, v33 dst_sel:DWORD dst_unused:UNUSED_PAD src0_sel:WORD_0 src1_sel:DWORD
	v_mul_u32_u24_sdwa v43, v43, v33 dst_sel:DWORD dst_unused:UNUSED_PAD src0_sel:WORD_1 src1_sel:DWORD
	v_mul_u32_u24_sdwa v63, v44, v33 dst_sel:DWORD dst_unused:UNUSED_PAD src0_sel:WORD_0 src1_sel:DWORD
	v_mul_u32_u24_sdwa v44, v44, v33 dst_sel:DWORD dst_unused:UNUSED_PAD src0_sel:WORD_1 src1_sel:DWORD
	s_waitcnt lgkmcnt(1)
	v_pk_fma_f16 v64, v45, v60, v78
	v_pk_fma_f16 v78, v45, v41, v79
	v_pk_fma_f16 v79, v45, v61, v80
	v_pk_fma_f16 v57, v45, v42, v57
	v_pk_fma_f16 v58, v45, v62, v58
	v_pk_fma_f16 v59, v45, v43, v59
	v_pk_fma_f16 v35, v45, v63, v35
	v_pk_fma_f16 v45, v45, v44, v83
	v_pk_fma_f16 v52, v46, v60, v52
	v_pk_fma_f16 v53, v46, v41, v53
	v_pk_fma_f16 v49, v46, v61, v49
	v_pk_fma_f16 v50, v46, v42, v50
	v_pk_fma_f16 v54, v46, v62, v54
	v_pk_fma_f16 v51, v46, v43, v51
	v_pk_fma_f16 v55, v46, v63, v55
	v_pk_fma_f16 v46, v46, v44, v56
	s_waitcnt lgkmcnt(0)
	v_mul_u32_u24_sdwa v56, v37, v33 dst_sel:DWORD dst_unused:UNUSED_PAD src0_sel:WORD_0 src1_sel:DWORD
	v_mul_u32_u24_sdwa v60, v37, v33 dst_sel:DWORD dst_unused:UNUSED_PAD src0_sel:WORD_1 src1_sel:DWORD
	v_mul_u32_u24_sdwa v61, v38, v33 dst_sel:DWORD dst_unused:UNUSED_PAD src0_sel:WORD_0 src1_sel:DWORD
	v_mul_u32_u24_sdwa v62, v38, v33 dst_sel:DWORD dst_unused:UNUSED_PAD src0_sel:WORD_1 src1_sel:DWORD
	v_mul_u32_u24_sdwa v63, v39, v33 dst_sel:DWORD dst_unused:UNUSED_PAD src0_sel:WORD_0 src1_sel:DWORD
	v_mul_u32_u24_sdwa v80, v39, v33 dst_sel:DWORD dst_unused:UNUSED_PAD src0_sel:WORD_1 src1_sel:DWORD
	v_mul_u32_u24_sdwa v81, v40, v33 dst_sel:DWORD dst_unused:UNUSED_PAD src0_sel:WORD_0 src1_sel:DWORD
	ds_read_b128 v[41:44], v24 offset:800
	v_mul_u32_u24_sdwa v82, v40, v33 dst_sel:DWORD dst_unused:UNUSED_PAD src0_sel:WORD_1 src1_sel:DWORD
	v_pk_fma_f16 v64, v47, v56, v64
	v_pk_fma_f16 v78, v47, v60, v78
	v_pk_fma_f16 v79, v47, v61, v79
	v_pk_fma_f16 v57, v47, v62, v57
	v_pk_fma_f16 v58, v47, v63, v58
	v_pk_fma_f16 v59, v47, v80, v59
	ds_read2_b64 v[37:40], v36 offset0:64 offset1:96
	v_pk_fma_f16 v35, v47, v81, v35
	v_pk_fma_f16 v83, v47, v82, v45
	v_pk_fma_f16 v52, v48, v56, v52
	v_pk_fma_f16 v53, v48, v60, v53
	v_pk_fma_f16 v49, v48, v61, v49
	v_pk_fma_f16 v50, v48, v62, v50
	v_pk_fma_f16 v54, v48, v63, v54
	v_pk_fma_f16 v51, v48, v80, v51
	v_pk_fma_f16 v55, v48, v81, v55
	v_pk_fma_f16 v56, v48, v82, v46
	ds_read_b128 v[45:48], v24 offset:816
	s_waitcnt lgkmcnt(2)
	v_mul_u32_u24_sdwa v60, v41, v33 dst_sel:DWORD dst_unused:UNUSED_PAD src0_sel:WORD_0 src1_sel:DWORD
	v_mul_u32_u24_sdwa v41, v41, v33 dst_sel:DWORD dst_unused:UNUSED_PAD src0_sel:WORD_1 src1_sel:DWORD
	v_mul_u32_u24_sdwa v61, v42, v33 dst_sel:DWORD dst_unused:UNUSED_PAD src0_sel:WORD_0 src1_sel:DWORD
	v_mul_u32_u24_sdwa v42, v42, v33 dst_sel:DWORD dst_unused:UNUSED_PAD src0_sel:WORD_1 src1_sel:DWORD
	v_mul_u32_u24_sdwa v62, v43, v33 dst_sel:DWORD dst_unused:UNUSED_PAD src0_sel:WORD_0 src1_sel:DWORD
	v_mul_u32_u24_sdwa v43, v43, v33 dst_sel:DWORD dst_unused:UNUSED_PAD src0_sel:WORD_1 src1_sel:DWORD
	v_mul_u32_u24_sdwa v63, v44, v33 dst_sel:DWORD dst_unused:UNUSED_PAD src0_sel:WORD_0 src1_sel:DWORD
	v_mul_u32_u24_sdwa v44, v44, v33 dst_sel:DWORD dst_unused:UNUSED_PAD src0_sel:WORD_1 src1_sel:DWORD
	s_waitcnt lgkmcnt(1)
	v_pk_fma_f16 v64, v37, v60, v64
	v_pk_fma_f16 v78, v37, v41, v78
	v_pk_fma_f16 v79, v37, v61, v79
	v_pk_fma_f16 v57, v37, v42, v57
	v_pk_fma_f16 v58, v37, v62, v58
	v_pk_fma_f16 v59, v37, v43, v59
	v_pk_fma_f16 v35, v37, v63, v35
	v_pk_fma_f16 v37, v37, v44, v83
	v_pk_fma_f16 v52, v38, v60, v52
	v_pk_fma_f16 v53, v38, v41, v53
	v_pk_fma_f16 v49, v38, v61, v49
	v_pk_fma_f16 v50, v38, v42, v50
	v_pk_fma_f16 v54, v38, v62, v54
	v_pk_fma_f16 v51, v38, v43, v51
	v_pk_fma_f16 v55, v38, v63, v55
	v_pk_fma_f16 v38, v38, v44, v56
	s_waitcnt lgkmcnt(0)
	v_mul_u32_u24_sdwa v56, v45, v33 dst_sel:DWORD dst_unused:UNUSED_PAD src0_sel:WORD_0 src1_sel:DWORD
	v_mul_u32_u24_sdwa v60, v45, v33 dst_sel:DWORD dst_unused:UNUSED_PAD src0_sel:WORD_1 src1_sel:DWORD
	v_mul_u32_u24_sdwa v61, v46, v33 dst_sel:DWORD dst_unused:UNUSED_PAD src0_sel:WORD_0 src1_sel:DWORD
	v_mul_u32_u24_sdwa v62, v46, v33 dst_sel:DWORD dst_unused:UNUSED_PAD src0_sel:WORD_1 src1_sel:DWORD
	v_mul_u32_u24_sdwa v63, v47, v33 dst_sel:DWORD dst_unused:UNUSED_PAD src0_sel:WORD_0 src1_sel:DWORD
	v_mul_u32_u24_sdwa v80, v47, v33 dst_sel:DWORD dst_unused:UNUSED_PAD src0_sel:WORD_1 src1_sel:DWORD
	v_mul_u32_u24_sdwa v81, v48, v33 dst_sel:DWORD dst_unused:UNUSED_PAD src0_sel:WORD_0 src1_sel:DWORD
	ds_read_b128 v[41:44], v24 offset:832
	v_mul_u32_u24_sdwa v82, v48, v33 dst_sel:DWORD dst_unused:UNUSED_PAD src0_sel:WORD_1 src1_sel:DWORD
	v_pk_fma_f16 v64, v39, v56, v64
	v_pk_fma_f16 v78, v39, v60, v78
	v_pk_fma_f16 v79, v39, v61, v79
	v_pk_fma_f16 v57, v39, v62, v57
	v_pk_fma_f16 v58, v39, v63, v58
	v_pk_fma_f16 v59, v39, v80, v59
	ds_read2_b64 v[45:48], v36 offset0:128 offset1:160
	;; [unrolled: 54-line block ×3, first 2 shown]
	v_pk_fma_f16 v80, v47, v81, v80
	v_pk_fma_f16 v82, v47, v40, v45
	;; [unrolled: 1-line block ×10, first 2 shown]
	ds_read_b128 v[45:48], v24 offset:880
	s_waitcnt lgkmcnt(2)
	v_mul_u32_u24_sdwa v55, v41, v33 dst_sel:DWORD dst_unused:UNUSED_PAD src0_sel:WORD_0 src1_sel:DWORD
	v_mul_u32_u24_sdwa v41, v41, v33 dst_sel:DWORD dst_unused:UNUSED_PAD src0_sel:WORD_1 src1_sel:DWORD
	v_mul_u32_u24_sdwa v56, v42, v33 dst_sel:DWORD dst_unused:UNUSED_PAD src0_sel:WORD_0 src1_sel:DWORD
	v_mul_u32_u24_sdwa v42, v42, v33 dst_sel:DWORD dst_unused:UNUSED_PAD src0_sel:WORD_1 src1_sel:DWORD
	v_mul_u32_u24_sdwa v60, v43, v33 dst_sel:DWORD dst_unused:UNUSED_PAD src0_sel:WORD_0 src1_sel:DWORD
	v_mul_u32_u24_sdwa v43, v43, v33 dst_sel:DWORD dst_unused:UNUSED_PAD src0_sel:WORD_1 src1_sel:DWORD
	v_mul_u32_u24_sdwa v61, v44, v33 dst_sel:DWORD dst_unused:UNUSED_PAD src0_sel:WORD_0 src1_sel:DWORD
	v_mul_u32_u24_sdwa v44, v44, v33 dst_sel:DWORD dst_unused:UNUSED_PAD src0_sel:WORD_1 src1_sel:DWORD
	s_waitcnt lgkmcnt(1)
	v_pk_fma_f16 v62, v35, v55, v64
	v_pk_fma_f16 v63, v35, v41, v78
	;; [unrolled: 1-line block ×16, first 2 shown]
	s_waitcnt lgkmcnt(0)
	v_mul_u32_u24_sdwa v56, v45, v33 dst_sel:DWORD dst_unused:UNUSED_PAD src0_sel:WORD_0 src1_sel:DWORD
	v_mul_u32_u24_sdwa v60, v45, v33 dst_sel:DWORD dst_unused:UNUSED_PAD src0_sel:WORD_1 src1_sel:DWORD
	v_mul_u32_u24_sdwa v61, v46, v33 dst_sel:DWORD dst_unused:UNUSED_PAD src0_sel:WORD_0 src1_sel:DWORD
	v_mul_u32_u24_sdwa v79, v46, v33 dst_sel:DWORD dst_unused:UNUSED_PAD src0_sel:WORD_1 src1_sel:DWORD
	;; [unrolled: 2-line block ×3, first 2 shown]
	v_mul_u32_u24_sdwa v81, v48, v33 dst_sel:DWORD dst_unused:UNUSED_PAD src0_sel:WORD_0 src1_sel:DWORD
	ds_read_b128 v[39:42], v24 offset:896
	v_mul_u32_u24_sdwa v48, v48, v33 dst_sel:DWORD dst_unused:UNUSED_PAD src0_sel:WORD_1 src1_sel:DWORD
	v_pk_fma_f16 v62, v37, v56, v62
	v_pk_fma_f16 v63, v37, v60, v63
	;; [unrolled: 1-line block ×6, first 2 shown]
	ds_read2_b64 v[43:46], v34 offset1:32
	v_pk_fma_f16 v78, v37, v81, v78
	v_pk_fma_f16 v82, v37, v48, v35
	v_pk_fma_f16 v52, v38, v56, v52
	v_pk_fma_f16 v53, v38, v60, v53
	v_pk_fma_f16 v49, v38, v61, v49
	v_pk_fma_f16 v50, v38, v79, v50
	v_pk_fma_f16 v54, v38, v80, v54
	v_pk_fma_f16 v47, v38, v47, v55
	v_pk_fma_f16 v51, v38, v81, v51
	v_pk_fma_f16 v48, v38, v48, v36
	ds_read_b128 v[35:38], v24 offset:912
	s_waitcnt lgkmcnt(2)
	v_mul_u32_u24_sdwa v55, v39, v33 dst_sel:DWORD dst_unused:UNUSED_PAD src0_sel:WORD_0 src1_sel:DWORD
	v_mul_u32_u24_sdwa v39, v39, v33 dst_sel:DWORD dst_unused:UNUSED_PAD src0_sel:WORD_1 src1_sel:DWORD
	v_mul_u32_u24_sdwa v56, v40, v33 dst_sel:DWORD dst_unused:UNUSED_PAD src0_sel:WORD_0 src1_sel:DWORD
	v_mul_u32_u24_sdwa v40, v40, v33 dst_sel:DWORD dst_unused:UNUSED_PAD src0_sel:WORD_1 src1_sel:DWORD
	v_mul_u32_u24_sdwa v60, v41, v33 dst_sel:DWORD dst_unused:UNUSED_PAD src0_sel:WORD_0 src1_sel:DWORD
	v_mul_u32_u24_sdwa v41, v41, v33 dst_sel:DWORD dst_unused:UNUSED_PAD src0_sel:WORD_1 src1_sel:DWORD
	v_mul_u32_u24_sdwa v61, v42, v33 dst_sel:DWORD dst_unused:UNUSED_PAD src0_sel:WORD_0 src1_sel:DWORD
	v_mul_u32_u24_sdwa v42, v42, v33 dst_sel:DWORD dst_unused:UNUSED_PAD src0_sel:WORD_1 src1_sel:DWORD
	s_waitcnt lgkmcnt(1)
	v_pk_fma_f16 v62, v43, v55, v62
	v_pk_fma_f16 v63, v43, v39, v63
	v_pk_fma_f16 v64, v43, v56, v64
	v_pk_fma_f16 v57, v43, v40, v57
	v_pk_fma_f16 v58, v43, v60, v58
	v_pk_fma_f16 v59, v43, v41, v59
	v_pk_fma_f16 v78, v43, v61, v78
	v_pk_fma_f16 v43, v43, v42, v82
	v_pk_fma_f16 v52, v44, v55, v52
	v_pk_fma_f16 v53, v44, v39, v53
	v_pk_fma_f16 v49, v44, v56, v49
	v_pk_fma_f16 v50, v44, v40, v50
	v_pk_fma_f16 v54, v44, v60, v54
	v_pk_fma_f16 v47, v44, v41, v47
	v_pk_fma_f16 v51, v44, v61, v51
	v_pk_fma_f16 v44, v44, v42, v48
	s_waitcnt lgkmcnt(0)
	v_mul_u32_u24_sdwa v48, v35, v33 dst_sel:DWORD dst_unused:UNUSED_PAD src0_sel:WORD_0 src1_sel:DWORD
	v_mul_u32_u24_sdwa v55, v35, v33 dst_sel:DWORD dst_unused:UNUSED_PAD src0_sel:WORD_1 src1_sel:DWORD
	v_mul_u32_u24_sdwa v56, v36, v33 dst_sel:DWORD dst_unused:UNUSED_PAD src0_sel:WORD_0 src1_sel:DWORD
	v_mul_u32_u24_sdwa v60, v36, v33 dst_sel:DWORD dst_unused:UNUSED_PAD src0_sel:WORD_1 src1_sel:DWORD
	v_mul_u32_u24_sdwa v61, v37, v33 dst_sel:DWORD dst_unused:UNUSED_PAD src0_sel:WORD_0 src1_sel:DWORD
	v_mul_u32_u24_sdwa v79, v37, v33 dst_sel:DWORD dst_unused:UNUSED_PAD src0_sel:WORD_1 src1_sel:DWORD
	v_mul_u32_u24_sdwa v80, v38, v33 dst_sel:DWORD dst_unused:UNUSED_PAD src0_sel:WORD_0 src1_sel:DWORD
	ds_read_b128 v[39:42], v24 offset:928
	v_mul_u32_u24_sdwa v81, v38, v33 dst_sel:DWORD dst_unused:UNUSED_PAD src0_sel:WORD_1 src1_sel:DWORD
	v_pk_fma_f16 v62, v45, v48, v62
	v_pk_fma_f16 v63, v45, v55, v63
	v_pk_fma_f16 v64, v45, v56, v64
	v_pk_fma_f16 v57, v45, v60, v57
	v_pk_fma_f16 v58, v45, v61, v58
	v_pk_fma_f16 v59, v45, v79, v59
	ds_read2_b64 v[35:38], v34 offset0:64 offset1:96
	v_pk_fma_f16 v78, v45, v80, v78
	v_pk_fma_f16 v82, v45, v81, v43
	v_pk_fma_f16 v48, v46, v48, v52
	v_pk_fma_f16 v52, v46, v55, v53
	v_pk_fma_f16 v49, v46, v56, v49
	v_pk_fma_f16 v50, v46, v60, v50
	v_pk_fma_f16 v53, v46, v61, v54
	v_pk_fma_f16 v47, v46, v79, v47
	v_pk_fma_f16 v51, v46, v80, v51
	v_pk_fma_f16 v54, v46, v81, v44
	ds_read_b128 v[43:46], v24 offset:944
	s_waitcnt lgkmcnt(2)
	v_mul_u32_u24_sdwa v55, v39, v33 dst_sel:DWORD dst_unused:UNUSED_PAD src0_sel:WORD_0 src1_sel:DWORD
	v_mul_u32_u24_sdwa v39, v39, v33 dst_sel:DWORD dst_unused:UNUSED_PAD src0_sel:WORD_1 src1_sel:DWORD
	v_mul_u32_u24_sdwa v56, v40, v33 dst_sel:DWORD dst_unused:UNUSED_PAD src0_sel:WORD_0 src1_sel:DWORD
	v_mul_u32_u24_sdwa v40, v40, v33 dst_sel:DWORD dst_unused:UNUSED_PAD src0_sel:WORD_1 src1_sel:DWORD
	v_mul_u32_u24_sdwa v60, v41, v33 dst_sel:DWORD dst_unused:UNUSED_PAD src0_sel:WORD_0 src1_sel:DWORD
	v_mul_u32_u24_sdwa v41, v41, v33 dst_sel:DWORD dst_unused:UNUSED_PAD src0_sel:WORD_1 src1_sel:DWORD
	v_mul_u32_u24_sdwa v61, v42, v33 dst_sel:DWORD dst_unused:UNUSED_PAD src0_sel:WORD_0 src1_sel:DWORD
	v_mul_u32_u24_sdwa v42, v42, v33 dst_sel:DWORD dst_unused:UNUSED_PAD src0_sel:WORD_1 src1_sel:DWORD
	s_waitcnt lgkmcnt(1)
	v_pk_fma_f16 v62, v35, v55, v62
	v_pk_fma_f16 v63, v35, v39, v63
	v_pk_fma_f16 v64, v35, v56, v64
	v_pk_fma_f16 v57, v35, v40, v57
	v_pk_fma_f16 v58, v35, v60, v58
	v_pk_fma_f16 v59, v35, v41, v59
	v_pk_fma_f16 v78, v35, v61, v78
	v_pk_fma_f16 v35, v35, v42, v82
	v_pk_fma_f16 v48, v36, v55, v48
	v_pk_fma_f16 v52, v36, v39, v52
	v_pk_fma_f16 v49, v36, v56, v49
	v_pk_fma_f16 v50, v36, v40, v50
	v_pk_fma_f16 v53, v36, v60, v53
	v_pk_fma_f16 v47, v36, v41, v47
	v_pk_fma_f16 v51, v36, v61, v51
	v_pk_fma_f16 v36, v36, v42, v54
	s_waitcnt lgkmcnt(0)
	v_mul_u32_u24_sdwa v54, v43, v33 dst_sel:DWORD dst_unused:UNUSED_PAD src0_sel:WORD_0 src1_sel:DWORD
	v_mul_u32_u24_sdwa v55, v43, v33 dst_sel:DWORD dst_unused:UNUSED_PAD src0_sel:WORD_1 src1_sel:DWORD
	v_mul_u32_u24_sdwa v56, v44, v33 dst_sel:DWORD dst_unused:UNUSED_PAD src0_sel:WORD_0 src1_sel:DWORD
	v_mul_u32_u24_sdwa v60, v44, v33 dst_sel:DWORD dst_unused:UNUSED_PAD src0_sel:WORD_1 src1_sel:DWORD
	v_mul_u32_u24_sdwa v61, v45, v33 dst_sel:DWORD dst_unused:UNUSED_PAD src0_sel:WORD_0 src1_sel:DWORD
	v_mul_u32_u24_sdwa v79, v45, v33 dst_sel:DWORD dst_unused:UNUSED_PAD src0_sel:WORD_1 src1_sel:DWORD
	v_mul_u32_u24_sdwa v80, v46, v33 dst_sel:DWORD dst_unused:UNUSED_PAD src0_sel:WORD_0 src1_sel:DWORD
	ds_read_b128 v[39:42], v24 offset:960
	v_mul_u32_u24_sdwa v81, v46, v33 dst_sel:DWORD dst_unused:UNUSED_PAD src0_sel:WORD_1 src1_sel:DWORD
	v_pk_fma_f16 v62, v37, v54, v62
	v_pk_fma_f16 v63, v37, v55, v63
	v_pk_fma_f16 v64, v37, v56, v64
	v_pk_fma_f16 v57, v37, v60, v57
	v_pk_fma_f16 v58, v37, v61, v58
	v_pk_fma_f16 v59, v37, v79, v59
	ds_read2_b64 v[43:46], v34 offset0:128 offset1:160
	;; [unrolled: 54-line block ×3, first 2 shown]
	v_pk_fma_f16 v78, v45, v81, v78
	v_pk_fma_f16 v43, v45, v38, v43
	v_pk_fma_f16 v45, v46, v54, v55
	v_pk_fma_f16 v52, v46, v35, v52
	v_pk_fma_f16 v54, v46, v61, v56
	v_pk_fma_f16 v55, v46, v36, v79
	v_pk_fma_f16 v56, v46, v37, v60
	ds_read_b128 v[34:37], v24 offset:1008
	s_waitcnt lgkmcnt(0)
	s_barrier
	buffer_gl0_inv
	s_load_dword s18, s[0:1], 0x4
	v_pk_fma_f16 v53, v46, v80, v53
	v_pk_fma_f16 v51, v46, v81, v51
	;; [unrolled: 1-line block ×3, first 2 shown]
	v_mul_u32_u24_sdwa v44, v39, v33 dst_sel:DWORD dst_unused:UNUSED_PAD src0_sel:WORD_0 src1_sel:DWORD
	v_mul_u32_u24_sdwa v39, v39, v33 dst_sel:DWORD dst_unused:UNUSED_PAD src0_sel:WORD_1 src1_sel:DWORD
	v_mul_u32_u24_sdwa v46, v40, v33 dst_sel:DWORD dst_unused:UNUSED_PAD src0_sel:WORD_0 src1_sel:DWORD
	v_mul_u32_u24_sdwa v40, v40, v33 dst_sel:DWORD dst_unused:UNUSED_PAD src0_sel:WORD_1 src1_sel:DWORD
	;; [unrolled: 2-line block ×4, first 2 shown]
	v_pk_fma_f16 v62, v47, v44, v62
	v_pk_fma_f16 v63, v47, v39, v63
	;; [unrolled: 1-line block ×16, first 2 shown]
	v_mul_u32_u24_sdwa v46, v34, v33 dst_sel:DWORD dst_unused:UNUSED_PAD src0_sel:WORD_0 src1_sel:DWORD
	v_mul_u32_u24_sdwa v34, v34, v33 dst_sel:DWORD dst_unused:UNUSED_PAD src0_sel:WORD_1 src1_sel:DWORD
	v_mul_u32_u24_sdwa v56, v35, v33 dst_sel:DWORD dst_unused:UNUSED_PAD src0_sel:WORD_0 src1_sel:DWORD
	v_mul_u32_u24_sdwa v60, v35, v33 dst_sel:DWORD dst_unused:UNUSED_PAD src0_sel:WORD_1 src1_sel:DWORD
	;; [unrolled: 2-line block ×4, first 2 shown]
	s_waitcnt lgkmcnt(0)
	s_lshl_b32 s18, s18, 6
	v_pk_fma_f16 v48, v49, v46, v62
	v_pk_fma_f16 v47, v49, v34, v63
	;; [unrolled: 1-line block ×16, first 2 shown]
	s_add_i32 s6, s18, s6
	s_cmp_ge_i32 s6, s34
	s_cbranch_scc1 .LBB71_75
; %bb.74:                               ;   in Loop: Header=BB71_9 Depth=1
	v_mov_b32_e32 v63, v1
	v_mov_b32_e32 v64, v2
	;; [unrolled: 1-line block ×16, first 2 shown]
	s_branch .LBB71_9
.LBB71_75:
	v_mov_b32_e32 v9, v20
.LBB71_76:
	v_cmp_lt_i32_e32 vcc_lo, v70, v19
	s_cmp_lg_u64 s[16:17], 0
	s_cselect_b32 s0, -1, 0
	s_cmp_eq_u32 s28, 0
	v_cndmask_b32_e32 v10, v9, v70, vcc_lo
	v_cmp_lt_i32_e32 vcc_lo, v68, v19
	s_cselect_b32 s1, -1, 0
	s_and_b32 s0, s1, s0
	v_lshlrev_b32_e32 v10, 2, v10
	v_cndmask_b32_e32 v18, v9, v68, vcc_lo
	v_cmp_lt_i32_e32 vcc_lo, v67, v19
	ds_bpermute_b32 v11, v10, v69
	ds_bpermute_b32 v12, v10, v71
	;; [unrolled: 1-line block ×8, first 2 shown]
	v_lshlrev_b32_e32 v18, 2, v18
	v_cndmask_b32_e32 v29, v9, v67, vcc_lo
	v_cmp_lt_i32_e32 vcc_lo, v66, v19
	v_lshlrev_b32_e32 v29, 2, v29
	s_waitcnt lgkmcnt(7)
	v_add_f32_e32 v11, v69, v11
	s_waitcnt lgkmcnt(6)
	v_add_f32_e32 v12, v71, v12
	;; [unrolled: 2-line block ×8, first 2 shown]
	ds_bpermute_b32 v20, v18, v11
	ds_bpermute_b32 v21, v18, v12
	;; [unrolled: 1-line block ×8, first 2 shown]
	s_waitcnt lgkmcnt(7)
	v_add_f32_e32 v11, v11, v20
	s_waitcnt lgkmcnt(6)
	v_add_f32_e32 v12, v12, v21
	;; [unrolled: 2-line block ×8, first 2 shown]
	ds_bpermute_b32 v18, v29, v11
	ds_bpermute_b32 v20, v29, v12
	;; [unrolled: 1-line block ×8, first 2 shown]
	v_cndmask_b32_e32 v29, v9, v66, vcc_lo
	v_cmp_lt_i32_e32 vcc_lo, v65, v19
	v_lshlrev_b32_e32 v29, 2, v29
	v_cndmask_b32_e32 v9, v9, v65, vcc_lo
	s_and_b32 vcc_lo, exec_lo, s0
	v_lshlrev_b32_e32 v9, 2, v9
	s_waitcnt lgkmcnt(7)
	v_add_f32_e32 v11, v11, v18
	s_waitcnt lgkmcnt(6)
	v_add_f32_e32 v12, v12, v20
	;; [unrolled: 2-line block ×8, first 2 shown]
	ds_bpermute_b32 v18, v29, v11
	ds_bpermute_b32 v20, v29, v12
	;; [unrolled: 1-line block ×8, first 2 shown]
	s_waitcnt lgkmcnt(7)
	v_add_f32_e32 v11, v11, v18
	s_waitcnt lgkmcnt(6)
	v_add_f32_e32 v12, v12, v20
	;; [unrolled: 2-line block ×8, first 2 shown]
	ds_bpermute_b32 v10, v9, v11
	ds_bpermute_b32 v19, v9, v12
	;; [unrolled: 1-line block ×8, first 2 shown]
	s_waitcnt lgkmcnt(7)
	v_add_f32_e32 v9, v11, v10
	s_waitcnt lgkmcnt(6)
	v_add_f32_e32 v10, v12, v19
	;; [unrolled: 2-line block ×8, first 2 shown]
	s_cbranch_vccz .LBB71_79
; %bb.77:
	s_ashr_i32 s31, s30, 31
	v_mov_b32_e32 v17, 0
	s_lshl_b64 s[0:1], s[30:31], 2
	v_max_f32_e32 v18, v2, v2
	s_add_u32 s0, s16, s0
	s_addc_u32 s1, s17, s1
	v_max_f32_e32 v19, v3, v3
	s_clause 0x1
	global_load_dwordx4 v[28:31], v17, s[0:1]
	global_load_dwordx4 v[50:53], v17, s[0:1] offset:16
	v_max_f32_e32 v17, v1, v1
	v_max_f32_e32 v20, v4, v4
	;; [unrolled: 1-line block ×6, first 2 shown]
	v_mov_b32_e32 v26, 0x10001
	s_waitcnt vmcnt(1)
	v_max_f32_e32 v32, v28, v28
	v_max_f32_e32 v33, v29, v29
	;; [unrolled: 1-line block ×4, first 2 shown]
	s_waitcnt vmcnt(0)
	v_max_f32_e32 v56, v50, v50
	v_max_f32_e32 v57, v51, v51
	v_max_f32_e32 v58, v52, v52
	v_max_f32_e32 v59, v53, v53
	v_max_f32_e32 v17, v17, v32
	v_max_f32_e32 v18, v18, v33
	v_max_f32_e32 v19, v19, v54
	v_max_f32_e32 v20, v20, v55
	v_max_f32_e32 v21, v21, v56
	v_max_f32_e32 v22, v22, v57
	v_max_f32_e32 v23, v23, v58
	v_max_f32_e32 v24, v24, v59
	v_sub_f32_e32 v32, v1, v17
	v_sub_f32_e32 v33, v2, v18
	;; [unrolled: 1-line block ×8, first 2 shown]
	v_mov_b32_e32 v1, v17
	v_sub_f32_e32 v28, v28, v17
	v_mov_b32_e32 v2, v18
	v_mov_b32_e32 v3, v19
	;; [unrolled: 1-line block ×7, first 2 shown]
	v_mul_f32_e32 v17, 0x3fb8aa3b, v32
	v_sub_f32_e32 v29, v29, v18
	v_mul_f32_e32 v18, 0x3fb8aa3b, v28
	v_sub_f32_e32 v30, v30, v19
	v_mul_f32_e32 v19, 0x3fb8aa3b, v33
	v_fma_f32 v68, 0x3fb8aa3b, v32, -v17
	v_rndne_f32_e32 v69, v17
	v_fma_f32 v70, 0x3fb8aa3b, v28, -v18
	v_rndne_f32_e32 v71, v18
	v_sub_f32_e32 v31, v31, v20
	v_fmac_f32_e32 v68, 0x32a5705f, v32
	v_sub_f32_e32 v17, v17, v69
	v_mul_f32_e32 v20, 0x3fb8aa3b, v29
	v_fma_f32 v72, 0x3fb8aa3b, v33, -v19
	v_rndne_f32_e32 v73, v19
	v_fmac_f32_e32 v70, 0x32a5705f, v28
	v_sub_f32_e32 v18, v18, v71
	v_add_f32_e32 v17, v17, v68
	v_sub_f32_e32 v50, v50, v21
	v_mul_f32_e32 v21, 0x3fb8aa3b, v54
	v_fma_f32 v74, 0x3fb8aa3b, v29, -v20
	v_rndne_f32_e32 v75, v20
	v_fmac_f32_e32 v72, 0x32a5705f, v33
	v_sub_f32_e32 v19, v19, v73
	v_add_f32_e32 v18, v18, v70
	v_exp_f32_e32 v17, v17
	v_sub_f32_e32 v51, v51, v22
	v_mul_f32_e32 v22, 0x3fb8aa3b, v30
	v_fma_f32 v76, 0x3fb8aa3b, v54, -v21
	v_rndne_f32_e32 v77, v21
	v_cvt_i32_f32_e32 v69, v69
	v_fmac_f32_e32 v74, 0x32a5705f, v29
	v_sub_f32_e32 v20, v20, v75
	v_add_f32_e32 v19, v19, v72
	v_exp_f32_e32 v18, v18
	v_sub_f32_e32 v52, v52, v23
	v_mul_f32_e32 v23, 0x3fb8aa3b, v55
	v_fma_f32 v78, 0x3fb8aa3b, v30, -v22
	v_rndne_f32_e32 v79, v22
	v_cvt_i32_f32_e32 v71, v71
	v_fmac_f32_e32 v76, 0x32a5705f, v54
	v_sub_f32_e32 v21, v21, v77
	v_add_f32_e32 v20, v20, v74
	v_exp_f32_e32 v19, v19
	v_ldexp_f32 v17, v17, v69
	v_cmp_ngt_f32_e32 vcc_lo, 0xc2ce8ed0, v32
	v_sub_f32_e32 v53, v53, v24
	v_mul_f32_e32 v24, 0x3fb8aa3b, v31
	v_fma_f32 v80, 0x3fb8aa3b, v55, -v23
	v_rndne_f32_e32 v81, v23
	v_cvt_i32_f32_e32 v73, v73
	v_fmac_f32_e32 v78, 0x32a5705f, v30
	v_sub_f32_e32 v22, v22, v79
	v_add_f32_e32 v21, v21, v76
	v_exp_f32_e32 v20, v20
	v_ldexp_f32 v18, v18, v71
	v_cndmask_b32_e32 v17, 0, v17, vcc_lo
	v_cmp_ngt_f32_e32 vcc_lo, 0xc2ce8ed0, v28
	v_mul_f32_e32 v60, 0x3fb8aa3b, v56
	v_fma_f32 v82, 0x3fb8aa3b, v31, -v24
	v_rndne_f32_e32 v83, v24
	v_cvt_i32_f32_e32 v75, v75
	v_fmac_f32_e32 v80, 0x32a5705f, v55
	v_sub_f32_e32 v23, v23, v81
	v_add_f32_e32 v22, v22, v78
	v_exp_f32_e32 v21, v21
	v_ldexp_f32 v19, v19, v73
	v_cndmask_b32_e32 v18, 0, v18, vcc_lo
	v_cmp_ngt_f32_e32 vcc_lo, 0xc2ce8ed0, v33
	;; [unrolled: 11-line block ×9, first 2 shown]
	v_fma_f32 v98, 0x3fb8aa3b, v53, -v67
	v_rndne_f32_e32 v99, v67
	v_cvt_i32_f32_e32 v91, v91
	v_fmac_f32_e32 v96, 0x32a5705f, v59
	v_sub_f32_e32 v66, v66, v97
	v_add_f32_e32 v65, v65, v94
	v_exp_f32_e32 v64, v64
	v_ldexp_f32 v62, v62, v89
	v_cndmask_b32_e32 v61, 0, v61, vcc_lo
	v_cmp_ngt_f32_e32 vcc_lo, 0xc2ce8ed0, v57
	v_cvt_i32_f32_e32 v93, v93
	v_fmac_f32_e32 v98, 0x32a5705f, v53
	v_sub_f32_e32 v67, v67, v99
	v_add_f32_e32 v66, v66, v96
	v_exp_f32_e32 v65, v65
	v_ldexp_f32 v63, v63, v91
	v_cndmask_b32_e32 v62, 0, v62, vcc_lo
	v_cmp_ngt_f32_e32 vcc_lo, 0xc2ce8ed0, v51
	v_cvt_i32_f32_e32 v95, v95
	v_add_f32_e32 v67, v67, v98
	v_exp_f32_e32 v66, v66
	v_ldexp_f32 v64, v64, v93
	v_cndmask_b32_e32 v63, 0, v63, vcc_lo
	v_cmp_ngt_f32_e32 vcc_lo, 0xc2ce8ed0, v58
	v_cvt_i32_f32_e32 v97, v97
	v_exp_f32_e32 v67, v67
	v_ldexp_f32 v65, v65, v95
	v_cvt_i32_f32_e32 v99, v99
	v_cndmask_b32_e32 v64, 0, v64, vcc_lo
	v_cmp_ngt_f32_e32 vcc_lo, 0xc2ce8ed0, v52
	v_ldexp_f32 v66, v66, v97
	v_cndmask_b32_e32 v65, 0, v65, vcc_lo
	v_cmp_ngt_f32_e32 vcc_lo, 0xc2ce8ed0, v59
	v_ldexp_f32 v67, v67, v99
	v_cndmask_b32_e32 v66, 0, v66, vcc_lo
	v_cmp_ngt_f32_e32 vcc_lo, 0xc2ce8ed0, v53
	v_cndmask_b32_e32 v67, 0, v67, vcc_lo
	v_cmp_nlt_f32_e32 vcc_lo, 0x42b17218, v32
	v_cndmask_b32_e32 v32, 0x7f800000, v17, vcc_lo
	v_cmp_nlt_f32_e32 vcc_lo, 0x42b17218, v28
	;; [unrolled: 2-line block ×3, first 2 shown]
	v_fmac_f32_e32 v17, v9, v32
	v_cndmask_b32_e32 v28, 0x7f800000, v19, vcc_lo
	v_cmp_nlt_f32_e32 vcc_lo, 0x42b17218, v29
	v_cvt_f16_f32_e32 v9, v32
	v_cndmask_b32_e32 v18, 0x7f800000, v20, vcc_lo
	v_cmp_nlt_f32_e32 vcc_lo, 0x42b17218, v54
	v_fmac_f32_e32 v18, v10, v28
	v_cndmask_b32_e32 v29, 0x7f800000, v21, vcc_lo
	v_cmp_nlt_f32_e32 vcc_lo, 0x42b17218, v30
	v_cvt_f16_f32_e32 v10, v28
	v_mul_u32_u24_sdwa v28, v9, v26 dst_sel:DWORD dst_unused:UNUSED_PAD src0_sel:WORD_0 src1_sel:DWORD
	v_mov_b32_e32 v9, v17
	v_cndmask_b32_e32 v19, 0x7f800000, v22, vcc_lo
	v_cmp_nlt_f32_e32 vcc_lo, 0x42b17218, v55
	v_pk_mul_f16 v48, v48, v28
	v_pk_mul_f16 v49, v49, v28
	v_fmac_f32_e32 v19, v11, v29
	v_cndmask_b32_e32 v30, 0x7f800000, v23, vcc_lo
	v_cmp_nlt_f32_e32 vcc_lo, 0x42b17218, v31
	v_cvt_f16_f32_e32 v11, v29
	v_mul_u32_u24_sdwa v29, v10, v26 dst_sel:DWORD dst_unused:UNUSED_PAD src0_sel:WORD_0 src1_sel:DWORD
	v_mov_b32_e32 v10, v18
	v_cndmask_b32_e32 v20, 0x7f800000, v24, vcc_lo
	v_cmp_nlt_f32_e32 vcc_lo, 0x42b17218, v56
	v_pk_mul_f16 v47, v47, v29
	v_pk_mul_f16 v46, v46, v29
	;; [unrolled: 10-line block ×3, first 2 shown]
	v_fmac_f32_e32 v21, v13, v31
	v_cndmask_b32_e32 v33, 0x7f800000, v62, vcc_lo
	v_cmp_nlt_f32_e32 vcc_lo, 0x42b17218, v51
	v_cvt_f16_f32_e32 v13, v31
	v_mul_u32_u24_sdwa v31, v12, v26 dst_sel:DWORD dst_unused:UNUSED_PAD src0_sel:WORD_0 src1_sel:DWORD
	v_mov_b32_e32 v12, v20
	v_cndmask_b32_e32 v22, 0x7f800000, v63, vcc_lo
	v_cmp_nlt_f32_e32 vcc_lo, 0x42b17218, v58
	v_mul_u32_u24_sdwa v32, v13, v26 dst_sel:DWORD dst_unused:UNUSED_PAD src0_sel:WORD_0 src1_sel:DWORD
	v_mov_b32_e32 v13, v21
	v_pk_mul_f16 v42, v42, v31
	v_fmac_f32_e32 v22, v14, v33
	v_cndmask_b32_e32 v50, 0x7f800000, v64, vcc_lo
	v_cmp_nlt_f32_e32 vcc_lo, 0x42b17218, v52
	v_cvt_f16_f32_e32 v14, v33
	v_pk_mul_f16 v43, v43, v31
	v_pk_mul_f16 v41, v41, v32
	;; [unrolled: 1-line block ×3, first 2 shown]
	v_cndmask_b32_e32 v23, 0x7f800000, v65, vcc_lo
	v_cmp_nlt_f32_e32 vcc_lo, 0x42b17218, v59
	v_mul_u32_u24_sdwa v33, v14, v26 dst_sel:DWORD dst_unused:UNUSED_PAD src0_sel:WORD_0 src1_sel:DWORD
	v_mov_b32_e32 v14, v22
	v_fmac_f32_e32 v23, v15, v50
	v_cndmask_b32_e32 v51, 0x7f800000, v66, vcc_lo
	v_cmp_nlt_f32_e32 vcc_lo, 0x42b17218, v53
	v_cvt_f16_f32_e32 v15, v50
	v_pk_mul_f16 v38, v38, v33
	v_pk_mul_f16 v39, v39, v33
	v_cndmask_b32_e32 v24, 0x7f800000, v67, vcc_lo
	v_mul_u32_u24_sdwa v50, v15, v26 dst_sel:DWORD dst_unused:UNUSED_PAD src0_sel:WORD_0 src1_sel:DWORD
	v_mov_b32_e32 v15, v23
	v_fmac_f32_e32 v24, v16, v51
	v_cvt_f16_f32_e32 v16, v51
	v_pk_mul_f16 v36, v36, v50
	v_pk_mul_f16 v37, v37, v50
	v_mul_u32_u24_sdwa v16, v16, v26 dst_sel:DWORD dst_unused:UNUSED_PAD src0_sel:WORD_0 src1_sel:DWORD
	v_pk_mul_f16 v35, v35, v16
	v_pk_mul_f16 v34, v34, v16
	v_mov_b32_e32 v16, v24
	s_mov_b32 s0, exec_lo
	v_cmpx_gt_i32_e64 s2, v25
	s_cbranch_execnz .LBB71_80
.LBB71_78:
	s_endpgm
.LBB71_79:
	v_mov_b32_e32 v24, v16
	v_mov_b32_e32 v23, v15
	;; [unrolled: 1-line block ×8, first 2 shown]
	s_mov_b32 s0, exec_lo
	v_cmpx_gt_i32_e64 s2, v25
	s_cbranch_execz .LBB71_78
.LBB71_80:
	s_load_dword s1, s[4:5], 0xd4
	v_mov_b32_e32 v28, 1.0
	s_waitcnt lgkmcnt(0)
	s_cmp_lg_u32 s1, 1
	s_cselect_b32 s5, -1, 0
	s_cmp_eq_u32 s1, 1
	s_cselect_b32 s4, -1, 0
	s_and_b32 vcc_lo, exec_lo, s5
	s_cbranch_vccnz .LBB71_82
; %bb.81:
	v_div_scale_f32 v26, null, v9, v9, 1.0
	v_rcp_f32_e32 v28, v26
	v_fma_f32 v29, -v26, v28, 1.0
	v_fmac_f32_e32 v28, v29, v28
	v_div_scale_f32 v29, vcc_lo, 1.0, v9, 1.0
	v_mul_f32_e32 v30, v29, v28
	v_fma_f32 v31, -v26, v30, v29
	v_fmac_f32_e32 v30, v31, v28
	v_fma_f32 v26, -v26, v30, v29
	v_div_fmas_f32 v26, v26, v28, v30
	v_div_fixup_f32 v28, v26, v9, 1.0
.LBB71_82:
	v_mad_u64_u32 v[25:26], null, s7, s2, v[25:26]
	v_mov_b32_e32 v30, 0
	v_cmp_eq_u32_e32 vcc_lo, 0, v0
	v_cvt_f32_f16_e32 v0, v48
	v_cvt_f32_f16_sdwa v9, v48 dst_sel:DWORD dst_unused:UNUSED_PAD src0_sel:WORD_1
	v_cvt_f32_f16_sdwa v32, v49 dst_sel:DWORD dst_unused:UNUSED_PAD src0_sel:WORD_1
	v_mad_u64_u32 v[25:26], null, v25, s3, s[30:31]
	v_mul_f32_e32 v32, v28, v32
	v_mad_u64_u32 v[25:26], null, s1, v25, s[28:29]
	v_cvt_f32_f16_e32 v26, v49
	v_mul_f32_e32 v31, v28, v26
	v_lshl_add_u32 v29, v25, 7, v27
	v_lshlrev_b64 v[48:49], 2, v[29:30]
	v_mul_f32_e32 v29, v28, v0
	v_mul_f32_e32 v30, v28, v9
	v_add_co_u32 v48, s0, s20, v48
	v_add_co_ci_u32_e64 v49, null, s21, v49, s0
	s_and_b32 s0, vcc_lo, s5
	global_store_dwordx4 v[48:49], v[29:32], off
	s_and_saveexec_b32 s2, s0
	s_cbranch_execz .LBB71_84
; %bb.83:
	v_ashrrev_i32_e32 v26, 31, v25
	v_mov_b32_e32 v0, v1
	v_mov_b32_e32 v1, v17
	v_lshlrev_b64 v[28:29], 3, v[25:26]
	v_add_co_u32 v28, vcc_lo, s22, v28
	v_add_co_ci_u32_e64 v29, null, s23, v29, vcc_lo
	global_store_dwordx2 v[28:29], v[0:1], off
.LBB71_84:
	s_or_b32 exec_lo, exec_lo, s2
	v_cndmask_b32_e64 v9, 0, 1, s4
	v_mov_b32_e32 v1, 1.0
	s_andn2_b32 vcc_lo, exec_lo, s4
	s_cbranch_vccnz .LBB71_86
; %bb.85:
	v_div_scale_f32 v0, null, v10, v10, 1.0
	v_rcp_f32_e32 v1, v0
	v_fma_f32 v17, -v0, v1, 1.0
	v_fmac_f32_e32 v1, v17, v1
	v_div_scale_f32 v17, vcc_lo, 1.0, v10, 1.0
	v_mul_f32_e32 v26, v17, v1
	v_fma_f32 v28, -v0, v26, v17
	v_fmac_f32_e32 v26, v28, v1
	v_fma_f32 v0, -v0, v26, v17
	v_div_fmas_f32 v0, v0, v1, v26
	v_div_fixup_f32 v1, v0, v10, 1.0
.LBB71_86:
	v_add_nc_u32_e32 v0, s1, v25
	v_mov_b32_e32 v26, 0
	v_cvt_f32_f16_e32 v10, v47
	v_cvt_f32_f16_sdwa v17, v47 dst_sel:DWORD dst_unused:UNUSED_PAD src0_sel:WORD_1
	v_cvt_f32_f16_e32 v30, v46
	v_lshl_add_u32 v25, v0, 7, v27
	v_cvt_f32_f16_sdwa v31, v46 dst_sel:DWORD dst_unused:UNUSED_PAD src0_sel:WORD_1
	v_mul_f32_e32 v28, v1, v10
	v_mul_f32_e32 v29, v1, v17
	v_mul_f32_e32 v30, v1, v30
	v_lshlrev_b64 v[25:26], 2, v[25:26]
	v_mul_f32_e32 v31, v1, v31
	v_add_co_u32 v25, vcc_lo, s20, v25
	v_add_co_ci_u32_e64 v26, null, s21, v26, vcc_lo
	global_store_dwordx4 v[25:26], v[28:31], off
	s_and_saveexec_b32 s2, s0
	s_cbranch_execz .LBB71_88
; %bb.87:
	v_ashrrev_i32_e32 v1, 31, v0
	v_mov_b32_e32 v17, v2
	v_lshlrev_b64 v[25:26], 3, v[0:1]
	v_add_co_u32 v25, vcc_lo, s22, v25
	v_add_co_ci_u32_e64 v26, null, s23, v26, vcc_lo
	global_store_dwordx2 v[25:26], v[17:18], off
.LBB71_88:
	s_or_b32 exec_lo, exec_lo, s2
	v_cmp_ne_u32_e32 vcc_lo, 1, v9
	v_mov_b32_e32 v1, 1.0
	s_cbranch_vccnz .LBB71_90
; %bb.89:
	v_div_scale_f32 v1, null, v11, v11, 1.0
	v_rcp_f32_e32 v2, v1
	v_fma_f32 v10, -v1, v2, 1.0
	v_fmac_f32_e32 v2, v10, v2
	v_div_scale_f32 v10, vcc_lo, 1.0, v11, 1.0
	v_mul_f32_e32 v17, v10, v2
	v_fma_f32 v18, -v1, v17, v10
	v_fmac_f32_e32 v17, v18, v2
	v_fma_f32 v1, -v1, v17, v10
	v_div_fmas_f32 v1, v1, v2, v17
	v_div_fixup_f32 v1, v1, v11, 1.0
.LBB71_90:
	v_add_nc_u32_e32 v0, s1, v0
	v_mov_b32_e32 v11, 0
	v_cvt_f32_f16_e32 v2, v45
	v_cvt_f32_f16_sdwa v17, v45 dst_sel:DWORD dst_unused:UNUSED_PAD src0_sel:WORD_1
	v_cvt_f32_f16_e32 v18, v44
	v_lshl_add_u32 v10, v0, 7, v27
	v_cvt_f32_f16_sdwa v25, v44 dst_sel:DWORD dst_unused:UNUSED_PAD src0_sel:WORD_1
	v_mul_f32_e32 v28, v1, v2
	v_mul_f32_e32 v29, v1, v17
	v_mul_f32_e32 v30, v1, v18
	v_lshlrev_b64 v[10:11], 2, v[10:11]
	v_mul_f32_e32 v31, v1, v25
	v_add_co_u32 v1, vcc_lo, s20, v10
	v_add_co_ci_u32_e64 v2, null, s21, v11, vcc_lo
	global_store_dwordx4 v[1:2], v[28:31], off
	s_and_saveexec_b32 s2, s0
	s_cbranch_execz .LBB71_92
; %bb.91:
	v_ashrrev_i32_e32 v1, 31, v0
	v_mov_b32_e32 v18, v3
	v_lshlrev_b64 v[1:2], 3, v[0:1]
	v_add_co_u32 v1, vcc_lo, s22, v1
	v_add_co_ci_u32_e64 v2, null, s23, v2, vcc_lo
	global_store_dwordx2 v[1:2], v[18:19], off
.LBB71_92:
	s_or_b32 exec_lo, exec_lo, s2
	v_cmp_ne_u32_e32 vcc_lo, 1, v9
	v_mov_b32_e32 v1, 1.0
	;; [unrolled: 42-line block ×4, first 2 shown]
	s_cbranch_vccnz .LBB71_102
; %bb.101:
	v_div_scale_f32 v1, null, v14, v14, 1.0
	v_rcp_f32_e32 v2, v1
	v_fma_f32 v3, -v1, v2, 1.0
	v_fmac_f32_e32 v2, v3, v2
	v_div_scale_f32 v3, vcc_lo, 1.0, v14, 1.0
	v_mul_f32_e32 v4, v3, v2
	v_fma_f32 v5, -v1, v4, v3
	v_fmac_f32_e32 v4, v5, v2
	v_fma_f32 v1, -v1, v4, v3
	v_div_fmas_f32 v1, v1, v2, v4
	v_div_fixup_f32 v1, v1, v14, 1.0
.LBB71_102:
	v_add_nc_u32_e32 v0, s1, v0
	v_mov_b32_e32 v3, 0
	v_cvt_f32_f16_e32 v4, v38
	v_cvt_f32_f16_sdwa v5, v38 dst_sel:DWORD dst_unused:UNUSED_PAD src0_sel:WORD_1
	v_cvt_f32_f16_e32 v12, v39
	v_lshl_add_u32 v2, v0, 7, v27
	v_cvt_f32_f16_sdwa v13, v39 dst_sel:DWORD dst_unused:UNUSED_PAD src0_sel:WORD_1
	v_lshlrev_b64 v[10:11], 2, v[2:3]
	v_mul_f32_e32 v2, v1, v4
	v_mul_f32_e32 v3, v1, v5
	;; [unrolled: 1-line block ×4, first 2 shown]
	v_add_co_u32 v10, vcc_lo, s20, v10
	v_add_co_ci_u32_e64 v11, null, s21, v11, vcc_lo
	global_store_dwordx4 v[10:11], v[2:5], off
	s_and_saveexec_b32 s2, s0
	s_cbranch_execz .LBB71_104
; %bb.103:
	v_ashrrev_i32_e32 v1, 31, v0
	v_mov_b32_e32 v21, v6
	v_lshlrev_b64 v[1:2], 3, v[0:1]
	v_add_co_u32 v1, vcc_lo, s22, v1
	v_add_co_ci_u32_e64 v2, null, s23, v2, vcc_lo
	global_store_dwordx2 v[1:2], v[21:22], off
.LBB71_104:
	s_or_b32 exec_lo, exec_lo, s2
	v_cmp_ne_u32_e32 vcc_lo, 1, v9
	v_mov_b32_e32 v1, 1.0
	s_cbranch_vccnz .LBB71_106
; %bb.105:
	v_div_scale_f32 v1, null, v15, v15, 1.0
	v_rcp_f32_e32 v2, v1
	v_fma_f32 v3, -v1, v2, 1.0
	v_fmac_f32_e32 v2, v3, v2
	v_div_scale_f32 v3, vcc_lo, 1.0, v15, 1.0
	v_mul_f32_e32 v4, v3, v2
	v_fma_f32 v5, -v1, v4, v3
	v_fmac_f32_e32 v4, v5, v2
	v_fma_f32 v1, -v1, v4, v3
	v_div_fmas_f32 v1, v1, v2, v4
	v_div_fixup_f32 v1, v1, v15, 1.0
.LBB71_106:
	v_add_nc_u32_e32 v0, s1, v0
	v_mov_b32_e32 v3, 0
	v_cvt_f32_f16_e32 v4, v36
	v_cvt_f32_f16_sdwa v5, v36 dst_sel:DWORD dst_unused:UNUSED_PAD src0_sel:WORD_1
	v_cvt_f32_f16_e32 v6, v37
	v_lshl_add_u32 v2, v0, 7, v27
	v_cvt_f32_f16_sdwa v12, v37 dst_sel:DWORD dst_unused:UNUSED_PAD src0_sel:WORD_1
	v_lshlrev_b64 v[10:11], 2, v[2:3]
	v_mul_f32_e32 v2, v1, v4
	v_mul_f32_e32 v3, v1, v5
	;; [unrolled: 1-line block ×4, first 2 shown]
	v_add_co_u32 v10, vcc_lo, s20, v10
	v_add_co_ci_u32_e64 v11, null, s21, v11, vcc_lo
	global_store_dwordx4 v[10:11], v[2:5], off
	s_and_saveexec_b32 s2, s0
	s_cbranch_execz .LBB71_108
; %bb.107:
	v_ashrrev_i32_e32 v1, 31, v0
	v_mov_b32_e32 v22, v7
	v_lshlrev_b64 v[1:2], 3, v[0:1]
	v_add_co_u32 v1, vcc_lo, s22, v1
	v_add_co_ci_u32_e64 v2, null, s23, v2, vcc_lo
	global_store_dwordx2 v[1:2], v[22:23], off
.LBB71_108:
	s_or_b32 exec_lo, exec_lo, s2
	v_cmp_ne_u32_e32 vcc_lo, 1, v9
	v_mov_b32_e32 v1, 1.0
	s_cbranch_vccnz .LBB71_110
; %bb.109:
	v_div_scale_f32 v1, null, v16, v16, 1.0
	v_rcp_f32_e32 v2, v1
	v_fma_f32 v3, -v1, v2, 1.0
	v_fmac_f32_e32 v2, v3, v2
	v_div_scale_f32 v3, vcc_lo, 1.0, v16, 1.0
	v_mul_f32_e32 v4, v3, v2
	v_fma_f32 v5, -v1, v4, v3
	v_fmac_f32_e32 v4, v5, v2
	v_fma_f32 v1, -v1, v4, v3
	v_div_fmas_f32 v1, v1, v2, v4
	v_div_fixup_f32 v1, v1, v16, 1.0
.LBB71_110:
	v_add_nc_u32_e32 v0, s1, v0
	v_mov_b32_e32 v3, 0
	v_cvt_f32_f16_e32 v4, v35
	v_cvt_f32_f16_sdwa v5, v35 dst_sel:DWORD dst_unused:UNUSED_PAD src0_sel:WORD_1
	v_cvt_f32_f16_e32 v9, v34
	v_lshl_add_u32 v2, v0, 7, v27
	v_cvt_f32_f16_sdwa v10, v34 dst_sel:DWORD dst_unused:UNUSED_PAD src0_sel:WORD_1
	v_lshlrev_b64 v[6:7], 2, v[2:3]
	v_mul_f32_e32 v2, v1, v4
	v_mul_f32_e32 v3, v1, v5
	;; [unrolled: 1-line block ×4, first 2 shown]
	v_add_co_u32 v6, vcc_lo, s20, v6
	v_add_co_ci_u32_e64 v7, null, s21, v7, vcc_lo
	global_store_dwordx4 v[6:7], v[2:5], off
	s_and_b32 exec_lo, exec_lo, s0
	s_cbranch_execz .LBB71_78
; %bb.111:
	v_ashrrev_i32_e32 v1, 31, v0
	v_mov_b32_e32 v23, v8
	v_lshlrev_b64 v[0:1], 3, v[0:1]
	v_add_co_u32 v0, vcc_lo, s22, v0
	v_add_co_ci_u32_e64 v1, null, s23, v1, vcc_lo
	global_store_dwordx2 v[0:1], v[23:24], off
	s_endpgm
	.section	.rodata,"a",@progbits
	.p2align	6, 0x0
	.amdhsa_kernel _ZL15flash_attn_tileILi128ELi128ELi8ELi8ELb1EEvPKcS1_S1_S1_S1_PKiPfP15HIP_vector_typeIfLj2EEffffjfiS5_IjLj3EEiiiiiiiiiiiliiliiiiil
		.amdhsa_group_segment_fixed_size 33792
		.amdhsa_private_segment_fixed_size 0
		.amdhsa_kernarg_size 464
		.amdhsa_user_sgpr_count 6
		.amdhsa_user_sgpr_private_segment_buffer 1
		.amdhsa_user_sgpr_dispatch_ptr 0
		.amdhsa_user_sgpr_queue_ptr 0
		.amdhsa_user_sgpr_kernarg_segment_ptr 1
		.amdhsa_user_sgpr_dispatch_id 0
		.amdhsa_user_sgpr_flat_scratch_init 0
		.amdhsa_user_sgpr_private_segment_size 0
		.amdhsa_wavefront_size32 1
		.amdhsa_uses_dynamic_stack 0
		.amdhsa_system_sgpr_private_segment_wavefront_offset 0
		.amdhsa_system_sgpr_workgroup_id_x 1
		.amdhsa_system_sgpr_workgroup_id_y 1
		.amdhsa_system_sgpr_workgroup_id_z 1
		.amdhsa_system_sgpr_workgroup_info 0
		.amdhsa_system_vgpr_workitem_id 1
		.amdhsa_next_free_vgpr 162
		.amdhsa_next_free_sgpr 40
		.amdhsa_reserve_vcc 1
		.amdhsa_reserve_flat_scratch 0
		.amdhsa_float_round_mode_32 0
		.amdhsa_float_round_mode_16_64 0
		.amdhsa_float_denorm_mode_32 3
		.amdhsa_float_denorm_mode_16_64 3
		.amdhsa_dx10_clamp 1
		.amdhsa_ieee_mode 1
		.amdhsa_fp16_overflow 0
		.amdhsa_workgroup_processor_mode 1
		.amdhsa_memory_ordered 1
		.amdhsa_forward_progress 1
		.amdhsa_shared_vgpr_count 0
		.amdhsa_exception_fp_ieee_invalid_op 0
		.amdhsa_exception_fp_denorm_src 0
		.amdhsa_exception_fp_ieee_div_zero 0
		.amdhsa_exception_fp_ieee_overflow 0
		.amdhsa_exception_fp_ieee_underflow 0
		.amdhsa_exception_fp_ieee_inexact 0
		.amdhsa_exception_int_div_zero 0
	.end_amdhsa_kernel
	.section	.text._ZL15flash_attn_tileILi128ELi128ELi8ELi8ELb1EEvPKcS1_S1_S1_S1_PKiPfP15HIP_vector_typeIfLj2EEffffjfiS5_IjLj3EEiiiiiiiiiiiliiliiiiil,"axG",@progbits,_ZL15flash_attn_tileILi128ELi128ELi8ELi8ELb1EEvPKcS1_S1_S1_S1_PKiPfP15HIP_vector_typeIfLj2EEffffjfiS5_IjLj3EEiiiiiiiiiiiliiliiiiil,comdat
.Lfunc_end71:
	.size	_ZL15flash_attn_tileILi128ELi128ELi8ELi8ELb1EEvPKcS1_S1_S1_S1_PKiPfP15HIP_vector_typeIfLj2EEffffjfiS5_IjLj3EEiiiiiiiiiiiliiliiiiil, .Lfunc_end71-_ZL15flash_attn_tileILi128ELi128ELi8ELi8ELb1EEvPKcS1_S1_S1_S1_PKiPfP15HIP_vector_typeIfLj2EEffffjfiS5_IjLj3EEiiiiiiiiiiiliiliiiiil
                                        ; -- End function
	.set _ZL15flash_attn_tileILi128ELi128ELi8ELi8ELb1EEvPKcS1_S1_S1_S1_PKiPfP15HIP_vector_typeIfLj2EEffffjfiS5_IjLj3EEiiiiiiiiiiiliiliiiiil.num_vgpr, 162
	.set _ZL15flash_attn_tileILi128ELi128ELi8ELi8ELb1EEvPKcS1_S1_S1_S1_PKiPfP15HIP_vector_typeIfLj2EEffffjfiS5_IjLj3EEiiiiiiiiiiiliiliiiiil.num_agpr, 0
	.set _ZL15flash_attn_tileILi128ELi128ELi8ELi8ELb1EEvPKcS1_S1_S1_S1_PKiPfP15HIP_vector_typeIfLj2EEffffjfiS5_IjLj3EEiiiiiiiiiiiliiliiiiil.numbered_sgpr, 40
	.set _ZL15flash_attn_tileILi128ELi128ELi8ELi8ELb1EEvPKcS1_S1_S1_S1_PKiPfP15HIP_vector_typeIfLj2EEffffjfiS5_IjLj3EEiiiiiiiiiiiliiliiiiil.num_named_barrier, 0
	.set _ZL15flash_attn_tileILi128ELi128ELi8ELi8ELb1EEvPKcS1_S1_S1_S1_PKiPfP15HIP_vector_typeIfLj2EEffffjfiS5_IjLj3EEiiiiiiiiiiiliiliiiiil.private_seg_size, 0
	.set _ZL15flash_attn_tileILi128ELi128ELi8ELi8ELb1EEvPKcS1_S1_S1_S1_PKiPfP15HIP_vector_typeIfLj2EEffffjfiS5_IjLj3EEiiiiiiiiiiiliiliiiiil.uses_vcc, 1
	.set _ZL15flash_attn_tileILi128ELi128ELi8ELi8ELb1EEvPKcS1_S1_S1_S1_PKiPfP15HIP_vector_typeIfLj2EEffffjfiS5_IjLj3EEiiiiiiiiiiiliiliiiiil.uses_flat_scratch, 0
	.set _ZL15flash_attn_tileILi128ELi128ELi8ELi8ELb1EEvPKcS1_S1_S1_S1_PKiPfP15HIP_vector_typeIfLj2EEffffjfiS5_IjLj3EEiiiiiiiiiiiliiliiiiil.has_dyn_sized_stack, 0
	.set _ZL15flash_attn_tileILi128ELi128ELi8ELi8ELb1EEvPKcS1_S1_S1_S1_PKiPfP15HIP_vector_typeIfLj2EEffffjfiS5_IjLj3EEiiiiiiiiiiiliiliiiiil.has_recursion, 0
	.set _ZL15flash_attn_tileILi128ELi128ELi8ELi8ELb1EEvPKcS1_S1_S1_S1_PKiPfP15HIP_vector_typeIfLj2EEffffjfiS5_IjLj3EEiiiiiiiiiiiliiliiiiil.has_indirect_call, 0
	.section	.AMDGPU.csdata,"",@progbits
; Kernel info:
; codeLenInByte = 50528
; TotalNumSgprs: 42
; NumVgprs: 162
; ScratchSize: 0
; MemoryBound: 0
; FloatMode: 240
; IeeeMode: 1
; LDSByteSize: 33792 bytes/workgroup (compile time only)
; SGPRBlocks: 0
; VGPRBlocks: 20
; NumSGPRsForWavesPerEU: 42
; NumVGPRsForWavesPerEU: 162
; Occupancy: 5
; WaveLimiterHint : 1
; COMPUTE_PGM_RSRC2:SCRATCH_EN: 0
; COMPUTE_PGM_RSRC2:USER_SGPR: 6
; COMPUTE_PGM_RSRC2:TRAP_HANDLER: 0
; COMPUTE_PGM_RSRC2:TGID_X_EN: 1
; COMPUTE_PGM_RSRC2:TGID_Y_EN: 1
; COMPUTE_PGM_RSRC2:TGID_Z_EN: 1
; COMPUTE_PGM_RSRC2:TIDIG_COMP_CNT: 1
	.section	.text._ZL15flash_attn_tileILi128ELi128ELi4ELi8ELb1EEvPKcS1_S1_S1_S1_PKiPfP15HIP_vector_typeIfLj2EEffffjfiS5_IjLj3EEiiiiiiiiiiiliiliiiiil,"axG",@progbits,_ZL15flash_attn_tileILi128ELi128ELi4ELi8ELb1EEvPKcS1_S1_S1_S1_PKiPfP15HIP_vector_typeIfLj2EEffffjfiS5_IjLj3EEiiiiiiiiiiiliiliiiiil,comdat
	.globl	_ZL15flash_attn_tileILi128ELi128ELi4ELi8ELb1EEvPKcS1_S1_S1_S1_PKiPfP15HIP_vector_typeIfLj2EEffffjfiS5_IjLj3EEiiiiiiiiiiiliiliiiiil ; -- Begin function _ZL15flash_attn_tileILi128ELi128ELi4ELi8ELb1EEvPKcS1_S1_S1_S1_PKiPfP15HIP_vector_typeIfLj2EEffffjfiS5_IjLj3EEiiiiiiiiiiiliiliiiiil
	.p2align	8
	.type	_ZL15flash_attn_tileILi128ELi128ELi4ELi8ELb1EEvPKcS1_S1_S1_S1_PKiPfP15HIP_vector_typeIfLj2EEffffjfiS5_IjLj3EEiiiiiiiiiiiliiliiiiil,@function
_ZL15flash_attn_tileILi128ELi128ELi4ELi8ELb1EEvPKcS1_S1_S1_S1_PKiPfP15HIP_vector_typeIfLj2EEffffjfiS5_IjLj3EEiiiiiiiiiiiliiliiiiil: ; @_ZL15flash_attn_tileILi128ELi128ELi4ELi8ELb1EEvPKcS1_S1_S1_S1_PKiPfP15HIP_vector_typeIfLj2EEffffjfiS5_IjLj3EEiiiiiiiiiiiliiliiiiil
; %bb.0:
	s_clause 0x1
	s_load_dwordx4 s[0:3], s[4:5], 0x5c
	s_load_dwordx2 s[30:31], s[4:5], 0x80
	s_mov_b32 s28, s7
	s_mov_b64 s[34:35], 0
	s_waitcnt lgkmcnt(0)
	s_ashr_i32 s7, s3, 31
	s_lshr_b32 s7, s7, 29
	s_add_i32 s7, s3, s7
	s_ashr_i32 s7, s7, 3
	v_cvt_f32_u32_e32 v2, s7
	s_sub_i32 s10, 0, s7
	v_rcp_iflag_f32_e32 v2, v2
	v_mul_f32_e32 v2, 0x4f7ffffe, v2
	v_cvt_u32_f32_e32 v2, v2
	v_readfirstlane_b32 s9, v2
	s_mul_i32 s10, s10, s9
	s_mul_hi_u32 s10, s9, s10
	s_add_i32 s9, s9, s10
	s_mul_hi_u32 s9, s8, s9
	s_mul_i32 s10, s9, s7
	s_add_i32 s11, s9, 1
	s_sub_i32 s10, s8, s10
	s_sub_i32 s12, s10, s7
	s_cmp_ge_u32 s10, s7
	s_cselect_b32 s9, s11, s9
	s_cselect_b32 s10, s12, s10
	s_add_i32 s11, s9, 1
	s_cmp_ge_u32 s10, s7
	s_cselect_b32 s7, s11, s9
	s_abs_i32 s9, s31
	s_lshl_b32 s8, s8, 3
	v_cvt_f32_u32_e32 v2, s9
	s_sub_i32 s11, 0, s9
	s_mul_i32 s12, s7, s3
	s_abs_i32 s13, s3
	s_sub_i32 s29, s8, s12
	v_rcp_iflag_f32_e32 v2, v2
	v_mul_f32_e32 v2, 0x4f7ffffe, v2
	v_cvt_u32_f32_e32 v2, v2
	v_readfirstlane_b32 s10, v2
	s_mul_i32 s11, s11, s10
	s_mul_hi_u32 s11, s10, s11
	s_add_i32 s10, s10, s11
	s_mul_hi_u32 s8, s13, s10
	s_xor_b32 s10, s3, s31
	s_mul_i32 s11, s8, s9
	s_ashr_i32 s10, s10, 31
	s_sub_i32 s11, s13, s11
	s_add_i32 s12, s8, 1
	s_sub_i32 s13, s11, s9
	s_cmp_ge_u32 s11, s9
	s_cselect_b32 s8, s12, s8
	s_cselect_b32 s11, s13, s11
	s_add_i32 s12, s8, 1
	s_cmp_ge_u32 s11, s9
	s_cselect_b32 s8, s12, s8
	s_xor_b32 s8, s8, s10
	s_sub_i32 s33, s8, s10
	s_clause 0x1
	s_load_dwordx16 s[8:23], s[4:5], 0x0
	s_load_dwordx2 s[36:37], s[4:5], 0xb8
	s_abs_i32 s31, s33
	v_cvt_f32_u32_e32 v2, s31
	v_rcp_iflag_f32_e32 v2, v2
	v_mul_f32_e32 v2, 0x4f7ffffe, v2
	s_waitcnt lgkmcnt(0)
	s_cmp_eq_u64 s[14:15], 0
	v_cvt_u32_f32_e32 v2, v2
	v_readfirstlane_b32 s38, v2
	s_cbranch_scc1 .LBB72_2
; %bb.1:
	s_abs_i32 s26, s36
	s_abs_i32 s27, s7
	v_cvt_f32_u32_e32 v2, s26
	s_sub_i32 s25, 0, s26
	v_rcp_iflag_f32_e32 v2, v2
	v_mul_f32_e32 v2, 0x4f7ffffe, v2
	v_cvt_u32_f32_e32 v2, v2
	v_readfirstlane_b32 s24, v2
	s_mul_i32 s25, s25, s24
	s_mul_hi_u32 s25, s24, s25
	s_add_i32 s24, s24, s25
	s_mul_hi_u32 s34, s27, s24
	s_load_dwordx2 s[24:25], s[4:5], 0xc8
	s_mul_i32 s34, s34, s26
	s_sub_i32 s27, s27, s34
	s_ashr_i32 s34, s7, 31
	s_sub_i32 s35, s27, s26
	s_cmp_ge_u32 s27, s26
	s_cselect_b32 s27, s35, s27
	s_sub_i32 s35, s27, s26
	s_cmp_ge_u32 s27, s26
	s_cselect_b32 s26, s35, s27
	s_xor_b32 s26, s26, s34
	s_sub_i32 s26, s26, s34
	s_ashr_i32 s27, s26, 31
	s_waitcnt lgkmcnt(0)
	s_mul_hi_u32 s34, s24, s26
	s_mul_i32 s27, s24, s27
	s_mul_i32 s25, s25, s26
	s_add_i32 s27, s34, s27
	s_mul_i32 s24, s24, s26
	s_add_i32 s27, s27, s25
	s_add_u32 s34, s14, s24
	s_addc_u32 s35, s15, s27
.LBB72_2:
	v_lshrrev_b32_e32 v2, 1, v1
	s_load_dwordx4 s[24:27], s[4:5], 0x70
	v_lshlrev_b32_e32 v45, 3, v0
	v_lshl_add_u32 v25, s6, 2, v2
	v_lshlrev_b32_e32 v2, 2, v1
	v_or_b32_e32 v24, 0x6800, v45
	v_mul_hi_u32 v3, s0, v25
	v_or_b32_e32 v21, 1, v2
	v_or_b32_e32 v23, 3, v2
	;; [unrolled: 1-line block ×3, first 2 shown]
	v_and_b32_e32 v44, 4, v2
	v_and_b32_e32 v16, 5, v21
	;; [unrolled: 1-line block ×3, first 2 shown]
	v_add_nc_u32_e32 v3, v25, v3
	v_and_b32_e32 v17, 6, v22
	v_lshl_add_u32 v21, v21, 8, v24
	s_waitcnt lgkmcnt(0)
	s_mul_i32 s14, s7, s26
	s_mov_b32 s0, s25
	v_lshrrev_b32_e32 v3, s1, v3
	s_mul_i32 s1, s29, s25
	s_ashr_i32 s15, s14, 31
	s_add_u32 s8, s8, s14
	s_addc_u32 s9, s9, s15
	v_mul_lo_u32 v3, v3, s2
	s_ashr_i32 s14, s1, 31
	s_add_u32 s26, s8, s1
	s_addc_u32 s27, s9, s14
	s_ashr_i32 s1, s25, 31
	s_ashr_i32 s25, s24, 31
	s_lshr_b64 s[8:9], s[0:1], 2
	s_lshr_b64 s[14:15], s[24:25], 2
	v_sub_nc_u32_e32 v3, v25, v3
	v_mad_u64_u32 v[6:7], null, s8, v16, 0
	v_mad_u64_u32 v[10:11], null, s8, v18, 0
	;; [unrolled: 1-line block ×3, first 2 shown]
	s_lshr_b32 s0, s25, 2
	v_mad_u64_u32 v[8:9], null, s8, v17, 0
	s_lshr_b32 s1, s1, 2
	v_mad_u64_u32 v[12:13], null, s8, v44, 0
	v_mad_u64_u32 v[14:15], null, s0, v3, v[5:6]
	v_mov_b32_e32 v5, v11
	v_mad_u64_u32 v[15:16], null, s1, v16, v[7:8]
	v_mad_u64_u32 v[16:17], null, s1, v17, v[9:10]
	;; [unrolled: 1-line block ×3, first 2 shown]
	v_mov_b32_e32 v5, v14
	v_mul_lo_u32 v19, s1, v44
	v_lshlrev_b32_e32 v18, 4, v0
	v_mov_b32_e32 v7, v15
	v_mov_b32_e32 v9, v16
	v_lshlrev_b64 v[4:5], 2, v[4:5]
	v_mov_b32_e32 v11, v17
	s_load_dword s0, s[4:5], 0x40
	v_lshlrev_b64 v[6:7], 2, v[6:7]
	v_or_b32_e32 v13, v13, v19
	v_lshlrev_b64 v[14:15], 2, v[8:9]
	v_add_co_u32 v4, vcc_lo, s26, v4
	v_add_co_ci_u32_e64 v5, null, s27, v5, vcc_lo
	v_lshlrev_b64 v[12:13], 2, v[12:13]
	v_add_co_u32 v18, vcc_lo, v4, v18
	v_add_co_ci_u32_e64 v19, null, 0, v5, vcc_lo
	;; [unrolled: 3-line block ×3, first 2 shown]
	v_add_co_u32 v9, vcc_lo, v18, v6
	v_add_co_ci_u32_e64 v10, null, v19, v7, vcc_lo
	v_add_co_u32 v13, vcc_lo, v18, v14
	v_add_co_ci_u32_e64 v14, null, v19, v15, vcc_lo
	;; [unrolled: 2-line block ×3, first 2 shown]
	s_clause 0x3
	global_load_dwordx4 v[5:8], v[4:5], off
	global_load_dwordx4 v[9:12], v[9:10], off
	;; [unrolled: 1-line block ×4, first 2 shown]
	v_lshlrev_b32_e32 v4, 10, v1
	v_lshl_add_u32 v22, v22, 8, v24
	v_lshl_add_u32 v23, v23, 8, v24
	s_cmp_eq_u64 s[18:19], 0
	v_add_nc_u32_e32 v26, v24, v4
	s_waitcnt vmcnt(3) lgkmcnt(0)
	v_fma_mixlo_f16 v5, s0, v5, 0
	v_fma_mixlo_f16 v6, s0, v6, 0
	;; [unrolled: 1-line block ×4, first 2 shown]
	s_waitcnt vmcnt(2)
	v_fma_mixlo_f16 v9, s0, v9, 0
	v_fma_mixlo_f16 v10, s0, v10, 0
	s_waitcnt vmcnt(1)
	v_fma_mixlo_f16 v13, s0, v13, 0
	v_fma_mixlo_f16 v14, s0, v14, 0
	;; [unrolled: 1-line block ×4, first 2 shown]
	s_waitcnt vmcnt(0)
	v_fma_mixlo_f16 v17, s0, v17, 0
	v_fma_mixlo_f16 v18, s0, v18, 0
	v_lshlrev_b32_e32 v6, 16, v6
	v_and_b32_e32 v5, 0xffff, v5
	v_lshlrev_b32_e32 v8, 16, v8
	v_and_b32_e32 v7, 0xffff, v7
	;; [unrolled: 2-line block ×3, first 2 shown]
	v_fma_mixlo_f16 v15, s0, v15, 0
	v_fma_mixlo_f16 v16, s0, v16, 0
	v_lshlrev_b32_e32 v14, 16, v14
	v_and_b32_e32 v13, 0xffff, v13
	v_fma_mixlo_f16 v19, s0, v19, 0
	v_fma_mixlo_f16 v20, s0, v20, 0
	v_lshlrev_b32_e32 v12, 16, v12
	v_and_b32_e32 v11, 0xffff, v11
	v_lshlrev_b32_e32 v18, 16, v18
	v_and_b32_e32 v17, 0xffff, v17
	v_or_b32_e32 v5, v6, v5
	v_or3_b32 v6, v8, v7, 0
	v_or_b32_e32 v7, v10, v9
	v_lshlrev_b32_e32 v16, 16, v16
	v_and_b32_e32 v15, 0xffff, v15
	v_or_b32_e32 v9, v14, v13
	v_lshlrev_b32_e32 v20, 16, v20
	v_and_b32_e32 v19, 0xffff, v19
	v_or3_b32 v8, v12, v11, 0
	v_or_b32_e32 v11, v18, v17
	v_or3_b32 v5, 0, 0, v5
	v_or3_b32 v7, 0, 0, v7
	v_or3_b32 v10, v16, v15, 0
	v_or3_b32 v9, 0, 0, v9
	v_or3_b32 v12, v20, v19, 0
	v_or3_b32 v11, 0, 0, v11
	ds_write_b64 v26, v[5:6]
	ds_write_b64 v21, v[7:8]
	;; [unrolled: 1-line block ×4, first 2 shown]
	s_waitcnt lgkmcnt(0)
	s_barrier
	buffer_gl0_inv
	s_cbranch_scc1 .LBB72_4
; %bb.3:
	s_load_dword s0, s[4:5], 0xd0
	s_mov_b32 s1, 0
	s_waitcnt lgkmcnt(0)
	s_mul_i32 s0, s0, s7
	s_add_i32 s0, s0, s6
	s_lshl_b64 s[0:1], s[0:1], 2
	s_add_u32 s0, s18, s0
	s_addc_u32 s1, s19, s1
	s_load_dword s30, s[0:1], 0x0
.LBB72_4:
	v_mbcnt_lo_u32_b32 v46, -1, 0
	s_lshl_b32 s6, s28, 7
	s_waitcnt lgkmcnt(0)
	s_cmp_lt_i32 s6, s30
	s_cbranch_scc1 .LBB72_7
; %bb.5:
	v_mbcnt_lo_u32_b32 v7, -1, 0
	v_mov_b32_e32 v47, 32
	v_xor_b32_e32 v77, 16, v7
	v_xor_b32_e32 v76, 8, v7
	;; [unrolled: 1-line block ×5, first 2 shown]
	v_lshlrev_b32_e32 v43, 2, v0
	s_cbranch_execz .LBB72_8
; %bb.6:
	v_mov_b32_e32 v66, 0
	v_mov_b32_e32 v5, 0
	;; [unrolled: 1-line block ×16, first 2 shown]
	s_branch .LBB72_76
.LBB72_7:
                                        ; implicit-def: $vgpr7
                                        ; implicit-def: $vgpr47
                                        ; implicit-def: $vgpr77
                                        ; implicit-def: $vgpr76
                                        ; implicit-def: $vgpr75
                                        ; implicit-def: $vgpr74
                                        ; implicit-def: $vgpr73
	v_lshlrev_b32_e32 v43, 2, v0
.LBB72_8:
	s_clause 0x1
	s_load_dwordx4 s[24:27], s[4:5], 0x98
	s_load_dwordx2 s[0:1], s[4:5], 0x8c
	s_sub_i32 s8, 0, s31
	s_abs_i32 s14, s29
	s_mul_i32 s8, s8, s38
	s_ashr_i32 s36, s37, 1
	s_mul_hi_u32 s8, s38, s8
	s_ashr_i32 s15, s29, 31
	s_add_i32 s38, s38, s8
	s_ashr_i32 s33, s33, 31
	s_mul_hi_u32 s37, s14, s38
	s_ashr_i32 s38, s7, 31
	s_load_dwordx2 s[18:19], s[4:5], 0xa8
	s_mul_i32 s39, s37, s31
	v_lshrrev_b32_e32 v5, 3, v0
	v_lshrrev_b32_e32 v8, 4, v0
	v_and_b32_e32 v18, 28, v43
	v_and_b32_e32 v19, 60, v43
	v_add_nc_u32_e32 v52, 0x6800, v4
	v_add_nc_u32_e32 v2, v5, v2
	s_waitcnt lgkmcnt(0)
	s_ashr_i32 s8, s26, 2
	s_ashr_i32 s9, s0, 2
	s_mul_hi_u32 s0, s24, s7
	s_mul_i32 s26, s24, s38
	s_mul_i32 s25, s25, s7
	s_add_i32 s0, s0, s26
	s_mul_i32 s24, s24, s7
	s_add_i32 s0, s0, s25
	s_add_u32 s24, s10, s24
	s_addc_u32 s0, s11, s0
	s_sub_i32 s10, s14, s39
	s_xor_b32 s11, s15, s33
	s_add_i32 s14, s37, 1
	s_sub_i32 s15, s10, s31
	s_cmp_ge_u32 s10, s31
	v_mul_lo_u32 v5, s9, v2
	s_cselect_b32 s14, s14, s37
	s_cselect_b32 s10, s15, s10
	s_add_i32 s15, s14, 1
	s_cmp_ge_u32 s10, s31
	s_load_dword s10, s[4:5], 0x54
	s_cselect_b32 s14, s15, s14
	s_mul_hi_u32 s15, s18, s7
	s_xor_b32 s14, s14, s11
	s_mul_i32 s26, s18, s38
	s_sub_i32 s25, s14, s11
	s_mul_i32 s19, s19, s7
	s_mul_i32 s1, s25, s1
	;; [unrolled: 1-line block ×3, first 2 shown]
	s_ashr_i32 s14, s1, 31
	s_add_u32 s11, s24, s1
	s_addc_u32 s14, s0, s14
	s_add_i32 s0, s15, s26
	s_mul_i32 s1, s18, s7
	s_add_i32 s0, s0, s19
	s_add_u32 s1, s12, s1
	s_addc_u32 s0, s13, s0
	s_ashr_i32 s13, s25, 31
	s_add_u32 s12, s1, s25
	s_addc_u32 s13, s0, s13
	s_lshl_b32 s0, s9, 5
	v_lshl_add_u32 v9, v1, 1, v8
	v_add_nc_u32_e32 v7, s0, v5
	v_lshlrev_b32_e32 v6, 2, v18
	v_lshlrev_b32_e32 v11, 2, v19
	v_add_nc_u32_e32 v55, 0x4800, v4
	v_mul_lo_u32 v10, s8, v9
	v_add_nc_u32_e32 v1, s0, v7
	v_mad_u32_u24 v48, 0x90, v2, v6
	v_ashrrev_i32_e32 v6, 31, v5
	v_ashrrev_i32_e32 v8, 31, v7
	v_lshl_or_b32 v54, v9, 8, v11
	v_add_nc_u32_e32 v12, s0, v1
	s_lshl_b32 s0, s8, 4
	v_mad_u64_u32 v[26:27], null, v3, s36, v[0:1]
	v_add_nc_u32_e32 v14, s0, v10
	v_ashrrev_i32_e32 v2, 31, v1
	v_ashrrev_i32_e32 v13, 31, v12
	;; [unrolled: 1-line block ×3, first 2 shown]
	v_lshlrev_b64 v[27:28], 2, v[5:6]
	v_add_nc_u32_e32 v16, s0, v14
	v_ashrrev_i32_e32 v15, 31, v14
	v_lshlrev_b64 v[29:30], 2, v[7:8]
	v_lshlrev_b64 v[31:32], 2, v[1:2]
	;; [unrolled: 1-line block ×3, first 2 shown]
	v_add_nc_u32_e32 v3, s0, v16
	v_ashrrev_i32_e32 v17, 31, v16
	v_lshlrev_b64 v[35:36], 2, v[10:11]
	v_lshlrev_b64 v[37:38], 2, v[14:15]
	v_mov_b32_e32 v21, 0
	v_ashrrev_i32_e32 v4, 31, v3
	v_lshlrev_b64 v[39:40], 2, v[16:17]
	v_add_nc_u32_e32 v49, 0x1200, v48
	v_add_nc_u32_e32 v50, 0x2400, v48
	;; [unrolled: 1-line block ×3, first 2 shown]
	v_lshlrev_b64 v[41:42], 2, v[3:4]
	v_mul_u32_u24_e32 v53, 0x90, v0
	v_add_nc_u32_e32 v56, 0x1000, v54
	v_add_nc_u32_e32 v57, 0x2000, v54
	;; [unrolled: 1-line block ×3, first 2 shown]
	v_mov_b32_e32 v9, 0xfeffffff
	v_lshlrev_b32_e32 v59, 2, v18
	v_mov_b32_e32 v47, 32
	v_lshlrev_b32_e32 v60, 2, v19
	v_mov_b32_e32 v61, 0x10001
	v_mov_b32_e32 v22, 0
	;; [unrolled: 1-line block ×15, first 2 shown]
	s_add_u32 s0, s4, 0xd0
	s_addc_u32 s1, s5, 0
	s_mov_b32 s15, 0xbbbac73d
.LBB72_9:                               ; =>This Inner Loop Header: Depth=1
	s_mul_hi_i32 s19, s6, s9
	s_mul_i32 s18, s6, s9
	v_mov_b32_e32 v73, 0
	s_lshl_b64 s[18:19], s[18:19], 2
	v_mov_b32_e32 v18, 0
	s_add_u32 s18, s11, s18
	s_addc_u32 s19, s14, s19
	v_add_co_u32 v1, vcc_lo, s18, v27
	v_add_co_ci_u32_e64 v2, null, s19, v28, vcc_lo
	v_add_co_u32 v3, vcc_lo, s18, v29
	v_add_co_ci_u32_e64 v4, null, s19, v30, vcc_lo
	;; [unrolled: 2-line block ×8, first 2 shown]
	s_clause 0x3
	global_load_dwordx4 v[10:13], v[1:2], off
	global_load_dwordx4 v[74:77], v[3:4], off
	;; [unrolled: 1-line block ×4, first 2 shown]
	v_mov_b32_e32 v14, 0
	v_mov_b32_e32 v19, 0
	;; [unrolled: 1-line block ×6, first 2 shown]
	s_waitcnt vmcnt(3)
	ds_write_b128 v48, v[10:13]
	s_waitcnt vmcnt(2)
	ds_write_b128 v49, v[74:77]
	;; [unrolled: 2-line block ×4, first 2 shown]
	s_waitcnt lgkmcnt(0)
	s_barrier
	buffer_gl0_inv
	ds_read_b128 v[79:82], v53
	ds_read_b128 v[83:86], v52
	ds_read_b128 v[87:90], v52 offset:256
	ds_read_b128 v[91:94], v52 offset:512
	;; [unrolled: 1-line block ×6, first 2 shown]
	s_waitcnt lgkmcnt(6)
	;;#ASMSTART
	v_dot2_f32_f16 v73, v79, v83, v73
	;;#ASMEND
	;;#ASMSTART
	v_dot2_f32_f16 v73, v80, v84, v73
	;;#ASMEND
	;;#ASMSTART
	v_dot2_f32_f16 v73, v81, v85, v73
	;;#ASMEND
	;;#ASMSTART
	v_dot2_f32_f16 v73, v82, v86, v73
	;;#ASMEND
	s_waitcnt lgkmcnt(5)
	;;#ASMSTART
	v_dot2_f32_f16 v18, v79, v87, v18
	;;#ASMEND
	;;#ASMSTART
	v_dot2_f32_f16 v18, v80, v88, v18
	;;#ASMEND
	;; [unrolled: 3-line block ×4, first 2 shown]
	s_waitcnt lgkmcnt(4)
	;;#ASMSTART
	v_dot2_f32_f16 v14, v79, v91, v14
	;;#ASMEND
	;;#ASMSTART
	v_dot2_f32_f16 v14, v80, v92, v14
	;;#ASMEND
	v_mov_b32_e32 v10, 0
	;;#ASMSTART
	v_dot2_f32_f16 v14, v81, v93, v14
	;;#ASMEND
	;;#ASMSTART
	v_dot2_f32_f16 v14, v82, v94, v14
	;;#ASMEND
	s_waitcnt lgkmcnt(3)
	;;#ASMSTART
	v_dot2_f32_f16 v10, v79, v95, v10
	;;#ASMEND
	;;#ASMSTART
	v_dot2_f32_f16 v10, v80, v96, v10
	;;#ASMEND
	v_mov_b32_e32 v74, 0
	;;#ASMSTART
	v_dot2_f32_f16 v10, v81, v97, v10
	;;#ASMEND
	;;#ASMSTART
	v_dot2_f32_f16 v10, v82, v98, v10
	;;#ASMEND
	s_waitcnt lgkmcnt(2)
	;;#ASMSTART
	v_dot2_f32_f16 v74, v99, v83, v74
	;;#ASMEND
	;;#ASMSTART
	v_dot2_f32_f16 v74, v100, v84, v74
	;;#ASMEND
	;;#ASMSTART
	v_dot2_f32_f16 v74, v101, v85, v74
	;;#ASMEND
	;;#ASMSTART
	v_dot2_f32_f16 v74, v102, v86, v74
	;;#ASMEND
	;;#ASMSTART
	v_dot2_f32_f16 v19, v99, v87, v19
	;;#ASMEND
	;;#ASMSTART
	v_dot2_f32_f16 v19, v100, v88, v19
	;;#ASMEND
	;;#ASMSTART
	v_dot2_f32_f16 v19, v101, v89, v19
	;;#ASMEND
	;;#ASMSTART
	v_dot2_f32_f16 v19, v102, v90, v19
	;;#ASMEND
	;;#ASMSTART
	v_dot2_f32_f16 v15, v99, v91, v15
	;;#ASMEND
	;;#ASMSTART
	v_dot2_f32_f16 v15, v100, v92, v15
	;;#ASMEND
	v_mov_b32_e32 v11, 0
	;;#ASMSTART
	v_dot2_f32_f16 v15, v101, v93, v15
	;;#ASMEND
	;;#ASMSTART
	v_dot2_f32_f16 v15, v102, v94, v15
	;;#ASMEND
	;; [unrolled: 3-line block ×4, first 2 shown]
	v_mov_b32_e32 v75, 0
	;;#ASMSTART
	v_dot2_f32_f16 v11, v101, v97, v11
	;;#ASMEND
	;;#ASMSTART
	v_dot2_f32_f16 v11, v102, v98, v11
	;;#ASMEND
	s_waitcnt lgkmcnt(1)
	;;#ASMSTART
	v_dot2_f32_f16 v75, v103, v83, v75
	;;#ASMEND
	;;#ASMSTART
	v_dot2_f32_f16 v75, v104, v84, v75
	;;#ASMEND
	;;#ASMSTART
	v_dot2_f32_f16 v75, v105, v85, v75
	;;#ASMEND
	;;#ASMSTART
	v_dot2_f32_f16 v75, v106, v86, v75
	;;#ASMEND
	;;#ASMSTART
	v_dot2_f32_f16 v20, v103, v87, v20
	;;#ASMEND
	;;#ASMSTART
	v_dot2_f32_f16 v20, v104, v88, v20
	;;#ASMEND
	;;#ASMSTART
	v_dot2_f32_f16 v20, v105, v89, v20
	;;#ASMEND
	;;#ASMSTART
	v_dot2_f32_f16 v20, v106, v90, v20
	;;#ASMEND
	;;#ASMSTART
	v_dot2_f32_f16 v16, v103, v91, v16
	;;#ASMEND
	;;#ASMSTART
	v_dot2_f32_f16 v16, v104, v92, v16
	;;#ASMEND
	v_mov_b32_e32 v12, 0
	;;#ASMSTART
	v_dot2_f32_f16 v16, v105, v93, v16
	;;#ASMEND
	;;#ASMSTART
	v_dot2_f32_f16 v16, v106, v94, v16
	;;#ASMEND
	;; [unrolled: 3-line block ×4, first 2 shown]
	v_mov_b32_e32 v76, 0
	;;#ASMSTART
	v_dot2_f32_f16 v12, v105, v97, v12
	;;#ASMEND
	;;#ASMSTART
	v_dot2_f32_f16 v12, v106, v98, v12
	;;#ASMEND
	s_waitcnt lgkmcnt(0)
	;;#ASMSTART
	v_dot2_f32_f16 v76, v107, v83, v76
	;;#ASMEND
	;;#ASMSTART
	v_dot2_f32_f16 v76, v108, v84, v76
	;;#ASMEND
	v_mov_b32_e32 v78, 0
	;;#ASMSTART
	v_dot2_f32_f16 v76, v109, v85, v76
	;;#ASMEND
	;;#ASMSTART
	v_dot2_f32_f16 v76, v110, v86, v76
	;;#ASMEND
	;; [unrolled: 3-line block ×8, first 2 shown]
	v_mov_b32_e32 v13, 0
	;;#ASMSTART
	v_dot2_f32_f16 v17, v109, v93, v17
	;;#ASMEND
	;;#ASMSTART
	v_dot2_f32_f16 v17, v110, v94, v17
	;;#ASMEND
	;; [unrolled: 3-line block ×6, first 2 shown]
	ds_read_b128 v[79:82], v53 offset:16
	ds_read_b128 v[83:86], v52 offset:16
	;; [unrolled: 1-line block ×8, first 2 shown]
	s_waitcnt lgkmcnt(6)
	;;#ASMSTART
	v_dot2_f32_f16 v73, v79, v83, v73
	;;#ASMEND
	;;#ASMSTART
	v_dot2_f32_f16 v73, v80, v84, v73
	;;#ASMEND
	;;#ASMSTART
	v_dot2_f32_f16 v73, v81, v85, v73
	;;#ASMEND
	;;#ASMSTART
	v_dot2_f32_f16 v73, v82, v86, v73
	;;#ASMEND
	s_waitcnt lgkmcnt(5)
	;;#ASMSTART
	v_dot2_f32_f16 v18, v79, v87, v18
	;;#ASMEND
	;;#ASMSTART
	v_dot2_f32_f16 v18, v80, v88, v18
	;;#ASMEND
	;;#ASMSTART
	v_dot2_f32_f16 v18, v81, v89, v18
	;;#ASMEND
	;;#ASMSTART
	v_dot2_f32_f16 v18, v82, v90, v18
	;;#ASMEND
	;; [unrolled: 13-line block ×5, first 2 shown]
	;;#ASMSTART
	v_dot2_f32_f16 v19, v99, v87, v19
	;;#ASMEND
	;;#ASMSTART
	v_dot2_f32_f16 v19, v100, v88, v19
	;;#ASMEND
	;; [unrolled: 3-line block ×12, first 2 shown]
	s_waitcnt lgkmcnt(1)
	;;#ASMSTART
	v_dot2_f32_f16 v75, v103, v83, v75
	;;#ASMEND
	;;#ASMSTART
	v_dot2_f32_f16 v75, v104, v84, v75
	;;#ASMEND
	;; [unrolled: 3-line block ×16, first 2 shown]
	s_waitcnt lgkmcnt(0)
	;;#ASMSTART
	v_dot2_f32_f16 v76, v107, v83, v76
	;;#ASMEND
	;;#ASMSTART
	v_dot2_f32_f16 v76, v108, v84, v76
	;;#ASMEND
	;; [unrolled: 3-line block ×16, first 2 shown]
	ds_read_b128 v[79:82], v53 offset:32
	ds_read_b128 v[83:86], v52 offset:32
	;; [unrolled: 1-line block ×8, first 2 shown]
	s_waitcnt lgkmcnt(6)
	;;#ASMSTART
	v_dot2_f32_f16 v73, v79, v83, v73
	;;#ASMEND
	;;#ASMSTART
	v_dot2_f32_f16 v73, v80, v84, v73
	;;#ASMEND
	;;#ASMSTART
	v_dot2_f32_f16 v73, v81, v85, v73
	;;#ASMEND
	;;#ASMSTART
	v_dot2_f32_f16 v73, v82, v86, v73
	;;#ASMEND
	s_waitcnt lgkmcnt(5)
	;;#ASMSTART
	v_dot2_f32_f16 v18, v79, v87, v18
	;;#ASMEND
	;;#ASMSTART
	v_dot2_f32_f16 v18, v80, v88, v18
	;;#ASMEND
	;;#ASMSTART
	v_dot2_f32_f16 v18, v81, v89, v18
	;;#ASMEND
	;;#ASMSTART
	v_dot2_f32_f16 v18, v82, v90, v18
	;;#ASMEND
	;; [unrolled: 13-line block ×5, first 2 shown]
	;;#ASMSTART
	v_dot2_f32_f16 v19, v99, v87, v19
	;;#ASMEND
	;;#ASMSTART
	v_dot2_f32_f16 v19, v100, v88, v19
	;;#ASMEND
	;; [unrolled: 3-line block ×12, first 2 shown]
	s_waitcnt lgkmcnt(1)
	;;#ASMSTART
	v_dot2_f32_f16 v75, v103, v83, v75
	;;#ASMEND
	;;#ASMSTART
	v_dot2_f32_f16 v75, v104, v84, v75
	;;#ASMEND
	;; [unrolled: 3-line block ×16, first 2 shown]
	s_waitcnt lgkmcnt(0)
	;;#ASMSTART
	v_dot2_f32_f16 v76, v107, v83, v76
	;;#ASMEND
	;;#ASMSTART
	v_dot2_f32_f16 v76, v108, v84, v76
	;;#ASMEND
	;; [unrolled: 3-line block ×16, first 2 shown]
	ds_read_b128 v[79:82], v53 offset:48
	ds_read_b128 v[83:86], v52 offset:48
	;; [unrolled: 1-line block ×8, first 2 shown]
	s_waitcnt lgkmcnt(6)
	;;#ASMSTART
	v_dot2_f32_f16 v73, v79, v83, v73
	;;#ASMEND
	;;#ASMSTART
	v_dot2_f32_f16 v73, v80, v84, v73
	;;#ASMEND
	;;#ASMSTART
	v_dot2_f32_f16 v73, v81, v85, v73
	;;#ASMEND
	;;#ASMSTART
	v_dot2_f32_f16 v73, v82, v86, v73
	;;#ASMEND
	s_waitcnt lgkmcnt(5)
	;;#ASMSTART
	v_dot2_f32_f16 v18, v79, v87, v18
	;;#ASMEND
	;;#ASMSTART
	v_dot2_f32_f16 v18, v80, v88, v18
	;;#ASMEND
	;;#ASMSTART
	v_dot2_f32_f16 v18, v81, v89, v18
	;;#ASMEND
	;;#ASMSTART
	v_dot2_f32_f16 v18, v82, v90, v18
	;;#ASMEND
	;; [unrolled: 13-line block ×5, first 2 shown]
	;;#ASMSTART
	v_dot2_f32_f16 v19, v99, v87, v19
	;;#ASMEND
	;;#ASMSTART
	v_dot2_f32_f16 v19, v100, v88, v19
	;;#ASMEND
	;;#ASMSTART
	v_dot2_f32_f16 v19, v101, v89, v19
	;;#ASMEND
	;;#ASMSTART
	v_dot2_f32_f16 v19, v102, v90, v19
	;;#ASMEND
	;;#ASMSTART
	v_dot2_f32_f16 v15, v99, v91, v15
	;;#ASMEND
	;;#ASMSTART
	v_dot2_f32_f16 v15, v100, v92, v15
	;;#ASMEND
	;;#ASMSTART
	v_dot2_f32_f16 v15, v101, v93, v15
	;;#ASMEND
	;;#ASMSTART
	v_dot2_f32_f16 v15, v102, v94, v15
	;;#ASMEND
	;;#ASMSTART
	v_dot2_f32_f16 v11, v99, v95, v11
	;;#ASMEND
	;;#ASMSTART
	v_dot2_f32_f16 v11, v100, v96, v11
	;;#ASMEND
	;;#ASMSTART
	v_dot2_f32_f16 v11, v101, v97, v11
	;;#ASMEND
	;;#ASMSTART
	v_dot2_f32_f16 v11, v102, v98, v11
	;;#ASMEND
	s_waitcnt lgkmcnt(1)
	;;#ASMSTART
	v_dot2_f32_f16 v75, v103, v83, v75
	;;#ASMEND
	;;#ASMSTART
	v_dot2_f32_f16 v75, v104, v84, v75
	;;#ASMEND
	;; [unrolled: 3-line block ×16, first 2 shown]
	s_waitcnt lgkmcnt(0)
	;;#ASMSTART
	v_dot2_f32_f16 v76, v107, v83, v76
	;;#ASMEND
	;;#ASMSTART
	v_dot2_f32_f16 v76, v108, v84, v76
	;;#ASMEND
	;; [unrolled: 3-line block ×16, first 2 shown]
	ds_read_b128 v[79:82], v53 offset:64
	ds_read_b128 v[83:86], v52 offset:64
	;; [unrolled: 1-line block ×8, first 2 shown]
	s_waitcnt lgkmcnt(6)
	;;#ASMSTART
	v_dot2_f32_f16 v73, v79, v83, v73
	;;#ASMEND
	;;#ASMSTART
	v_dot2_f32_f16 v73, v80, v84, v73
	;;#ASMEND
	;;#ASMSTART
	v_dot2_f32_f16 v73, v81, v85, v73
	;;#ASMEND
	;;#ASMSTART
	v_dot2_f32_f16 v73, v82, v86, v73
	;;#ASMEND
	s_waitcnt lgkmcnt(5)
	;;#ASMSTART
	v_dot2_f32_f16 v18, v79, v87, v18
	;;#ASMEND
	;;#ASMSTART
	v_dot2_f32_f16 v18, v80, v88, v18
	;;#ASMEND
	;;#ASMSTART
	v_dot2_f32_f16 v18, v81, v89, v18
	;;#ASMEND
	;;#ASMSTART
	v_dot2_f32_f16 v18, v82, v90, v18
	;;#ASMEND
	s_waitcnt lgkmcnt(4)
	;;#ASMSTART
	v_dot2_f32_f16 v14, v79, v91, v14
	;;#ASMEND
	;;#ASMSTART
	v_dot2_f32_f16 v14, v80, v92, v14
	;;#ASMEND
	;;#ASMSTART
	v_dot2_f32_f16 v14, v81, v93, v14
	;;#ASMEND
	;;#ASMSTART
	v_dot2_f32_f16 v14, v82, v94, v14
	;;#ASMEND
	s_waitcnt lgkmcnt(3)
	;;#ASMSTART
	v_dot2_f32_f16 v10, v79, v95, v10
	;;#ASMEND
	;;#ASMSTART
	v_dot2_f32_f16 v10, v80, v96, v10
	;;#ASMEND
	;;#ASMSTART
	v_dot2_f32_f16 v10, v81, v97, v10
	;;#ASMEND
	;;#ASMSTART
	v_dot2_f32_f16 v10, v82, v98, v10
	;;#ASMEND
	s_waitcnt lgkmcnt(2)
	;;#ASMSTART
	v_dot2_f32_f16 v74, v99, v83, v74
	;;#ASMEND
	;;#ASMSTART
	v_dot2_f32_f16 v74, v100, v84, v74
	;;#ASMEND
	;;#ASMSTART
	v_dot2_f32_f16 v74, v101, v85, v74
	;;#ASMEND
	;;#ASMSTART
	v_dot2_f32_f16 v74, v102, v86, v74
	;;#ASMEND
	;;#ASMSTART
	v_dot2_f32_f16 v19, v99, v87, v19
	;;#ASMEND
	;;#ASMSTART
	v_dot2_f32_f16 v19, v100, v88, v19
	;;#ASMEND
	;;#ASMSTART
	v_dot2_f32_f16 v19, v101, v89, v19
	;;#ASMEND
	;;#ASMSTART
	v_dot2_f32_f16 v19, v102, v90, v19
	;;#ASMEND
	;;#ASMSTART
	v_dot2_f32_f16 v15, v99, v91, v15
	;;#ASMEND
	;;#ASMSTART
	v_dot2_f32_f16 v15, v100, v92, v15
	;;#ASMEND
	;;#ASMSTART
	v_dot2_f32_f16 v15, v101, v93, v15
	;;#ASMEND
	;;#ASMSTART
	v_dot2_f32_f16 v15, v102, v94, v15
	;;#ASMEND
	;;#ASMSTART
	v_dot2_f32_f16 v11, v99, v95, v11
	;;#ASMEND
	;;#ASMSTART
	v_dot2_f32_f16 v11, v100, v96, v11
	;;#ASMEND
	;;#ASMSTART
	v_dot2_f32_f16 v11, v101, v97, v11
	;;#ASMEND
	;;#ASMSTART
	v_dot2_f32_f16 v11, v102, v98, v11
	;;#ASMEND
	s_waitcnt lgkmcnt(1)
	;;#ASMSTART
	v_dot2_f32_f16 v75, v103, v83, v75
	;;#ASMEND
	;;#ASMSTART
	v_dot2_f32_f16 v75, v104, v84, v75
	;;#ASMEND
	;; [unrolled: 3-line block ×16, first 2 shown]
	s_waitcnt lgkmcnt(0)
	;;#ASMSTART
	v_dot2_f32_f16 v76, v107, v83, v76
	;;#ASMEND
	;;#ASMSTART
	v_dot2_f32_f16 v76, v108, v84, v76
	;;#ASMEND
	;; [unrolled: 3-line block ×16, first 2 shown]
	ds_read_b128 v[79:82], v53 offset:80
	ds_read_b128 v[83:86], v52 offset:80
	;; [unrolled: 1-line block ×8, first 2 shown]
	s_waitcnt lgkmcnt(6)
	;;#ASMSTART
	v_dot2_f32_f16 v73, v79, v83, v73
	;;#ASMEND
	;;#ASMSTART
	v_dot2_f32_f16 v73, v80, v84, v73
	;;#ASMEND
	;;#ASMSTART
	v_dot2_f32_f16 v73, v81, v85, v73
	;;#ASMEND
	;;#ASMSTART
	v_dot2_f32_f16 v73, v82, v86, v73
	;;#ASMEND
	s_waitcnt lgkmcnt(5)
	;;#ASMSTART
	v_dot2_f32_f16 v18, v79, v87, v18
	;;#ASMEND
	;;#ASMSTART
	v_dot2_f32_f16 v18, v80, v88, v18
	;;#ASMEND
	;;#ASMSTART
	v_dot2_f32_f16 v18, v81, v89, v18
	;;#ASMEND
	;;#ASMSTART
	v_dot2_f32_f16 v18, v82, v90, v18
	;;#ASMEND
	;; [unrolled: 13-line block ×5, first 2 shown]
	;;#ASMSTART
	v_dot2_f32_f16 v19, v99, v87, v19
	;;#ASMEND
	;;#ASMSTART
	v_dot2_f32_f16 v19, v100, v88, v19
	;;#ASMEND
	;; [unrolled: 3-line block ×12, first 2 shown]
	s_waitcnt lgkmcnt(1)
	;;#ASMSTART
	v_dot2_f32_f16 v75, v103, v83, v75
	;;#ASMEND
	;;#ASMSTART
	v_dot2_f32_f16 v75, v104, v84, v75
	;;#ASMEND
	;; [unrolled: 3-line block ×16, first 2 shown]
	s_waitcnt lgkmcnt(0)
	;;#ASMSTART
	v_dot2_f32_f16 v76, v107, v83, v76
	;;#ASMEND
	;;#ASMSTART
	v_dot2_f32_f16 v76, v108, v84, v76
	;;#ASMEND
	;; [unrolled: 3-line block ×16, first 2 shown]
	ds_read_b128 v[79:82], v53 offset:96
	ds_read_b128 v[83:86], v52 offset:96
	;; [unrolled: 1-line block ×8, first 2 shown]
	s_waitcnt lgkmcnt(6)
	;;#ASMSTART
	v_dot2_f32_f16 v73, v79, v83, v73
	;;#ASMEND
	;;#ASMSTART
	v_dot2_f32_f16 v73, v80, v84, v73
	;;#ASMEND
	;;#ASMSTART
	v_dot2_f32_f16 v73, v81, v85, v73
	;;#ASMEND
	;;#ASMSTART
	v_dot2_f32_f16 v73, v82, v86, v73
	;;#ASMEND
	s_waitcnt lgkmcnt(5)
	;;#ASMSTART
	v_dot2_f32_f16 v18, v79, v87, v18
	;;#ASMEND
	;;#ASMSTART
	v_dot2_f32_f16 v18, v80, v88, v18
	;;#ASMEND
	;;#ASMSTART
	v_dot2_f32_f16 v18, v81, v89, v18
	;;#ASMEND
	;;#ASMSTART
	v_dot2_f32_f16 v18, v82, v90, v18
	;;#ASMEND
	;; [unrolled: 13-line block ×5, first 2 shown]
	;;#ASMSTART
	v_dot2_f32_f16 v19, v99, v87, v19
	;;#ASMEND
	;;#ASMSTART
	v_dot2_f32_f16 v19, v100, v88, v19
	;;#ASMEND
	;; [unrolled: 3-line block ×12, first 2 shown]
	s_waitcnt lgkmcnt(1)
	;;#ASMSTART
	v_dot2_f32_f16 v75, v103, v83, v75
	;;#ASMEND
	;;#ASMSTART
	v_dot2_f32_f16 v75, v104, v84, v75
	;;#ASMEND
	;; [unrolled: 3-line block ×16, first 2 shown]
	s_waitcnt lgkmcnt(0)
	;;#ASMSTART
	v_dot2_f32_f16 v76, v107, v83, v76
	;;#ASMEND
	;;#ASMSTART
	v_dot2_f32_f16 v76, v108, v84, v76
	;;#ASMEND
	;; [unrolled: 3-line block ×16, first 2 shown]
	ds_read_b128 v[79:82], v53 offset:112
	ds_read_b128 v[83:86], v52 offset:112
	;; [unrolled: 1-line block ×8, first 2 shown]
	s_waitcnt lgkmcnt(6)
	;;#ASMSTART
	v_dot2_f32_f16 v73, v79, v83, v73
	;;#ASMEND
	;;#ASMSTART
	v_dot2_f32_f16 v73, v80, v84, v73
	;;#ASMEND
	;;#ASMSTART
	v_dot2_f32_f16 v73, v81, v85, v73
	;;#ASMEND
	;;#ASMSTART
	v_dot2_f32_f16 v73, v82, v86, v73
	;;#ASMEND
	s_waitcnt lgkmcnt(5)
	;;#ASMSTART
	v_dot2_f32_f16 v18, v79, v87, v18
	;;#ASMEND
	;;#ASMSTART
	v_dot2_f32_f16 v18, v80, v88, v18
	;;#ASMEND
	;;#ASMSTART
	v_dot2_f32_f16 v18, v81, v89, v18
	;;#ASMEND
	;;#ASMSTART
	v_dot2_f32_f16 v18, v82, v90, v18
	;;#ASMEND
	;; [unrolled: 13-line block ×5, first 2 shown]
	;;#ASMSTART
	v_dot2_f32_f16 v19, v99, v87, v19
	;;#ASMEND
	;;#ASMSTART
	v_dot2_f32_f16 v19, v100, v88, v19
	;;#ASMEND
	;; [unrolled: 3-line block ×12, first 2 shown]
	s_waitcnt lgkmcnt(1)
	;;#ASMSTART
	v_dot2_f32_f16 v75, v103, v83, v75
	;;#ASMEND
	;;#ASMSTART
	v_dot2_f32_f16 v75, v104, v84, v75
	;;#ASMEND
	;; [unrolled: 3-line block ×16, first 2 shown]
	s_waitcnt lgkmcnt(0)
	;;#ASMSTART
	v_dot2_f32_f16 v76, v107, v83, v76
	;;#ASMEND
	;;#ASMSTART
	v_dot2_f32_f16 v76, v108, v84, v76
	;;#ASMEND
	;; [unrolled: 3-line block ×16, first 2 shown]
	s_barrier
	buffer_gl0_inv
	s_clause 0x3
	global_load_dwordx4 v[79:82], v[1:2], off offset:128
	global_load_dwordx4 v[1:4], v[3:4], off offset:128
	;; [unrolled: 1-line block ×4, first 2 shown]
	s_waitcnt vmcnt(3)
	ds_write_b128 v48, v[79:82]
	s_waitcnt vmcnt(2)
	ds_write_b128 v49, v[1:4]
	;; [unrolled: 2-line block ×4, first 2 shown]
	s_waitcnt lgkmcnt(0)
	s_barrier
	buffer_gl0_inv
	ds_read_b128 v[1:4], v53
	ds_read_b128 v[5:8], v52 offset:128
	ds_read_b128 v[79:82], v52 offset:384
	;; [unrolled: 1-line block ×7, first 2 shown]
	s_waitcnt lgkmcnt(6)
	;;#ASMSTART
	v_dot2_f32_f16 v73, v1, v5, v73
	;;#ASMEND
	;;#ASMSTART
	v_dot2_f32_f16 v73, v2, v6, v73
	;;#ASMEND
	;;#ASMSTART
	v_dot2_f32_f16 v73, v3, v7, v73
	;;#ASMEND
	;;#ASMSTART
	v_dot2_f32_f16 v73, v4, v8, v73
	;;#ASMEND
	s_waitcnt lgkmcnt(5)
	;;#ASMSTART
	v_dot2_f32_f16 v18, v1, v79, v18
	;;#ASMEND
	;;#ASMSTART
	v_dot2_f32_f16 v18, v2, v80, v18
	;;#ASMEND
	;;#ASMSTART
	v_dot2_f32_f16 v18, v3, v81, v18
	;;#ASMEND
	;;#ASMSTART
	v_dot2_f32_f16 v18, v4, v82, v18
	;;#ASMEND
	;; [unrolled: 13-line block ×5, first 2 shown]
	;;#ASMSTART
	v_dot2_f32_f16 v19, v91, v79, v19
	;;#ASMEND
	;;#ASMSTART
	v_dot2_f32_f16 v19, v92, v80, v19
	;;#ASMEND
	;; [unrolled: 3-line block ×12, first 2 shown]
	s_waitcnt lgkmcnt(1)
	;;#ASMSTART
	v_dot2_f32_f16 v75, v95, v5, v75
	;;#ASMEND
	;;#ASMSTART
	v_dot2_f32_f16 v75, v96, v6, v75
	;;#ASMEND
	;; [unrolled: 3-line block ×16, first 2 shown]
	s_waitcnt lgkmcnt(0)
	;;#ASMSTART
	v_dot2_f32_f16 v76, v99, v5, v76
	;;#ASMEND
	;;#ASMSTART
	v_dot2_f32_f16 v76, v100, v6, v76
	;;#ASMEND
	;; [unrolled: 3-line block ×16, first 2 shown]
	ds_read_b128 v[1:4], v53 offset:16
	ds_read_b128 v[5:8], v52 offset:144
	;; [unrolled: 1-line block ×8, first 2 shown]
	s_waitcnt lgkmcnt(6)
	;;#ASMSTART
	v_dot2_f32_f16 v73, v1, v5, v73
	;;#ASMEND
	;;#ASMSTART
	v_dot2_f32_f16 v73, v2, v6, v73
	;;#ASMEND
	;;#ASMSTART
	v_dot2_f32_f16 v73, v3, v7, v73
	;;#ASMEND
	;;#ASMSTART
	v_dot2_f32_f16 v73, v4, v8, v73
	;;#ASMEND
	s_waitcnt lgkmcnt(5)
	;;#ASMSTART
	v_dot2_f32_f16 v18, v1, v79, v18
	;;#ASMEND
	;;#ASMSTART
	v_dot2_f32_f16 v18, v2, v80, v18
	;;#ASMEND
	;;#ASMSTART
	v_dot2_f32_f16 v18, v3, v81, v18
	;;#ASMEND
	;;#ASMSTART
	v_dot2_f32_f16 v18, v4, v82, v18
	;;#ASMEND
	;; [unrolled: 13-line block ×5, first 2 shown]
	;;#ASMSTART
	v_dot2_f32_f16 v19, v91, v79, v19
	;;#ASMEND
	;;#ASMSTART
	v_dot2_f32_f16 v19, v92, v80, v19
	;;#ASMEND
	;; [unrolled: 3-line block ×12, first 2 shown]
	s_waitcnt lgkmcnt(1)
	;;#ASMSTART
	v_dot2_f32_f16 v75, v95, v5, v75
	;;#ASMEND
	;;#ASMSTART
	v_dot2_f32_f16 v75, v96, v6, v75
	;;#ASMEND
	;; [unrolled: 3-line block ×16, first 2 shown]
	s_waitcnt lgkmcnt(0)
	;;#ASMSTART
	v_dot2_f32_f16 v76, v99, v5, v76
	;;#ASMEND
	;;#ASMSTART
	v_dot2_f32_f16 v76, v100, v6, v76
	;;#ASMEND
	;; [unrolled: 3-line block ×16, first 2 shown]
	ds_read_b128 v[1:4], v53 offset:32
	ds_read_b128 v[5:8], v52 offset:160
	;; [unrolled: 1-line block ×8, first 2 shown]
	s_waitcnt lgkmcnt(6)
	;;#ASMSTART
	v_dot2_f32_f16 v73, v1, v5, v73
	;;#ASMEND
	;;#ASMSTART
	v_dot2_f32_f16 v73, v2, v6, v73
	;;#ASMEND
	;;#ASMSTART
	v_dot2_f32_f16 v73, v3, v7, v73
	;;#ASMEND
	;;#ASMSTART
	v_dot2_f32_f16 v73, v4, v8, v73
	;;#ASMEND
	s_waitcnt lgkmcnt(5)
	;;#ASMSTART
	v_dot2_f32_f16 v18, v1, v79, v18
	;;#ASMEND
	;;#ASMSTART
	v_dot2_f32_f16 v18, v2, v80, v18
	;;#ASMEND
	;;#ASMSTART
	v_dot2_f32_f16 v18, v3, v81, v18
	;;#ASMEND
	;;#ASMSTART
	v_dot2_f32_f16 v18, v4, v82, v18
	;;#ASMEND
	;; [unrolled: 13-line block ×5, first 2 shown]
	;;#ASMSTART
	v_dot2_f32_f16 v19, v91, v79, v19
	;;#ASMEND
	;;#ASMSTART
	v_dot2_f32_f16 v19, v92, v80, v19
	;;#ASMEND
	;;#ASMSTART
	v_dot2_f32_f16 v19, v93, v81, v19
	;;#ASMEND
	;;#ASMSTART
	v_dot2_f32_f16 v19, v94, v82, v19
	;;#ASMEND
	;;#ASMSTART
	v_dot2_f32_f16 v15, v91, v83, v15
	;;#ASMEND
	;;#ASMSTART
	v_dot2_f32_f16 v15, v92, v84, v15
	;;#ASMEND
	;;#ASMSTART
	v_dot2_f32_f16 v15, v93, v85, v15
	;;#ASMEND
	;;#ASMSTART
	v_dot2_f32_f16 v15, v94, v86, v15
	;;#ASMEND
	;;#ASMSTART
	v_dot2_f32_f16 v11, v91, v87, v11
	;;#ASMEND
	;;#ASMSTART
	v_dot2_f32_f16 v11, v92, v88, v11
	;;#ASMEND
	;;#ASMSTART
	v_dot2_f32_f16 v11, v93, v89, v11
	;;#ASMEND
	;;#ASMSTART
	v_dot2_f32_f16 v11, v94, v90, v11
	;;#ASMEND
	s_waitcnt lgkmcnt(1)
	;;#ASMSTART
	v_dot2_f32_f16 v75, v95, v5, v75
	;;#ASMEND
	;;#ASMSTART
	v_dot2_f32_f16 v75, v96, v6, v75
	;;#ASMEND
	;; [unrolled: 3-line block ×16, first 2 shown]
	s_waitcnt lgkmcnt(0)
	;;#ASMSTART
	v_dot2_f32_f16 v76, v99, v5, v76
	;;#ASMEND
	;;#ASMSTART
	v_dot2_f32_f16 v76, v100, v6, v76
	;;#ASMEND
	;; [unrolled: 3-line block ×16, first 2 shown]
	ds_read_b128 v[1:4], v53 offset:48
	ds_read_b128 v[5:8], v52 offset:176
	;; [unrolled: 1-line block ×8, first 2 shown]
	s_waitcnt lgkmcnt(6)
	;;#ASMSTART
	v_dot2_f32_f16 v73, v1, v5, v73
	;;#ASMEND
	;;#ASMSTART
	v_dot2_f32_f16 v73, v2, v6, v73
	;;#ASMEND
	;;#ASMSTART
	v_dot2_f32_f16 v73, v3, v7, v73
	;;#ASMEND
	;;#ASMSTART
	v_dot2_f32_f16 v73, v4, v8, v73
	;;#ASMEND
	s_waitcnt lgkmcnt(5)
	;;#ASMSTART
	v_dot2_f32_f16 v18, v1, v79, v18
	;;#ASMEND
	;;#ASMSTART
	v_dot2_f32_f16 v18, v2, v80, v18
	;;#ASMEND
	;;#ASMSTART
	v_dot2_f32_f16 v18, v3, v81, v18
	;;#ASMEND
	;;#ASMSTART
	v_dot2_f32_f16 v18, v4, v82, v18
	;;#ASMEND
	;; [unrolled: 13-line block ×5, first 2 shown]
	;;#ASMSTART
	v_dot2_f32_f16 v19, v91, v79, v19
	;;#ASMEND
	;;#ASMSTART
	v_dot2_f32_f16 v19, v92, v80, v19
	;;#ASMEND
	;; [unrolled: 3-line block ×12, first 2 shown]
	s_waitcnt lgkmcnt(1)
	;;#ASMSTART
	v_dot2_f32_f16 v75, v95, v5, v75
	;;#ASMEND
	;;#ASMSTART
	v_dot2_f32_f16 v75, v96, v6, v75
	;;#ASMEND
	;; [unrolled: 3-line block ×16, first 2 shown]
	s_waitcnt lgkmcnt(0)
	;;#ASMSTART
	v_dot2_f32_f16 v76, v99, v5, v76
	;;#ASMEND
	;;#ASMSTART
	v_dot2_f32_f16 v76, v100, v6, v76
	;;#ASMEND
	;; [unrolled: 3-line block ×16, first 2 shown]
	ds_read_b128 v[1:4], v53 offset:64
	ds_read_b128 v[5:8], v52 offset:192
	;; [unrolled: 1-line block ×8, first 2 shown]
	s_waitcnt lgkmcnt(6)
	;;#ASMSTART
	v_dot2_f32_f16 v73, v1, v5, v73
	;;#ASMEND
	;;#ASMSTART
	v_dot2_f32_f16 v73, v2, v6, v73
	;;#ASMEND
	;;#ASMSTART
	v_dot2_f32_f16 v73, v3, v7, v73
	;;#ASMEND
	;;#ASMSTART
	v_dot2_f32_f16 v73, v4, v8, v73
	;;#ASMEND
	s_waitcnt lgkmcnt(5)
	;;#ASMSTART
	v_dot2_f32_f16 v18, v1, v79, v18
	;;#ASMEND
	;;#ASMSTART
	v_dot2_f32_f16 v18, v2, v80, v18
	;;#ASMEND
	;;#ASMSTART
	v_dot2_f32_f16 v18, v3, v81, v18
	;;#ASMEND
	;;#ASMSTART
	v_dot2_f32_f16 v18, v4, v82, v18
	;;#ASMEND
	;; [unrolled: 13-line block ×5, first 2 shown]
	;;#ASMSTART
	v_dot2_f32_f16 v19, v91, v79, v19
	;;#ASMEND
	;;#ASMSTART
	v_dot2_f32_f16 v19, v92, v80, v19
	;;#ASMEND
	;; [unrolled: 3-line block ×12, first 2 shown]
	s_waitcnt lgkmcnt(1)
	;;#ASMSTART
	v_dot2_f32_f16 v75, v95, v5, v75
	;;#ASMEND
	;;#ASMSTART
	v_dot2_f32_f16 v75, v96, v6, v75
	;;#ASMEND
	;; [unrolled: 3-line block ×16, first 2 shown]
	s_waitcnt lgkmcnt(0)
	;;#ASMSTART
	v_dot2_f32_f16 v76, v99, v5, v76
	;;#ASMEND
	;;#ASMSTART
	v_dot2_f32_f16 v76, v100, v6, v76
	;;#ASMEND
	;; [unrolled: 3-line block ×16, first 2 shown]
	ds_read_b128 v[1:4], v53 offset:80
	ds_read_b128 v[5:8], v52 offset:208
	;; [unrolled: 1-line block ×8, first 2 shown]
	s_waitcnt lgkmcnt(6)
	;;#ASMSTART
	v_dot2_f32_f16 v73, v1, v5, v73
	;;#ASMEND
	;;#ASMSTART
	v_dot2_f32_f16 v73, v2, v6, v73
	;;#ASMEND
	;;#ASMSTART
	v_dot2_f32_f16 v73, v3, v7, v73
	;;#ASMEND
	;;#ASMSTART
	v_dot2_f32_f16 v73, v4, v8, v73
	;;#ASMEND
	s_waitcnt lgkmcnt(5)
	;;#ASMSTART
	v_dot2_f32_f16 v18, v1, v79, v18
	;;#ASMEND
	;;#ASMSTART
	v_dot2_f32_f16 v18, v2, v80, v18
	;;#ASMEND
	;;#ASMSTART
	v_dot2_f32_f16 v18, v3, v81, v18
	;;#ASMEND
	;;#ASMSTART
	v_dot2_f32_f16 v18, v4, v82, v18
	;;#ASMEND
	;; [unrolled: 13-line block ×5, first 2 shown]
	;;#ASMSTART
	v_dot2_f32_f16 v19, v91, v79, v19
	;;#ASMEND
	;;#ASMSTART
	v_dot2_f32_f16 v19, v92, v80, v19
	;;#ASMEND
	;; [unrolled: 3-line block ×12, first 2 shown]
	s_waitcnt lgkmcnt(1)
	;;#ASMSTART
	v_dot2_f32_f16 v75, v95, v5, v75
	;;#ASMEND
	;;#ASMSTART
	v_dot2_f32_f16 v75, v96, v6, v75
	;;#ASMEND
	;; [unrolled: 3-line block ×16, first 2 shown]
	s_waitcnt lgkmcnt(0)
	;;#ASMSTART
	v_dot2_f32_f16 v76, v99, v5, v76
	;;#ASMEND
	;;#ASMSTART
	v_dot2_f32_f16 v76, v100, v6, v76
	;;#ASMEND
	;; [unrolled: 3-line block ×16, first 2 shown]
	ds_read_b128 v[1:4], v53 offset:96
	ds_read_b128 v[5:8], v52 offset:224
	;; [unrolled: 1-line block ×8, first 2 shown]
	s_waitcnt lgkmcnt(6)
	;;#ASMSTART
	v_dot2_f32_f16 v73, v1, v5, v73
	;;#ASMEND
	;;#ASMSTART
	v_dot2_f32_f16 v73, v2, v6, v73
	;;#ASMEND
	;;#ASMSTART
	v_dot2_f32_f16 v73, v3, v7, v73
	;;#ASMEND
	;;#ASMSTART
	v_dot2_f32_f16 v73, v4, v8, v73
	;;#ASMEND
	s_waitcnt lgkmcnt(5)
	;;#ASMSTART
	v_dot2_f32_f16 v18, v1, v79, v18
	;;#ASMEND
	;;#ASMSTART
	v_dot2_f32_f16 v18, v2, v80, v18
	;;#ASMEND
	;;#ASMSTART
	v_dot2_f32_f16 v18, v3, v81, v18
	;;#ASMEND
	;;#ASMSTART
	v_dot2_f32_f16 v18, v4, v82, v18
	;;#ASMEND
	;; [unrolled: 13-line block ×5, first 2 shown]
	;;#ASMSTART
	v_dot2_f32_f16 v19, v91, v79, v19
	;;#ASMEND
	;;#ASMSTART
	v_dot2_f32_f16 v19, v92, v80, v19
	;;#ASMEND
	;; [unrolled: 3-line block ×12, first 2 shown]
	s_waitcnt lgkmcnt(1)
	;;#ASMSTART
	v_dot2_f32_f16 v75, v95, v5, v75
	;;#ASMEND
	;;#ASMSTART
	v_dot2_f32_f16 v75, v96, v6, v75
	;;#ASMEND
	;; [unrolled: 3-line block ×16, first 2 shown]
	s_waitcnt lgkmcnt(0)
	;;#ASMSTART
	v_dot2_f32_f16 v76, v99, v5, v76
	;;#ASMEND
	;;#ASMSTART
	v_dot2_f32_f16 v76, v100, v6, v76
	;;#ASMEND
	;; [unrolled: 3-line block ×16, first 2 shown]
	ds_read_b128 v[1:4], v53 offset:112
	ds_read_b128 v[5:8], v52 offset:240
	;; [unrolled: 1-line block ×8, first 2 shown]
	s_waitcnt lgkmcnt(6)
	;;#ASMSTART
	v_dot2_f32_f16 v73, v1, v5, v73
	;;#ASMEND
	;;#ASMSTART
	v_dot2_f32_f16 v73, v2, v6, v73
	;;#ASMEND
	;;#ASMSTART
	v_dot2_f32_f16 v73, v3, v7, v73
	;;#ASMEND
	;;#ASMSTART
	v_dot2_f32_f16 v73, v4, v8, v73
	;;#ASMEND
	s_waitcnt lgkmcnt(5)
	;;#ASMSTART
	v_dot2_f32_f16 v18, v1, v79, v18
	;;#ASMEND
	;;#ASMSTART
	v_dot2_f32_f16 v18, v2, v80, v18
	;;#ASMEND
	;;#ASMSTART
	v_dot2_f32_f16 v18, v3, v81, v18
	;;#ASMEND
	;;#ASMSTART
	v_dot2_f32_f16 v18, v4, v82, v18
	;;#ASMEND
	;; [unrolled: 13-line block ×5, first 2 shown]
	;;#ASMSTART
	v_dot2_f32_f16 v19, v91, v79, v19
	;;#ASMEND
	;;#ASMSTART
	v_dot2_f32_f16 v19, v92, v80, v19
	;;#ASMEND
	;; [unrolled: 3-line block ×12, first 2 shown]
	s_waitcnt lgkmcnt(1)
	;;#ASMSTART
	v_dot2_f32_f16 v75, v95, v5, v75
	;;#ASMEND
	;;#ASMSTART
	v_dot2_f32_f16 v75, v96, v6, v75
	;;#ASMEND
	;;#ASMSTART
	v_dot2_f32_f16 v75, v97, v7, v75
	;;#ASMEND
	;;#ASMSTART
	v_dot2_f32_f16 v75, v98, v8, v75
	;;#ASMEND
	;;#ASMSTART
	v_dot2_f32_f16 v20, v95, v79, v20
	;;#ASMEND
	;;#ASMSTART
	v_dot2_f32_f16 v20, v96, v80, v20
	;;#ASMEND
	;;#ASMSTART
	v_dot2_f32_f16 v20, v97, v81, v20
	;;#ASMEND
	;;#ASMSTART
	v_dot2_f32_f16 v20, v98, v82, v20
	;;#ASMEND
	;;#ASMSTART
	v_dot2_f32_f16 v16, v95, v83, v16
	;;#ASMEND
	;;#ASMSTART
	v_dot2_f32_f16 v16, v96, v84, v16
	;;#ASMEND
	;;#ASMSTART
	v_dot2_f32_f16 v16, v97, v85, v16
	;;#ASMEND
	;;#ASMSTART
	v_dot2_f32_f16 v16, v98, v86, v16
	;;#ASMEND
	;;#ASMSTART
	v_dot2_f32_f16 v12, v95, v87, v12
	;;#ASMEND
	;;#ASMSTART
	v_dot2_f32_f16 v12, v96, v88, v12
	;;#ASMEND
	;;#ASMSTART
	v_dot2_f32_f16 v12, v97, v89, v12
	;;#ASMEND
	;;#ASMSTART
	v_dot2_f32_f16 v12, v98, v90, v12
	;;#ASMEND
	s_waitcnt lgkmcnt(0)
	;;#ASMSTART
	v_dot2_f32_f16 v76, v99, v5, v76
	;;#ASMEND
	;;#ASMSTART
	v_dot2_f32_f16 v76, v100, v6, v76
	;;#ASMEND
	;; [unrolled: 3-line block ×9, first 2 shown]
	v_cmp_ngt_f32_e64 s18, 0x3f200000, |v73|
	;;#ASMSTART
	v_dot2_f32_f16 v17, v100, v84, v17
	;;#ASMEND
	;;#ASMSTART
	v_dot2_f32_f16 v17, v101, v85, v17
	;;#ASMEND
	;; [unrolled: 3-line block ×7, first 2 shown]
                                        ; implicit-def: $vgpr3
	s_and_saveexec_b32 s19, s18
	s_xor_b32 s18, exec_lo, s19
	s_cbranch_execz .LBB72_11
; %bb.10:                               ;   in Loop: Header=BB72_9 Depth=1
	v_add_f32_e64 v1, |v73|, |v73|
	v_mul_f32_e32 v2, 0x3fb8aa3b, v1
	v_cmp_ngt_f32_e32 vcc_lo, 0xc2ce8ed0, v1
	v_rndne_f32_e32 v3, v2
	v_fma_f32 v4, 0x3fb8aa3b, v1, -v2
	v_sub_f32_e32 v2, v2, v3
	v_fmac_f32_e32 v4, 0x32a5705f, v1
	v_cvt_i32_f32_e32 v3, v3
	v_add_f32_e32 v2, v2, v4
	v_exp_f32_e32 v2, v2
	v_ldexp_f32 v2, v2, v3
	v_cndmask_b32_e32 v2, 0, v2, vcc_lo
	v_cmp_nlt_f32_e32 vcc_lo, 0x42b17218, v1
	v_cndmask_b32_e32 v1, 0x7f800000, v2, vcc_lo
	v_add_f32_e32 v1, 1.0, v1
	v_rcp_f32_e32 v1, v1
	v_fma_f32 v3, v1, -2.0, 1.0
.LBB72_11:                              ;   in Loop: Header=BB72_9 Depth=1
	s_andn2_saveexec_b32 s18, s18
	s_cbranch_execz .LBB72_13
; %bb.12:                               ;   in Loop: Header=BB72_9 Depth=1
	v_mul_f32_e32 v1, v73, v73
	v_fmaak_f32 v2, s15, v1, 0x3ca908c9
	v_fmaak_f32 v2, v1, v2, 0xbd5c1c4e
	;; [unrolled: 1-line block ×4, first 2 shown]
	v_mul_f32_e64 v2, |v73|, v2
	v_fma_f32 v3, v1, v2, |v73|
.LBB72_13:                              ;   in Loop: Header=BB72_9 Depth=1
	s_or_b32 exec_lo, exec_lo, s18
	v_add_nc_u32_e32 v1, s6, v26
	v_cmp_ngt_f32_e64 s18, 0x3f200000, |v74|
                                        ; implicit-def: $vgpr4
	v_ashrrev_i32_e32 v2, 31, v1
	v_lshlrev_b64 v[1:2], 1, v[1:2]
	v_add_co_u32 v1, vcc_lo, s34, v1
	v_add_co_ci_u32_e64 v2, null, s35, v2, vcc_lo
	global_load_ushort v80, v[1:2], off
	s_and_saveexec_b32 s19, s18
	s_xor_b32 s18, exec_lo, s19
	s_cbranch_execz .LBB72_15
; %bb.14:                               ;   in Loop: Header=BB72_9 Depth=1
	v_add_f32_e64 v4, |v74|, |v74|
	v_mul_f32_e32 v5, 0x3fb8aa3b, v4
	v_cmp_ngt_f32_e32 vcc_lo, 0xc2ce8ed0, v4
	v_rndne_f32_e32 v6, v5
	v_fma_f32 v7, 0x3fb8aa3b, v4, -v5
	v_sub_f32_e32 v5, v5, v6
	v_fmac_f32_e32 v7, 0x32a5705f, v4
	v_cvt_i32_f32_e32 v6, v6
	v_add_f32_e32 v5, v5, v7
	v_exp_f32_e32 v5, v5
	v_ldexp_f32 v5, v5, v6
	v_cndmask_b32_e32 v5, 0, v5, vcc_lo
	v_cmp_nlt_f32_e32 vcc_lo, 0x42b17218, v4
	v_cndmask_b32_e32 v4, 0x7f800000, v5, vcc_lo
	v_add_f32_e32 v4, 1.0, v4
	v_rcp_f32_e32 v4, v4
	v_fma_f32 v4, v4, -2.0, 1.0
.LBB72_15:                              ;   in Loop: Header=BB72_9 Depth=1
	s_andn2_saveexec_b32 s18, s18
	s_cbranch_execz .LBB72_17
; %bb.16:                               ;   in Loop: Header=BB72_9 Depth=1
	v_mul_f32_e32 v4, v74, v74
	v_fmaak_f32 v5, s15, v4, 0x3ca908c9
	v_fmaak_f32 v5, v4, v5, 0xbd5c1c4e
	;; [unrolled: 1-line block ×4, first 2 shown]
	v_mul_f32_e64 v5, |v74|, v5
	v_fma_f32 v4, v4, v5, |v74|
.LBB72_17:                              ;   in Loop: Header=BB72_9 Depth=1
	s_or_b32 exec_lo, exec_lo, s18
	global_load_ushort v81, v[1:2], off offset:64
	v_cmp_ngt_f32_e64 s18, 0x3f200000, |v75|
                                        ; implicit-def: $vgpr7
	s_and_saveexec_b32 s19, s18
	s_xor_b32 s18, exec_lo, s19
	s_cbranch_execz .LBB72_19
; %bb.18:                               ;   in Loop: Header=BB72_9 Depth=1
	v_add_f32_e64 v5, |v75|, |v75|
	v_mul_f32_e32 v6, 0x3fb8aa3b, v5
	v_cmp_ngt_f32_e32 vcc_lo, 0xc2ce8ed0, v5
	v_rndne_f32_e32 v7, v6
	v_fma_f32 v8, 0x3fb8aa3b, v5, -v6
	v_sub_f32_e32 v6, v6, v7
	v_fmac_f32_e32 v8, 0x32a5705f, v5
	v_cvt_i32_f32_e32 v7, v7
	v_add_f32_e32 v6, v6, v8
	v_exp_f32_e32 v6, v6
	v_ldexp_f32 v6, v6, v7
	v_cndmask_b32_e32 v6, 0, v6, vcc_lo
	v_cmp_nlt_f32_e32 vcc_lo, 0x42b17218, v5
	v_cndmask_b32_e32 v5, 0x7f800000, v6, vcc_lo
	v_add_f32_e32 v5, 1.0, v5
	v_rcp_f32_e32 v5, v5
	v_fma_f32 v7, v5, -2.0, 1.0
.LBB72_19:                              ;   in Loop: Header=BB72_9 Depth=1
	s_andn2_saveexec_b32 s18, s18
	s_cbranch_execz .LBB72_21
; %bb.20:                               ;   in Loop: Header=BB72_9 Depth=1
	v_mul_f32_e32 v5, v75, v75
	v_fmaak_f32 v6, s15, v5, 0x3ca908c9
	v_fmaak_f32 v6, v5, v6, 0xbd5c1c4e
	;; [unrolled: 1-line block ×4, first 2 shown]
	v_mul_f32_e64 v6, |v75|, v6
	v_fma_f32 v7, v5, v6, |v75|
.LBB72_21:                              ;   in Loop: Header=BB72_9 Depth=1
	s_or_b32 exec_lo, exec_lo, s18
	global_load_ushort v85, v[1:2], off offset:128
	v_cmp_ngt_f32_e64 s18, 0x3f200000, |v76|
                                        ; implicit-def: $vgpr8
	s_and_saveexec_b32 s19, s18
	s_xor_b32 s18, exec_lo, s19
	s_cbranch_execz .LBB72_23
; %bb.22:                               ;   in Loop: Header=BB72_9 Depth=1
	v_add_f32_e64 v5, |v76|, |v76|
	v_mul_f32_e32 v6, 0x3fb8aa3b, v5
	v_cmp_ngt_f32_e32 vcc_lo, 0xc2ce8ed0, v5
	v_rndne_f32_e32 v8, v6
	v_fma_f32 v77, 0x3fb8aa3b, v5, -v6
	v_sub_f32_e32 v6, v6, v8
	v_fmac_f32_e32 v77, 0x32a5705f, v5
	v_cvt_i32_f32_e32 v8, v8
	v_add_f32_e32 v6, v6, v77
	v_exp_f32_e32 v6, v6
	v_ldexp_f32 v6, v6, v8
	v_cndmask_b32_e32 v6, 0, v6, vcc_lo
	v_cmp_nlt_f32_e32 vcc_lo, 0x42b17218, v5
	v_cndmask_b32_e32 v5, 0x7f800000, v6, vcc_lo
	v_add_f32_e32 v5, 1.0, v5
	v_rcp_f32_e32 v5, v5
	v_fma_f32 v8, v5, -2.0, 1.0
.LBB72_23:                              ;   in Loop: Header=BB72_9 Depth=1
	s_andn2_saveexec_b32 s18, s18
	s_cbranch_execz .LBB72_25
; %bb.24:                               ;   in Loop: Header=BB72_9 Depth=1
	v_mul_f32_e32 v5, v76, v76
	v_fmaak_f32 v6, s15, v5, 0x3ca908c9
	v_fmaak_f32 v6, v5, v6, 0xbd5c1c4e
	;; [unrolled: 1-line block ×4, first 2 shown]
	v_mul_f32_e64 v6, |v76|, v6
	v_fma_f32 v8, v5, v6, |v76|
.LBB72_25:                              ;   in Loop: Header=BB72_9 Depth=1
	s_or_b32 exec_lo, exec_lo, s18
	global_load_ushort v87, v[1:2], off offset:192
	v_bfi_b32 v1, 0x7fffffff, v3, v73
	v_bfi_b32 v2, 0x7fffffff, v4, v74
	;; [unrolled: 1-line block ×3, first 2 shown]
	v_xor_b32_e32 v77, 16, v46
	v_xor_b32_e32 v76, 8, v46
	s_waitcnt vmcnt(3)
	v_fma_mix_f32 v5, s10, v1, v80 op_sel_hi:[0,0,1]
	s_waitcnt vmcnt(2)
	v_fma_mix_f32 v6, s10, v2, v81 op_sel_hi:[0,0,1]
	v_bfi_b32 v1, 0x7fffffff, v7, v75
	v_cmp_gt_i32_e32 vcc_lo, 32, v77
	v_xor_b32_e32 v75, 4, v46
	v_add_f32_e32 v2, 0x40051340, v5
	v_add_f32_e32 v4, 0x40051340, v6
	s_waitcnt vmcnt(1)
	v_fma_mix_f32 v7, s10, v1, v85 op_sel_hi:[0,0,1]
	v_cndmask_b32_e32 v1, v46, v77, vcc_lo
	v_cmp_gt_i32_e32 vcc_lo, 32, v76
	v_xor_b32_e32 v74, 2, v46
	v_max3_f32 v2, v9, v2, v4
	v_xor_b32_e32 v73, 1, v46
	v_lshlrev_b32_e32 v1, 2, v1
	v_cmp_ngt_f32_e64 s18, 0x3f200000, |v18|
                                        ; implicit-def: $vgpr82
	s_waitcnt vmcnt(0)
	v_fma_mix_f32 v8, s10, v3, v87 op_sel_hi:[0,0,1]
	v_add_f32_e32 v3, 0x40051340, v7
	v_add_f32_e32 v4, 0x40051340, v8
	v_max3_f32 v2, v2, v3, v4
	v_cndmask_b32_e32 v4, v46, v76, vcc_lo
	v_cmp_gt_i32_e32 vcc_lo, 32, v75
	ds_bpermute_b32 v3, v1, v2
	v_lshlrev_b32_e32 v86, 2, v4
	v_cndmask_b32_e32 v4, v46, v75, vcc_lo
	v_cmp_gt_i32_e32 vcc_lo, 32, v74
	v_lshlrev_b32_e32 v84, 2, v4
	v_cndmask_b32_e32 v4, v46, v74, vcc_lo
	v_cmp_gt_i32_e32 vcc_lo, 32, v73
	v_lshlrev_b32_e32 v79, 2, v4
	v_cndmask_b32_e32 v4, v46, v73, vcc_lo
	v_lshlrev_b32_e32 v4, 2, v4
	s_waitcnt lgkmcnt(0)
	v_max_f32_e32 v3, v3, v3
	v_max_f32_e32 v2, v2, v3
	ds_bpermute_b32 v3, v86, v2
	s_waitcnt lgkmcnt(0)
	v_max_f32_e32 v3, v3, v3
	v_max_f32_e32 v2, v2, v3
	ds_bpermute_b32 v3, v84, v2
	;; [unrolled: 4-line block ×4, first 2 shown]
	s_and_saveexec_b32 s19, s18
	s_xor_b32 s18, exec_lo, s19
	s_cbranch_execz .LBB72_27
; %bb.26:                               ;   in Loop: Header=BB72_9 Depth=1
	v_add_f32_e64 v82, |v18|, |v18|
	v_mul_f32_e32 v83, 0x3fb8aa3b, v82
	v_cmp_ngt_f32_e32 vcc_lo, 0xc2ce8ed0, v82
	v_rndne_f32_e32 v88, v83
	v_fma_f32 v89, 0x3fb8aa3b, v82, -v83
	v_sub_f32_e32 v83, v83, v88
	v_fmac_f32_e32 v89, 0x32a5705f, v82
	v_cvt_i32_f32_e32 v88, v88
	v_add_f32_e32 v83, v83, v89
	v_exp_f32_e32 v83, v83
	v_ldexp_f32 v83, v83, v88
	v_cndmask_b32_e32 v83, 0, v83, vcc_lo
	v_cmp_nlt_f32_e32 vcc_lo, 0x42b17218, v82
	v_cndmask_b32_e32 v82, 0x7f800000, v83, vcc_lo
	v_add_f32_e32 v82, 1.0, v82
	v_rcp_f32_e32 v82, v82
	v_fma_f32 v82, v82, -2.0, 1.0
.LBB72_27:                              ;   in Loop: Header=BB72_9 Depth=1
	s_andn2_saveexec_b32 s18, s18
	s_cbranch_execz .LBB72_29
; %bb.28:                               ;   in Loop: Header=BB72_9 Depth=1
	v_mul_f32_e32 v82, v18, v18
	v_fmaak_f32 v83, s15, v82, 0x3ca908c9
	v_fmaak_f32 v83, v82, v83, 0xbd5c1c4e
	;; [unrolled: 1-line block ×4, first 2 shown]
	v_mul_f32_e64 v83, |v18|, v83
	v_fma_f32 v82, v82, v83, |v18|
.LBB72_29:                              ;   in Loop: Header=BB72_9 Depth=1
	s_or_b32 exec_lo, exec_lo, s18
	v_cmp_ngt_f32_e64 s18, 0x3f200000, |v19|
                                        ; implicit-def: $vgpr88
	s_and_saveexec_b32 s19, s18
	s_xor_b32 s18, exec_lo, s19
	s_cbranch_execz .LBB72_31
; %bb.30:                               ;   in Loop: Header=BB72_9 Depth=1
	v_add_f32_e64 v83, |v19|, |v19|
	v_mul_f32_e32 v88, 0x3fb8aa3b, v83
	v_cmp_ngt_f32_e32 vcc_lo, 0xc2ce8ed0, v83
	v_rndne_f32_e32 v89, v88
	v_fma_f32 v90, 0x3fb8aa3b, v83, -v88
	v_sub_f32_e32 v88, v88, v89
	v_fmac_f32_e32 v90, 0x32a5705f, v83
	v_cvt_i32_f32_e32 v89, v89
	v_add_f32_e32 v88, v88, v90
	v_exp_f32_e32 v88, v88
	v_ldexp_f32 v88, v88, v89
	v_cndmask_b32_e32 v88, 0, v88, vcc_lo
	v_cmp_nlt_f32_e32 vcc_lo, 0x42b17218, v83
	v_cndmask_b32_e32 v83, 0x7f800000, v88, vcc_lo
	v_add_f32_e32 v83, 1.0, v83
	v_rcp_f32_e32 v83, v83
	v_fma_f32 v88, v83, -2.0, 1.0
.LBB72_31:                              ;   in Loop: Header=BB72_9 Depth=1
	s_andn2_saveexec_b32 s18, s18
	s_cbranch_execz .LBB72_33
; %bb.32:                               ;   in Loop: Header=BB72_9 Depth=1
	v_mul_f32_e32 v83, v19, v19
	v_fmaak_f32 v88, s15, v83, 0x3ca908c9
	v_fmaak_f32 v88, v83, v88, 0xbd5c1c4e
	;; [unrolled: 1-line block ×4, first 2 shown]
	v_mul_f32_e64 v88, |v19|, v88
	v_fma_f32 v88, v83, v88, |v19|
.LBB72_33:                              ;   in Loop: Header=BB72_9 Depth=1
	s_or_b32 exec_lo, exec_lo, s18
	v_cmp_ngt_f32_e64 s18, 0x3f200000, |v20|
                                        ; implicit-def: $vgpr89
	s_and_saveexec_b32 s19, s18
	s_xor_b32 s18, exec_lo, s19
	s_cbranch_execz .LBB72_35
; %bb.34:                               ;   in Loop: Header=BB72_9 Depth=1
	v_add_f32_e64 v83, |v20|, |v20|
	v_mul_f32_e32 v89, 0x3fb8aa3b, v83
	v_cmp_ngt_f32_e32 vcc_lo, 0xc2ce8ed0, v83
	v_rndne_f32_e32 v90, v89
	v_fma_f32 v91, 0x3fb8aa3b, v83, -v89
	v_sub_f32_e32 v89, v89, v90
	v_fmac_f32_e32 v91, 0x32a5705f, v83
	v_cvt_i32_f32_e32 v90, v90
	v_add_f32_e32 v89, v89, v91
	v_exp_f32_e32 v89, v89
	v_ldexp_f32 v89, v89, v90
	v_cndmask_b32_e32 v89, 0, v89, vcc_lo
	v_cmp_nlt_f32_e32 vcc_lo, 0x42b17218, v83
	v_cndmask_b32_e32 v83, 0x7f800000, v89, vcc_lo
	v_add_f32_e32 v83, 1.0, v83
	v_rcp_f32_e32 v83, v83
	v_fma_f32 v89, v83, -2.0, 1.0
.LBB72_35:                              ;   in Loop: Header=BB72_9 Depth=1
	s_andn2_saveexec_b32 s18, s18
	s_cbranch_execz .LBB72_37
; %bb.36:                               ;   in Loop: Header=BB72_9 Depth=1
	v_mul_f32_e32 v83, v20, v20
	v_fmaak_f32 v89, s15, v83, 0x3ca908c9
	v_fmaak_f32 v89, v83, v89, 0xbd5c1c4e
	;; [unrolled: 1-line block ×4, first 2 shown]
	v_mul_f32_e64 v89, |v20|, v89
	v_fma_f32 v89, v83, v89, |v20|
.LBB72_37:                              ;   in Loop: Header=BB72_9 Depth=1
	s_or_b32 exec_lo, exec_lo, s18
	v_cmp_ngt_f32_e64 s18, 0x3f200000, |v78|
                                        ; implicit-def: $vgpr90
	s_and_saveexec_b32 s19, s18
	s_xor_b32 s18, exec_lo, s19
	s_cbranch_execz .LBB72_39
; %bb.38:                               ;   in Loop: Header=BB72_9 Depth=1
	v_add_f32_e64 v83, |v78|, |v78|
	v_mul_f32_e32 v90, 0x3fb8aa3b, v83
	v_cmp_ngt_f32_e32 vcc_lo, 0xc2ce8ed0, v83
	v_rndne_f32_e32 v91, v90
	v_fma_f32 v92, 0x3fb8aa3b, v83, -v90
	v_sub_f32_e32 v90, v90, v91
	v_fmac_f32_e32 v92, 0x32a5705f, v83
	v_cvt_i32_f32_e32 v91, v91
	v_add_f32_e32 v90, v90, v92
	v_exp_f32_e32 v90, v90
	v_ldexp_f32 v90, v90, v91
	v_cndmask_b32_e32 v90, 0, v90, vcc_lo
	v_cmp_nlt_f32_e32 vcc_lo, 0x42b17218, v83
	v_cndmask_b32_e32 v83, 0x7f800000, v90, vcc_lo
	v_add_f32_e32 v83, 1.0, v83
	v_rcp_f32_e32 v83, v83
	v_fma_f32 v90, v83, -2.0, 1.0
.LBB72_39:                              ;   in Loop: Header=BB72_9 Depth=1
	s_andn2_saveexec_b32 s18, s18
	s_cbranch_execz .LBB72_41
; %bb.40:                               ;   in Loop: Header=BB72_9 Depth=1
	v_mul_f32_e32 v83, v78, v78
	v_fmaak_f32 v90, s15, v83, 0x3ca908c9
	v_fmaak_f32 v90, v83, v90, 0xbd5c1c4e
	;; [unrolled: 1-line block ×4, first 2 shown]
	v_mul_f32_e64 v90, |v78|, v90
	v_fma_f32 v90, v83, v90, |v78|
.LBB72_41:                              ;   in Loop: Header=BB72_9 Depth=1
	s_or_b32 exec_lo, exec_lo, s18
	v_cvt_f32_f16_e32 v83, v80
	v_bfi_b32 v18, 0x7fffffff, v82, v18
	v_cvt_f32_f16_e32 v82, v81
	v_bfi_b32 v19, 0x7fffffff, v88, v19
	v_cvt_f32_f16_e32 v81, v85
	v_cvt_f32_f16_e32 v80, v87
	v_fma_f32 v18, s10, v18, v83
	v_bfi_b32 v20, 0x7fffffff, v89, v20
	v_fma_f32 v91, s10, v19, v82
	v_bfi_b32 v19, 0x7fffffff, v90, v78
	v_cmp_ngt_f32_e64 s18, 0x3f200000, |v14|
	v_add_f32_e32 v87, 0x40051340, v18
	v_fma_f32 v78, s10, v20, v81
	v_add_f32_e32 v20, 0x40051340, v91
	v_fma_f32 v85, s10, v19, v80
	v_add_f32_e32 v19, 0x40051340, v78
	v_max3_f32 v20, v71, v87, v20
	v_add_f32_e32 v87, 0x40051340, v85
	v_max3_f32 v19, v20, v19, v87
                                        ; implicit-def: $vgpr87
	ds_bpermute_b32 v20, v1, v19
	s_waitcnt lgkmcnt(0)
	v_max_f32_e32 v20, v20, v20
	v_max_f32_e32 v19, v19, v20
	ds_bpermute_b32 v20, v86, v19
	s_waitcnt lgkmcnt(0)
	v_max_f32_e32 v20, v20, v20
	v_max_f32_e32 v19, v19, v20
	ds_bpermute_b32 v20, v84, v19
	s_waitcnt lgkmcnt(0)
	v_max_f32_e32 v20, v20, v20
	v_max_f32_e32 v19, v19, v20
	ds_bpermute_b32 v20, v79, v19
	s_waitcnt lgkmcnt(0)
	v_max_f32_e32 v20, v20, v20
	v_max_f32_e32 v19, v19, v20
	ds_bpermute_b32 v20, v4, v19
	s_and_saveexec_b32 s19, s18
	s_xor_b32 s18, exec_lo, s19
	s_cbranch_execz .LBB72_43
; %bb.42:                               ;   in Loop: Header=BB72_9 Depth=1
	v_add_f32_e64 v87, |v14|, |v14|
	v_mul_f32_e32 v88, 0x3fb8aa3b, v87
	v_cmp_ngt_f32_e32 vcc_lo, 0xc2ce8ed0, v87
	v_rndne_f32_e32 v89, v88
	v_fma_f32 v90, 0x3fb8aa3b, v87, -v88
	v_sub_f32_e32 v88, v88, v89
	v_fmac_f32_e32 v90, 0x32a5705f, v87
	v_cvt_i32_f32_e32 v89, v89
	v_add_f32_e32 v88, v88, v90
	v_exp_f32_e32 v88, v88
	v_ldexp_f32 v88, v88, v89
	v_cndmask_b32_e32 v88, 0, v88, vcc_lo
	v_cmp_nlt_f32_e32 vcc_lo, 0x42b17218, v87
	v_cndmask_b32_e32 v87, 0x7f800000, v88, vcc_lo
	v_add_f32_e32 v87, 1.0, v87
	v_rcp_f32_e32 v87, v87
	v_fma_f32 v87, v87, -2.0, 1.0
.LBB72_43:                              ;   in Loop: Header=BB72_9 Depth=1
	s_andn2_saveexec_b32 s18, s18
	s_cbranch_execz .LBB72_45
; %bb.44:                               ;   in Loop: Header=BB72_9 Depth=1
	v_mul_f32_e32 v87, v14, v14
	v_fmaak_f32 v88, s15, v87, 0x3ca908c9
	v_fmaak_f32 v88, v87, v88, 0xbd5c1c4e
	;; [unrolled: 1-line block ×4, first 2 shown]
	v_mul_f32_e64 v88, |v14|, v88
	v_fma_f32 v87, v87, v88, |v14|
.LBB72_45:                              ;   in Loop: Header=BB72_9 Depth=1
	s_or_b32 exec_lo, exec_lo, s18
	v_cmp_ngt_f32_e64 s18, 0x3f200000, |v15|
                                        ; implicit-def: $vgpr88
	s_and_saveexec_b32 s19, s18
	s_xor_b32 s18, exec_lo, s19
	s_cbranch_execz .LBB72_47
; %bb.46:                               ;   in Loop: Header=BB72_9 Depth=1
	v_add_f32_e64 v88, |v15|, |v15|
	v_mul_f32_e32 v89, 0x3fb8aa3b, v88
	v_cmp_ngt_f32_e32 vcc_lo, 0xc2ce8ed0, v88
	v_rndne_f32_e32 v90, v89
	v_fma_f32 v92, 0x3fb8aa3b, v88, -v89
	v_sub_f32_e32 v89, v89, v90
	v_fmac_f32_e32 v92, 0x32a5705f, v88
	v_cvt_i32_f32_e32 v90, v90
	v_add_f32_e32 v89, v89, v92
	v_exp_f32_e32 v89, v89
	v_ldexp_f32 v89, v89, v90
	v_cndmask_b32_e32 v89, 0, v89, vcc_lo
	v_cmp_nlt_f32_e32 vcc_lo, 0x42b17218, v88
	v_cndmask_b32_e32 v88, 0x7f800000, v89, vcc_lo
	v_add_f32_e32 v88, 1.0, v88
	v_rcp_f32_e32 v88, v88
	v_fma_f32 v88, v88, -2.0, 1.0
.LBB72_47:                              ;   in Loop: Header=BB72_9 Depth=1
	s_andn2_saveexec_b32 s18, s18
	s_cbranch_execz .LBB72_49
; %bb.48:                               ;   in Loop: Header=BB72_9 Depth=1
	v_mul_f32_e32 v88, v15, v15
	v_fmaak_f32 v89, s15, v88, 0x3ca908c9
	v_fmaak_f32 v89, v88, v89, 0xbd5c1c4e
	;; [unrolled: 1-line block ×4, first 2 shown]
	v_mul_f32_e64 v89, |v15|, v89
	v_fma_f32 v88, v88, v89, |v15|
.LBB72_49:                              ;   in Loop: Header=BB72_9 Depth=1
	s_or_b32 exec_lo, exec_lo, s18
	v_cmp_ngt_f32_e64 s18, 0x3f200000, |v16|
                                        ; implicit-def: $vgpr89
	s_and_saveexec_b32 s19, s18
	s_xor_b32 s18, exec_lo, s19
	s_cbranch_execz .LBB72_51
; %bb.50:                               ;   in Loop: Header=BB72_9 Depth=1
	v_add_f32_e64 v89, |v16|, |v16|
	v_mul_f32_e32 v90, 0x3fb8aa3b, v89
	v_cmp_ngt_f32_e32 vcc_lo, 0xc2ce8ed0, v89
	v_rndne_f32_e32 v92, v90
	v_fma_f32 v93, 0x3fb8aa3b, v89, -v90
	v_sub_f32_e32 v90, v90, v92
	v_fmac_f32_e32 v93, 0x32a5705f, v89
	v_cvt_i32_f32_e32 v92, v92
	v_add_f32_e32 v90, v90, v93
	v_exp_f32_e32 v90, v90
	v_ldexp_f32 v90, v90, v92
	v_cndmask_b32_e32 v90, 0, v90, vcc_lo
	v_cmp_nlt_f32_e32 vcc_lo, 0x42b17218, v89
	v_cndmask_b32_e32 v89, 0x7f800000, v90, vcc_lo
	v_add_f32_e32 v89, 1.0, v89
	v_rcp_f32_e32 v89, v89
	v_fma_f32 v89, v89, -2.0, 1.0
.LBB72_51:                              ;   in Loop: Header=BB72_9 Depth=1
	s_andn2_saveexec_b32 s18, s18
	s_cbranch_execz .LBB72_53
; %bb.52:                               ;   in Loop: Header=BB72_9 Depth=1
	v_mul_f32_e32 v89, v16, v16
	v_fmaak_f32 v90, s15, v89, 0x3ca908c9
	v_fmaak_f32 v90, v89, v90, 0xbd5c1c4e
	;; [unrolled: 1-line block ×4, first 2 shown]
	v_mul_f32_e64 v90, |v16|, v90
	v_fma_f32 v89, v89, v90, |v16|
.LBB72_53:                              ;   in Loop: Header=BB72_9 Depth=1
	s_or_b32 exec_lo, exec_lo, s18
	v_cmp_ngt_f32_e64 s18, 0x3f200000, |v17|
                                        ; implicit-def: $vgpr92
	s_and_saveexec_b32 s19, s18
	s_xor_b32 s18, exec_lo, s19
	s_cbranch_execz .LBB72_55
; %bb.54:                               ;   in Loop: Header=BB72_9 Depth=1
	v_add_f32_e64 v90, |v17|, |v17|
	v_mul_f32_e32 v92, 0x3fb8aa3b, v90
	v_cmp_ngt_f32_e32 vcc_lo, 0xc2ce8ed0, v90
	v_rndne_f32_e32 v93, v92
	v_fma_f32 v94, 0x3fb8aa3b, v90, -v92
	v_sub_f32_e32 v92, v92, v93
	v_fmac_f32_e32 v94, 0x32a5705f, v90
	v_cvt_i32_f32_e32 v93, v93
	v_add_f32_e32 v92, v92, v94
	v_exp_f32_e32 v92, v92
	v_ldexp_f32 v92, v92, v93
	v_cndmask_b32_e32 v92, 0, v92, vcc_lo
	v_cmp_nlt_f32_e32 vcc_lo, 0x42b17218, v90
	v_cndmask_b32_e32 v90, 0x7f800000, v92, vcc_lo
	v_add_f32_e32 v90, 1.0, v90
	v_rcp_f32_e32 v90, v90
	v_fma_f32 v92, v90, -2.0, 1.0
.LBB72_55:                              ;   in Loop: Header=BB72_9 Depth=1
	s_andn2_saveexec_b32 s18, s18
	s_cbranch_execz .LBB72_57
; %bb.56:                               ;   in Loop: Header=BB72_9 Depth=1
	v_mul_f32_e32 v90, v17, v17
	v_fmaak_f32 v92, s15, v90, 0x3ca908c9
	v_fmaak_f32 v92, v90, v92, 0xbd5c1c4e
	;; [unrolled: 1-line block ×4, first 2 shown]
	v_mul_f32_e64 v92, |v17|, v92
	v_fma_f32 v92, v90, v92, |v17|
.LBB72_57:                              ;   in Loop: Header=BB72_9 Depth=1
	s_or_b32 exec_lo, exec_lo, s18
	v_bfi_b32 v14, 0x7fffffff, v87, v14
	v_bfi_b32 v15, 0x7fffffff, v88, v15
	;; [unrolled: 1-line block ×3, first 2 shown]
	v_cmp_ngt_f32_e64 s18, 0x3f200000, |v10|
	v_fma_f32 v90, s10, v14, v83
	v_fma_f32 v89, s10, v15, v82
	v_bfi_b32 v14, 0x7fffffff, v92, v17
	v_fma_f32 v88, s10, v16, v81
	v_add_f32_e32 v15, 0x40051340, v90
	v_add_f32_e32 v16, 0x40051340, v89
	v_fma_f32 v87, s10, v14, v80
	v_add_f32_e32 v14, 0x40051340, v88
	v_max3_f32 v15, v70, v15, v16
	v_add_f32_e32 v16, 0x40051340, v87
	v_max3_f32 v14, v15, v14, v16
                                        ; implicit-def: $vgpr16
	ds_bpermute_b32 v15, v1, v14
	s_waitcnt lgkmcnt(0)
	v_max_f32_e32 v15, v15, v15
	v_max_f32_e32 v14, v14, v15
	ds_bpermute_b32 v15, v86, v14
	s_waitcnt lgkmcnt(0)
	v_max_f32_e32 v15, v15, v15
	v_max_f32_e32 v14, v14, v15
	;; [unrolled: 4-line block ×4, first 2 shown]
	ds_bpermute_b32 v15, v4, v14
	s_and_saveexec_b32 s19, s18
	s_xor_b32 s18, exec_lo, s19
	s_cbranch_execz .LBB72_59
; %bb.58:                               ;   in Loop: Header=BB72_9 Depth=1
	v_add_f32_e64 v16, |v10|, |v10|
	v_mul_f32_e32 v17, 0x3fb8aa3b, v16
	v_cmp_ngt_f32_e32 vcc_lo, 0xc2ce8ed0, v16
	v_rndne_f32_e32 v92, v17
	v_fma_f32 v93, 0x3fb8aa3b, v16, -v17
	v_sub_f32_e32 v17, v17, v92
	v_fmac_f32_e32 v93, 0x32a5705f, v16
	v_cvt_i32_f32_e32 v92, v92
	v_add_f32_e32 v17, v17, v93
	v_exp_f32_e32 v17, v17
	v_ldexp_f32 v17, v17, v92
	v_cndmask_b32_e32 v17, 0, v17, vcc_lo
	v_cmp_nlt_f32_e32 vcc_lo, 0x42b17218, v16
	v_cndmask_b32_e32 v16, 0x7f800000, v17, vcc_lo
	v_add_f32_e32 v16, 1.0, v16
	v_rcp_f32_e32 v16, v16
	v_fma_f32 v16, v16, -2.0, 1.0
.LBB72_59:                              ;   in Loop: Header=BB72_9 Depth=1
	s_andn2_saveexec_b32 s18, s18
	s_cbranch_execz .LBB72_61
; %bb.60:                               ;   in Loop: Header=BB72_9 Depth=1
	v_mul_f32_e32 v16, v10, v10
	v_fmaak_f32 v17, s15, v16, 0x3ca908c9
	v_fmaak_f32 v17, v16, v17, 0xbd5c1c4e
	;; [unrolled: 1-line block ×4, first 2 shown]
	v_mul_f32_e64 v17, |v10|, v17
	v_fma_f32 v16, v16, v17, |v10|
.LBB72_61:                              ;   in Loop: Header=BB72_9 Depth=1
	s_or_b32 exec_lo, exec_lo, s18
	v_cmp_ngt_f32_e64 s18, 0x3f200000, |v11|
                                        ; implicit-def: $vgpr17
	s_and_saveexec_b32 s19, s18
	s_xor_b32 s18, exec_lo, s19
	s_cbranch_execz .LBB72_63
; %bb.62:                               ;   in Loop: Header=BB72_9 Depth=1
	v_add_f32_e64 v17, |v11|, |v11|
	v_mul_f32_e32 v92, 0x3fb8aa3b, v17
	v_cmp_ngt_f32_e32 vcc_lo, 0xc2ce8ed0, v17
	v_rndne_f32_e32 v93, v92
	v_fma_f32 v94, 0x3fb8aa3b, v17, -v92
	v_sub_f32_e32 v92, v92, v93
	v_fmac_f32_e32 v94, 0x32a5705f, v17
	v_cvt_i32_f32_e32 v93, v93
	v_add_f32_e32 v92, v92, v94
	v_exp_f32_e32 v92, v92
	v_ldexp_f32 v92, v92, v93
	v_cndmask_b32_e32 v92, 0, v92, vcc_lo
	v_cmp_nlt_f32_e32 vcc_lo, 0x42b17218, v17
	v_cndmask_b32_e32 v17, 0x7f800000, v92, vcc_lo
	v_add_f32_e32 v17, 1.0, v17
	v_rcp_f32_e32 v17, v17
	v_fma_f32 v17, v17, -2.0, 1.0
.LBB72_63:                              ;   in Loop: Header=BB72_9 Depth=1
	s_andn2_saveexec_b32 s18, s18
	s_cbranch_execz .LBB72_65
; %bb.64:                               ;   in Loop: Header=BB72_9 Depth=1
	v_mul_f32_e32 v17, v11, v11
	v_fmaak_f32 v92, s15, v17, 0x3ca908c9
	v_fmaak_f32 v92, v17, v92, 0xbd5c1c4e
	;; [unrolled: 1-line block ×4, first 2 shown]
	v_mul_f32_e64 v92, |v11|, v92
	v_fma_f32 v17, v17, v92, |v11|
.LBB72_65:                              ;   in Loop: Header=BB72_9 Depth=1
	s_or_b32 exec_lo, exec_lo, s18
	v_cmp_ngt_f32_e64 s18, 0x3f200000, |v12|
                                        ; implicit-def: $vgpr92
	s_and_saveexec_b32 s19, s18
	s_xor_b32 s18, exec_lo, s19
	s_cbranch_execz .LBB72_67
; %bb.66:                               ;   in Loop: Header=BB72_9 Depth=1
	v_add_f32_e64 v92, |v12|, |v12|
	v_mul_f32_e32 v93, 0x3fb8aa3b, v92
	v_cmp_ngt_f32_e32 vcc_lo, 0xc2ce8ed0, v92
	v_rndne_f32_e32 v94, v93
	v_fma_f32 v95, 0x3fb8aa3b, v92, -v93
	v_sub_f32_e32 v93, v93, v94
	v_fmac_f32_e32 v95, 0x32a5705f, v92
	v_cvt_i32_f32_e32 v94, v94
	v_add_f32_e32 v93, v93, v95
	v_exp_f32_e32 v93, v93
	v_ldexp_f32 v93, v93, v94
	v_cndmask_b32_e32 v93, 0, v93, vcc_lo
	v_cmp_nlt_f32_e32 vcc_lo, 0x42b17218, v92
	v_cndmask_b32_e32 v92, 0x7f800000, v93, vcc_lo
	v_add_f32_e32 v92, 1.0, v92
	v_rcp_f32_e32 v92, v92
	v_fma_f32 v92, v92, -2.0, 1.0
.LBB72_67:                              ;   in Loop: Header=BB72_9 Depth=1
	s_andn2_saveexec_b32 s18, s18
	s_cbranch_execz .LBB72_69
; %bb.68:                               ;   in Loop: Header=BB72_9 Depth=1
	v_mul_f32_e32 v92, v12, v12
	v_fmaak_f32 v93, s15, v92, 0x3ca908c9
	v_fmaak_f32 v93, v92, v93, 0xbd5c1c4e
	v_fmaak_f32 v93, v92, v93, 0x3e088382
	v_fmaak_f32 v93, v92, v93, 0xbeaaaa99
	v_mul_f32_e64 v93, |v12|, v93
	v_fma_f32 v92, v92, v93, |v12|
.LBB72_69:                              ;   in Loop: Header=BB72_9 Depth=1
	s_or_b32 exec_lo, exec_lo, s18
	v_cmp_ngt_f32_e64 s18, 0x3f200000, |v13|
                                        ; implicit-def: $vgpr93
	s_and_saveexec_b32 s19, s18
	s_xor_b32 s18, exec_lo, s19
	s_cbranch_execz .LBB72_71
; %bb.70:                               ;   in Loop: Header=BB72_9 Depth=1
	v_add_f32_e64 v93, |v13|, |v13|
	v_mul_f32_e32 v94, 0x3fb8aa3b, v93
	v_cmp_ngt_f32_e32 vcc_lo, 0xc2ce8ed0, v93
	v_rndne_f32_e32 v95, v94
	v_fma_f32 v96, 0x3fb8aa3b, v93, -v94
	v_sub_f32_e32 v94, v94, v95
	v_fmac_f32_e32 v96, 0x32a5705f, v93
	v_cvt_i32_f32_e32 v95, v95
	v_add_f32_e32 v94, v94, v96
	v_exp_f32_e32 v94, v94
	v_ldexp_f32 v94, v94, v95
	v_cndmask_b32_e32 v94, 0, v94, vcc_lo
	v_cmp_nlt_f32_e32 vcc_lo, 0x42b17218, v93
	v_cndmask_b32_e32 v93, 0x7f800000, v94, vcc_lo
	v_add_f32_e32 v93, 1.0, v93
	v_rcp_f32_e32 v93, v93
	v_fma_f32 v93, v93, -2.0, 1.0
.LBB72_71:                              ;   in Loop: Header=BB72_9 Depth=1
	s_andn2_saveexec_b32 s18, s18
	s_cbranch_execz .LBB72_73
; %bb.72:                               ;   in Loop: Header=BB72_9 Depth=1
	v_mul_f32_e32 v93, v13, v13
	v_fmaak_f32 v94, s15, v93, 0x3ca908c9
	v_fmaak_f32 v94, v93, v94, 0xbd5c1c4e
	;; [unrolled: 1-line block ×4, first 2 shown]
	v_mul_f32_e64 v94, |v13|, v94
	v_fma_f32 v93, v93, v94, |v13|
.LBB72_73:                              ;   in Loop: Header=BB72_9 Depth=1
	s_or_b32 exec_lo, exec_lo, s18
	v_bfi_b32 v10, 0x7fffffff, v16, v10
	v_bfi_b32 v11, 0x7fffffff, v17, v11
	v_bfi_b32 v12, 0x7fffffff, v92, v12
	v_bfi_b32 v13, 0x7fffffff, v93, v13
	s_mul_hi_i32 s19, s6, s8
	v_fmac_f32_e32 v83, s10, v10
	v_fmac_f32_e32 v82, s10, v11
	;; [unrolled: 1-line block ×4, first 2 shown]
	s_waitcnt lgkmcnt(0)
	v_max_f32_e32 v12, v15, v15
	v_add_f32_e32 v10, 0x40051340, v83
	v_add_f32_e32 v11, 0x40051340, v82
	v_max_f32_e32 v13, v14, v14
	v_add_f32_e32 v14, 0x40051340, v81
	v_add_f32_e32 v15, 0x40051340, v80
	s_mul_i32 s18, s6, s8
	v_max3_f32 v10, v69, v10, v11
	v_max_f32_e32 v11, v20, v20
	v_max_f32_e32 v16, v19, v19
	s_lshl_b64 s[18:19], s[18:19], 2
	v_max_f32_e32 v17, v3, v3
	v_max3_f32 v10, v10, v14, v15
	v_max_f32_e32 v19, v2, v2
	s_add_u32 s18, s12, s18
	v_max_f32_e32 v2, v16, v11
	s_addc_u32 s19, s13, s19
	ds_bpermute_b32 v14, v1, v10
	v_add_co_u32 v11, vcc_lo, s18, v35
	v_max_f32_e32 v3, v13, v12
	v_add_co_ci_u32_e64 v12, null, s19, v36, vcc_lo
	v_add_co_u32 v13, vcc_lo, s18, v37
	v_max_f32_e32 v1, v19, v17
	v_add_co_ci_u32_e64 v15, null, s19, v38, vcc_lo
	v_add_co_u32 v16, vcc_lo, s18, v39
	v_add_co_ci_u32_e64 v17, null, s19, v40, vcc_lo
	v_add_co_u32 v19, vcc_lo, s18, v41
	v_add_co_ci_u32_e64 v20, null, s19, v42, vcc_lo
	v_sub_f32_e32 v94, v5, v1
	s_waitcnt lgkmcnt(0)
	v_max_f32_e32 v14, v14, v14
	v_add_co_u32 v5, vcc_lo, v11, v60
	v_sub_f32_e32 v92, v9, v1
	v_sub_f32_e32 v95, v6, v1
	v_max_f32_e32 v93, v10, v14
	v_add_co_ci_u32_e64 v6, null, 0, v12, vcc_lo
	v_add_co_u32 v9, vcc_lo, v13, v60
	ds_bpermute_b32 v86, v86, v93
	v_add_co_ci_u32_e64 v10, null, 0, v15, vcc_lo
	v_add_co_u32 v13, vcc_lo, v16, v60
	v_add_co_ci_u32_e64 v14, null, 0, v17, vcc_lo
	v_add_co_u32 v17, vcc_lo, v19, v60
	v_sub_f32_e32 v98, v18, v2
	v_add_co_ci_u32_e64 v18, null, 0, v20, vcc_lo
	s_waitcnt lgkmcnt(0)
	s_barrier
	buffer_gl0_inv
	v_sub_f32_e32 v96, v7, v1
	v_sub_f32_e32 v97, v8, v1
	s_clause 0x3
	global_load_dwordx4 v[5:8], v[5:6], off
	global_load_dwordx4 v[9:12], v[9:10], off
	;; [unrolled: 1-line block ×4, first 2 shown]
	v_sub_f32_e32 v99, v78, v2
	v_max_f32_e32 v86, v86, v86
	v_mul_f32_e32 v100, 0x3fb8aa3b, v96
	v_mul_f32_e32 v101, 0x3fb8aa3b, v97
	;; [unrolled: 1-line block ×4, first 2 shown]
	v_max_f32_e32 v78, v93, v86
	v_mul_f32_e32 v86, 0x3fb8aa3b, v94
	v_mul_f32_e32 v93, 0x3fb8aa3b, v95
	v_fma_f32 v109, 0x3fb8aa3b, v96, -v100
	v_rndne_f32_e32 v110, v100
	ds_bpermute_b32 v84, v84, v78
	v_fma_f32 v105, 0x3fb8aa3b, v94, -v86
	v_rndne_f32_e32 v106, v86
	v_fma_f32 v107, 0x3fb8aa3b, v95, -v93
	v_rndne_f32_e32 v108, v93
	v_fma_f32 v111, 0x3fb8aa3b, v97, -v101
	v_fmac_f32_e32 v105, 0x32a5705f, v94
	v_sub_f32_e32 v86, v86, v106
	v_fmac_f32_e32 v107, 0x32a5705f, v95
	v_sub_f32_e32 v93, v93, v108
	v_rndne_f32_e32 v112, v101
	v_fmac_f32_e32 v109, 0x32a5705f, v96
	v_add_f32_e32 v86, v86, v105
	v_cvt_i32_f32_e32 v106, v106
	v_add_f32_e32 v93, v93, v107
	v_fmac_f32_e32 v111, 0x32a5705f, v97
	v_rndne_f32_e32 v114, v102
	v_exp_f32_e32 v86, v86
	v_rndne_f32_e32 v116, v103
	v_exp_f32_e32 v93, v93
	s_waitcnt lgkmcnt(0)
	v_max_f32_e32 v84, v84, v84
	v_cvt_i32_f32_e32 v108, v108
	v_cmp_ngt_f32_e32 vcc_lo, 0xc2ce8ed0, v94
	v_fma_f32 v113, 0x3fb8aa3b, v92, -v102
	v_fma_f32 v115, 0x3fb8aa3b, v98, -v103
	v_max_f32_e32 v78, v78, v84
	v_sub_f32_e32 v84, v100, v110
	v_sub_f32_e32 v100, v101, v112
	v_ldexp_f32 v86, v86, v106
	v_sub_f32_e32 v101, v102, v114
	ds_bpermute_b32 v79, v79, v78
	v_add_f32_e32 v84, v84, v109
	v_add_f32_e32 v100, v100, v111
	v_sub_f32_e32 v102, v103, v116
	v_cvt_i32_f32_e32 v103, v110
	v_ldexp_f32 v93, v93, v108
	v_exp_f32_e32 v84, v84
	v_exp_f32_e32 v100, v100
	v_fmac_f32_e32 v113, 0x32a5705f, v92
	v_cvt_i32_f32_e32 v105, v112
	v_cvt_i32_f32_e32 v107, v114
	v_sub_f32_e32 v91, v91, v2
	v_fmac_f32_e32 v115, 0x32a5705f, v98
	v_add_f32_e32 v101, v101, v113
	v_sub_f32_e32 v85, v85, v2
	v_sub_f32_e32 v71, v71, v2
	v_ldexp_f32 v84, v84, v103
	v_ldexp_f32 v100, v100, v105
	v_exp_f32_e32 v101, v101
	v_mul_f32_e32 v104, 0x3fb8aa3b, v91
	s_waitcnt lgkmcnt(0)
	v_max_f32_e32 v79, v79, v79
	v_add_f32_e32 v102, v102, v115
	v_sub_f32_e32 v90, v90, v3
	v_sub_f32_e32 v89, v89, v3
	v_fma_f32 v117, 0x3fb8aa3b, v91, -v104
	v_max_f32_e32 v79, v78, v79
	v_cndmask_b32_e32 v78, 0, v86, vcc_lo
	v_cmp_ngt_f32_e32 vcc_lo, 0xc2ce8ed0, v95
	v_ldexp_f32 v101, v101, v107
	v_rndne_f32_e32 v118, v104
	ds_bpermute_b32 v4, v4, v79
	v_fmac_f32_e32 v117, 0x32a5705f, v91
	v_cndmask_b32_e32 v86, 0, v93, vcc_lo
	v_cmp_ngt_f32_e32 vcc_lo, 0xc2ce8ed0, v96
	v_sub_f32_e32 v88, v88, v3
	v_sub_f32_e32 v87, v87, v3
	s_or_b32 s18, s6, 64
	v_cndmask_b32_e32 v84, 0, v84, vcc_lo
	v_cmp_ngt_f32_e32 vcc_lo, 0xc2ce8ed0, v97
	s_mul_hi_i32 s19, s18, s8
	s_mul_i32 s18, s18, s8
	s_lshl_b64 s[18:19], s[18:19], 2
	v_cndmask_b32_e32 v93, 0, v100, vcc_lo
	v_cmp_nlt_f32_e32 vcc_lo, 0x42b17218, v94
	s_add_u32 s18, s12, s18
	s_addc_u32 s19, s13, s19
	v_cndmask_b32_e32 v78, 0x7f800000, v78, vcc_lo
	v_cmp_nlt_f32_e32 vcc_lo, 0x42b17218, v95
	s_waitcnt lgkmcnt(0)
	v_max_f32_e32 v4, v4, v4
	v_cndmask_b32_e32 v86, 0x7f800000, v86, vcc_lo
	v_cmp_ngt_f32_e32 vcc_lo, 0xc2ce8ed0, v92
	v_max_f32_e32 v4, v79, v4
	v_sub_f32_e32 v79, v104, v118
	v_add_f32_e32 v95, v78, v86
	v_cndmask_b32_e32 v94, 0, v101, vcc_lo
	v_cmp_nlt_f32_e32 vcc_lo, 0x42b17218, v96
	v_exp_f32_e32 v101, v102
	v_mul_f32_e32 v102, 0x3fb8aa3b, v89
	v_sub_f32_e32 v83, v83, v4
	v_sub_f32_e32 v82, v82, v4
	v_cndmask_b32_e32 v84, 0x7f800000, v84, vcc_lo
	v_cmp_nlt_f32_e32 vcc_lo, 0x42b17218, v97
	v_rndne_f32_e32 v103, v102
	v_sub_f32_e32 v81, v81, v4
	v_cvt_f16_f32_e32 v86, v86
	v_cndmask_b32_e32 v93, 0x7f800000, v93, vcc_lo
	v_cmp_nlt_f32_e32 vcc_lo, 0x42b17218, v92
	v_mul_f32_e32 v106, 0x3fb8aa3b, v81
	v_cndmask_b32_e32 v92, 0x7f800000, v94, vcc_lo
	v_cvt_f16_f32_e32 v94, v78
	v_add_f32_e32 v78, v84, v95
	v_cvt_f16_f32_e32 v95, v93
	v_cmp_ngt_f32_e32 vcc_lo, 0xc2ce8ed0, v98
	v_cvt_f16_f32_e32 v96, v92
	v_fma_f32 v108, 0x3fb8aa3b, v81, -v106
	v_add_f32_e32 v78, v93, v78
	v_mul_f32_e32 v93, 0x3fb8aa3b, v99
	v_rndne_f32_e32 v109, v106
	v_cvt_f16_f32_e32 v84, v84
	v_fmac_f32_e32 v108, 0x32a5705f, v81
	v_fmac_f32_e32 v78, v72, v92
	v_fma_f32 v97, 0x3fb8aa3b, v99, -v93
	v_rndne_f32_e32 v100, v93
	v_add_f32_e32 v72, v79, v117
	v_cvt_i32_f32_e32 v92, v116
	v_fmac_f32_e32 v97, 0x32a5705f, v99
	v_sub_f32_e32 v79, v93, v100
	v_exp_f32_e32 v72, v72
	v_mul_u32_u24_sdwa v93, v96, v61 dst_sel:DWORD dst_unused:UNUSED_PAD src0_sel:WORD_0 src1_sel:DWORD
	v_ldexp_f32 v92, v101, v92
	v_cvt_i32_f32_e32 v96, v118
	v_add_f32_e32 v79, v79, v97
	v_mul_f32_e32 v97, 0x3fb8aa3b, v85
	v_cvt_i32_f32_e32 v100, v100
	v_cndmask_b32_e32 v92, 0, v92, vcc_lo
	v_cmp_ngt_f32_e32 vcc_lo, 0xc2ce8ed0, v91
	v_exp_f32_e32 v79, v79
	v_ldexp_f32 v72, v72, v96
	v_fma_f32 v96, 0x3fb8aa3b, v85, -v97
	v_rndne_f32_e32 v101, v97
	v_pk_mul_f16 v67, v67, v93
	v_cndmask_b32_e32 v72, 0, v72, vcc_lo
	v_cmp_nlt_f32_e32 vcc_lo, 0x42b17218, v98
	v_fmac_f32_e32 v96, 0x32a5705f, v85
	v_sub_f32_e32 v97, v97, v101
	v_ldexp_f32 v79, v79, v100
	v_mul_f32_e32 v100, 0x3fb8aa3b, v71
	v_cndmask_b32_e32 v92, 0x7f800000, v92, vcc_lo
	v_cmp_nlt_f32_e32 vcc_lo, 0x42b17218, v91
	v_add_f32_e32 v91, v97, v96
	v_fma_f32 v96, 0x3fb8aa3b, v71, -v100
	v_rndne_f32_e32 v97, v100
	v_cndmask_b32_e32 v72, 0x7f800000, v72, vcc_lo
	v_cmp_ngt_f32_e32 vcc_lo, 0xc2ce8ed0, v99
	v_exp_f32_e32 v91, v91
	v_fmac_f32_e32 v96, 0x32a5705f, v71
	v_sub_f32_e32 v100, v100, v97
	v_add_f32_e32 v98, v92, v72
	v_cndmask_b32_e32 v79, 0, v79, vcc_lo
	v_cmp_nlt_f32_e32 vcc_lo, 0x42b17218, v99
	v_cvt_i32_f32_e32 v99, v101
	v_add_f32_e32 v96, v100, v96
	v_cvt_f16_f32_e32 v100, v72
	v_cvt_f16_f32_e32 v92, v92
	v_cndmask_b32_e32 v79, 0x7f800000, v79, vcc_lo
	v_ldexp_f32 v91, v91, v99
	v_exp_f32_e32 v96, v96
	v_cmp_ngt_f32_e32 vcc_lo, 0xc2ce8ed0, v85
	v_add_f32_e32 v72, v79, v98
	v_mul_f32_e32 v98, 0x3fb8aa3b, v90
	v_cvt_f16_f32_e32 v99, v79
	v_cvt_i32_f32_e32 v79, v97
	v_cndmask_b32_e32 v91, 0, v91, vcc_lo
	v_cmp_nlt_f32_e32 vcc_lo, 0x42b17218, v85
	v_fma_f32 v97, 0x3fb8aa3b, v90, -v98
	v_rndne_f32_e32 v101, v98
	v_ldexp_f32 v79, v96, v79
	v_cndmask_b32_e32 v85, 0x7f800000, v91, vcc_lo
	v_fmac_f32_e32 v97, 0x32a5705f, v90
	v_sub_f32_e32 v96, v98, v101
	v_fma_f32 v98, 0x3fb8aa3b, v89, -v102
	v_cmp_ngt_f32_e32 vcc_lo, 0xc2ce8ed0, v71
	v_add_f32_e32 v91, v96, v97
	v_fmac_f32_e32 v98, 0x32a5705f, v89
	v_sub_f32_e32 v96, v102, v103
	v_cndmask_b32_e32 v97, 0, v79, vcc_lo
	v_add_f32_e32 v79, v85, v72
	v_exp_f32_e32 v72, v91
	v_cmp_nlt_f32_e32 vcc_lo, 0x42b17218, v71
	v_add_f32_e32 v91, v96, v98
	v_mul_f32_e32 v71, 0x3fb8aa3b, v88
	v_sub_f32_e32 v98, v70, v3
	v_mul_f32_e32 v102, 0x3fb8aa3b, v87
	v_cndmask_b32_e32 v96, 0x7f800000, v97, vcc_lo
	v_cvt_f16_f32_e32 v97, v85
	v_cvt_i32_f32_e32 v85, v101
	v_exp_f32_e32 v91, v91
	v_fma_f32 v70, 0x3fb8aa3b, v88, -v71
	v_rndne_f32_e32 v101, v71
	v_cmp_ngt_f32_e32 vcc_lo, 0xc2ce8ed0, v90
	v_ldexp_f32 v72, v72, v85
	v_cvt_i32_f32_e32 v85, v103
	v_fmac_f32_e32 v70, 0x32a5705f, v88
	v_sub_f32_e32 v71, v71, v101
	v_fma_f32 v103, 0x3fb8aa3b, v87, -v102
	v_cndmask_b32_e32 v72, 0, v72, vcc_lo
	v_ldexp_f32 v85, v91, v85
	v_cmp_ngt_f32_e32 vcc_lo, 0xc2ce8ed0, v89
	v_rndne_f32_e32 v104, v102
	v_add_f32_e32 v70, v71, v70
	v_fmac_f32_e32 v103, 0x32a5705f, v87
	v_fmac_f32_e32 v79, v68, v96
	v_cndmask_b32_e32 v85, 0, v85, vcc_lo
	v_cmp_nlt_f32_e32 vcc_lo, 0x42b17218, v90
	v_sub_f32_e32 v71, v102, v104
	v_exp_f32_e32 v70, v70
	v_cndmask_b32_e32 v90, 0x7f800000, v72, vcc_lo
	v_cmp_nlt_f32_e32 vcc_lo, 0x42b17218, v89
	v_add_f32_e32 v71, v71, v103
	v_mul_f32_e32 v72, 0x3fb8aa3b, v98
	v_mul_f32_e32 v103, 0x3fb8aa3b, v83
	v_cvt_f16_f32_e32 v102, v90
	v_cndmask_b32_e32 v89, 0x7f800000, v85, vcc_lo
	v_cvt_i32_f32_e32 v85, v101
	v_exp_f32_e32 v71, v71
	v_fma_f32 v91, 0x3fb8aa3b, v98, -v72
	v_rndne_f32_e32 v101, v72
	v_cmp_ngt_f32_e32 vcc_lo, 0xc2ce8ed0, v88
	v_ldexp_f32 v70, v70, v85
	v_cvt_i32_f32_e32 v85, v104
	v_fmac_f32_e32 v91, 0x32a5705f, v98
	v_sub_f32_e32 v72, v72, v101
	v_cvt_i32_f32_e32 v101, v101
	v_cndmask_b32_e32 v70, 0, v70, vcc_lo
	v_cmp_nlt_f32_e32 vcc_lo, 0x42b17218, v88
	v_ldexp_f32 v71, v71, v85
	v_add_f32_e32 v72, v72, v91
	v_rndne_f32_e32 v91, v103
	v_cvt_f16_f32_e32 v85, v89
	v_cndmask_b32_e32 v88, 0x7f800000, v70, vcc_lo
	v_cmp_ngt_f32_e32 vcc_lo, 0xc2ce8ed0, v87
	v_exp_f32_e32 v72, v72
	v_cvt_f16_f32_e32 v104, v88
	v_cndmask_b32_e32 v70, 0, v71, vcc_lo
	v_fma_f32 v71, 0x3fb8aa3b, v83, -v103
	v_cmp_nlt_f32_e32 vcc_lo, 0x42b17218, v87
	v_sub_f32_e32 v87, v103, v91
	v_mul_f32_e32 v103, 0x3fb8aa3b, v82
	v_cvt_i32_f32_e32 v91, v91
	v_fmac_f32_e32 v71, 0x32a5705f, v83
	v_ldexp_f32 v101, v72, v101
	v_sub_f32_e32 v72, v80, v4
	v_rndne_f32_e32 v80, v103
	v_cndmask_b32_e32 v70, 0x7f800000, v70, vcc_lo
	v_add_f32_e32 v71, v87, v71
	v_fma_f32 v87, 0x3fb8aa3b, v82, -v103
	v_mul_f32_e32 v107, 0x3fb8aa3b, v72
	v_sub_f32_e32 v103, v103, v80
	v_cmp_ngt_f32_e32 vcc_lo, 0xc2ce8ed0, v83
	v_exp_f32_e32 v71, v71
	v_fmac_f32_e32 v87, 0x32a5705f, v82
	v_fma_f32 v110, 0x3fb8aa3b, v72, -v107
	v_rndne_f32_e32 v111, v107
	v_cvt_i32_f32_e32 v80, v80
	v_cvt_f16_f32_e32 v105, v70
	v_add_f32_e32 v87, v103, v87
	v_sub_f32_e32 v103, v106, v109
	v_fmac_f32_e32 v110, 0x32a5705f, v72
	v_sub_f32_e32 v106, v107, v111
	v_sub_f32_e32 v107, v69, v4
	v_ldexp_f32 v69, v71, v91
	v_exp_f32_e32 v71, v87
	v_add_f32_e32 v87, v103, v108
	v_add_f32_e32 v91, v106, v110
	v_cvt_i32_f32_e32 v109, v109
	v_cndmask_b32_e32 v69, 0, v69, vcc_lo
	v_cmp_ngt_f32_e32 vcc_lo, 0xc2ce8ed0, v82
	v_exp_f32_e32 v87, v87
	v_exp_f32_e32 v91, v91
	v_cvt_i32_f32_e32 v110, v111
	v_mul_f32_e32 v103, 0x3fb8aa3b, v107
	v_ldexp_f32 v71, v71, v80
	v_fma_f32 v106, 0x3fb8aa3b, v107, -v103
	v_cndmask_b32_e32 v71, 0, v71, vcc_lo
	v_ldexp_f32 v87, v87, v109
	v_cmp_ngt_f32_e32 vcc_lo, 0xc2ce8ed0, v81
	v_ldexp_f32 v91, v91, v110
	v_rndne_f32_e32 v108, v103
	v_fmac_f32_e32 v106, 0x32a5705f, v107
	v_add_nc_u32_e32 v109, v55, v45
	v_cndmask_b32_e32 v87, 0, v87, vcc_lo
	v_cmp_ngt_f32_e32 vcc_lo, 0xc2ce8ed0, v72
	v_sub_f32_e32 v80, v103, v108
	v_cndmask_b32_e32 v91, 0, v91, vcc_lo
	v_cmp_nlt_f32_e32 vcc_lo, 0x42b17218, v83
	v_add_f32_e32 v80, v80, v106
	v_cndmask_b32_e32 v103, 0x7f800000, v69, vcc_lo
	v_cmp_nlt_f32_e32 vcc_lo, 0x42b17218, v82
	v_exp_f32_e32 v80, v80
	v_cndmask_b32_e32 v106, 0x7f800000, v71, vcc_lo
	v_cmp_nlt_f32_e32 vcc_lo, 0x42b17218, v81
	v_cvt_i32_f32_e32 v71, v108
	v_cvt_f16_f32_e32 v81, v106
	v_cndmask_b32_e32 v87, 0x7f800000, v87, vcc_lo
	v_cmp_nlt_f32_e32 vcc_lo, 0x42b17218, v72
	v_cvt_f16_f32_e32 v72, v103
	v_ldexp_f32 v108, v80, v71
	v_pack_b32_f16 v71, v94, v92
	v_cvt_f16_f32_e32 v82, v87
	v_cndmask_b32_e32 v69, 0x7f800000, v91, vcc_lo
	v_cmp_ngt_f32_e32 vcc_lo, 0xc2ce8ed0, v98
	v_pack_b32_f16 v72, v102, v72
	v_pack_b32_f16 v81, v85, v81
	;; [unrolled: 1-line block ×3, first 2 shown]
	v_cvt_f16_f32_e32 v91, v69
	v_cndmask_b32_e32 v86, 0, v101, vcc_lo
	v_cmp_ngt_f32_e32 vcc_lo, 0xc2ce8ed0, v107
	v_pack_b32_f16 v83, v104, v82
	v_pack_b32_f16 v82, v84, v99
	;; [unrolled: 1-line block ×4, first 2 shown]
	v_cndmask_b32_e32 v91, 0, v108, vcc_lo
	ds_write2_b64 v109, v[71:72], v[80:81] offset1:32
	ds_write2_b64 v109, v[82:83], v[84:85] offset0:64 offset1:96
	s_waitcnt vmcnt(3)
	ds_write_b128 v54, v[5:8]
	s_waitcnt vmcnt(2)
	ds_write_b128 v56, v[9:12]
	;; [unrolled: 2-line block ×4, first 2 shown]
	s_waitcnt lgkmcnt(0)
	s_barrier
	buffer_gl0_inv
	ds_read_b128 v[5:8], v55
	v_cmp_nlt_f32_e32 vcc_lo, 0x42b17218, v98
	ds_read2_b64 v[9:12], v45 offset1:32
	v_cvt_f16_f32_e32 v13, v96
	v_add_f32_e32 v16, v90, v89
	v_add_f32_e32 v17, v103, v106
	v_cndmask_b32_e32 v72, 0x7f800000, v86, vcc_lo
	v_cmp_nlt_f32_e32 vcc_lo, 0x42b17218, v107
	v_mul_u32_u24_sdwa v68, v13, v61 dst_sel:DWORD dst_unused:UNUSED_PAD src0_sel:WORD_0 src1_sel:DWORD
	v_add_f32_e32 v81, v88, v16
	v_add_f32_e32 v80, v87, v17
	v_cvt_f16_f32_e32 v14, v72
	v_cndmask_b32_e32 v71, 0x7f800000, v91, vcc_lo
	v_pk_mul_f16 v65, v65, v68
	v_add_co_u32 v171, vcc_lo, s18, v35
	v_mul_u32_u24_sdwa v86, v14, v61 dst_sel:DWORD dst_unused:UNUSED_PAD src0_sel:WORD_0 src1_sel:DWORD
	v_cvt_f16_f32_e32 v15, v71
	v_add_co_ci_u32_e64 v172, null, s19, v36, vcc_lo
	v_add_co_u32 v173, vcc_lo, s18, v37
	v_mul_u32_u24_sdwa v18, v15, v61 dst_sel:DWORD dst_unused:UNUSED_PAD src0_sel:WORD_0 src1_sel:DWORD
	v_pk_mul_f16 v87, v24, v86
	ds_read_b128 v[13:16], v55 offset:16
	s_waitcnt lgkmcnt(2)
	v_mul_u32_u24_sdwa v24, v5, v61 dst_sel:DWORD dst_unused:UNUSED_PAD src0_sel:WORD_0 src1_sel:DWORD
	v_mul_u32_u24_sdwa v5, v5, v61 dst_sel:DWORD dst_unused:UNUSED_PAD src0_sel:WORD_1 src1_sel:DWORD
	v_mul_u32_u24_sdwa v88, v6, v61 dst_sel:DWORD dst_unused:UNUSED_PAD src0_sel:WORD_0 src1_sel:DWORD
	v_pk_mul_f16 v22, v22, v18
	v_pk_mul_f16 v89, v21, v18
	v_mul_u32_u24_sdwa v6, v6, v61 dst_sel:DWORD dst_unused:UNUSED_PAD src0_sel:WORD_1 src1_sel:DWORD
	s_waitcnt lgkmcnt(1)
	v_pk_mul_f16 v21, v9, v24
	v_pk_mul_f16 v90, v9, v5
	;; [unrolled: 1-line block ×3, first 2 shown]
	ds_read_b128 v[17:20], v55 offset:32
	ds_read_b128 v[82:85], v55 offset:48
	v_pk_fma_f16 v9, v9, v6, v22
	v_pk_fma_f16 v66, v66, v93, v21
	v_pk_fma_f16 v64, v64, v68, v90
	v_pk_fma_f16 v68, v23, v86, v91
	v_pk_fma_f16 v67, v10, v24, v67
	ds_read2_b64 v[21:24], v45 offset0:64 offset1:96
	v_pk_fma_f16 v5, v10, v5, v65
	v_pk_fma_f16 v65, v10, v88, v87
	v_mul_u32_u24_sdwa v86, v7, v61 dst_sel:DWORD dst_unused:UNUSED_PAD src0_sel:WORD_0 src1_sel:DWORD
	v_mul_u32_u24_sdwa v7, v7, v61 dst_sel:DWORD dst_unused:UNUSED_PAD src0_sel:WORD_1 src1_sel:DWORD
	v_mul_u32_u24_sdwa v87, v8, v61 dst_sel:DWORD dst_unused:UNUSED_PAD src0_sel:WORD_0 src1_sel:DWORD
	v_mul_u32_u24_sdwa v8, v8, v61 dst_sel:DWORD dst_unused:UNUSED_PAD src0_sel:WORD_1 src1_sel:DWORD
	v_pk_fma_f16 v6, v10, v6, v89
	v_pk_fma_f16 v10, v11, v86, v66
	;; [unrolled: 1-line block ×7, first 2 shown]
	s_waitcnt lgkmcnt(3)
	v_mul_u32_u24_sdwa v5, v13, v61 dst_sel:DWORD dst_unused:UNUSED_PAD src0_sel:WORD_0 src1_sel:DWORD
	v_pk_fma_f16 v65, v12, v87, v65
	v_pk_fma_f16 v12, v12, v8, v6
	v_mul_u32_u24_sdwa v13, v13, v61 dst_sel:DWORD dst_unused:UNUSED_PAD src0_sel:WORD_1 src1_sel:DWORD
	v_mul_u32_u24_sdwa v68, v14, v61 dst_sel:DWORD dst_unused:UNUSED_PAD src0_sel:WORD_0 src1_sel:DWORD
	v_mul_u32_u24_sdwa v14, v14, v61 dst_sel:DWORD dst_unused:UNUSED_PAD src0_sel:WORD_1 src1_sel:DWORD
	s_waitcnt lgkmcnt(0)
	v_pk_fma_f16 v10, v21, v5, v10
	v_pk_fma_f16 v11, v22, v5, v11
	ds_read2_b64 v[5:8], v45 offset0:128 offset1:160
	v_pk_fma_f16 v64, v21, v13, v64
	v_pk_fma_f16 v66, v21, v68, v66
	;; [unrolled: 1-line block ×5, first 2 shown]
	v_mul_u32_u24_sdwa v65, v15, v61 dst_sel:DWORD dst_unused:UNUSED_PAD src0_sel:WORD_0 src1_sel:DWORD
	v_mul_u32_u24_sdwa v15, v15, v61 dst_sel:DWORD dst_unused:UNUSED_PAD src0_sel:WORD_1 src1_sel:DWORD
	v_mul_u32_u24_sdwa v67, v16, v61 dst_sel:DWORD dst_unused:UNUSED_PAD src0_sel:WORD_0 src1_sel:DWORD
	v_mul_u32_u24_sdwa v16, v16, v61 dst_sel:DWORD dst_unused:UNUSED_PAD src0_sel:WORD_1 src1_sel:DWORD
	v_pk_fma_f16 v12, v22, v14, v12
	v_pk_fma_f16 v10, v23, v65, v10
	;; [unrolled: 1-line block ×8, first 2 shown]
	v_mul_u32_u24_sdwa v21, v17, v61 dst_sel:DWORD dst_unused:UNUSED_PAD src0_sel:WORD_0 src1_sel:DWORD
	v_mul_u32_u24_sdwa v17, v17, v61 dst_sel:DWORD dst_unused:UNUSED_PAD src0_sel:WORD_1 src1_sel:DWORD
	v_mul_u32_u24_sdwa v23, v18, v61 dst_sel:DWORD dst_unused:UNUSED_PAD src0_sel:WORD_0 src1_sel:DWORD
	v_mul_u32_u24_sdwa v18, v18, v61 dst_sel:DWORD dst_unused:UNUSED_PAD src0_sel:WORD_1 src1_sel:DWORD
	v_pk_fma_f16 v16, v24, v16, v12
	s_waitcnt lgkmcnt(0)
	v_pk_fma_f16 v24, v5, v21, v10
	v_pk_fma_f16 v14, v5, v17, v14
	;; [unrolled: 1-line block ×5, first 2 shown]
	ds_read2_b64 v[9:12], v45 offset0:192 offset1:224
	v_pk_fma_f16 v13, v6, v17, v13
	v_pk_fma_f16 v15, v6, v23, v15
	v_mul_u32_u24_sdwa v17, v19, v61 dst_sel:DWORD dst_unused:UNUSED_PAD src0_sel:WORD_0 src1_sel:DWORD
	v_mul_u32_u24_sdwa v19, v19, v61 dst_sel:DWORD dst_unused:UNUSED_PAD src0_sel:WORD_1 src1_sel:DWORD
	v_mul_u32_u24_sdwa v23, v20, v61 dst_sel:DWORD dst_unused:UNUSED_PAD src0_sel:WORD_0 src1_sel:DWORD
	v_mul_u32_u24_sdwa v20, v20, v61 dst_sel:DWORD dst_unused:UNUSED_PAD src0_sel:WORD_1 src1_sel:DWORD
	v_pk_fma_f16 v6, v6, v18, v16
	v_pk_fma_f16 v16, v7, v17, v24
	;; [unrolled: 1-line block ×8, first 2 shown]
	v_mul_u32_u24_sdwa v15, v82, v61 dst_sel:DWORD dst_unused:UNUSED_PAD src0_sel:WORD_0 src1_sel:DWORD
	v_mul_u32_u24_sdwa v21, v82, v61 dst_sel:DWORD dst_unused:UNUSED_PAD src0_sel:WORD_1 src1_sel:DWORD
	v_pk_fma_f16 v20, v8, v20, v6
	v_add_nc_u32_e32 v64, 0x800, v45
	ds_read_b128 v[5:8], v55 offset:64
	s_waitcnt lgkmcnt(1)
	v_pk_fma_f16 v65, v9, v15, v16
	v_pk_fma_f16 v66, v9, v21, v14
	;; [unrolled: 1-line block ×4, first 2 shown]
	ds_read2_b64 v[13:16], v64 offset1:32
	v_mul_u32_u24_sdwa v23, v83, v61 dst_sel:DWORD dst_unused:UNUSED_PAD src0_sel:WORD_0 src1_sel:DWORD
	v_mul_u32_u24_sdwa v24, v83, v61 dst_sel:DWORD dst_unused:UNUSED_PAD src0_sel:WORD_1 src1_sel:DWORD
	v_mul_u32_u24_sdwa v67, v85, v61 dst_sel:DWORD dst_unused:UNUSED_PAD src0_sel:WORD_0 src1_sel:DWORD
	v_mul_u32_u24_sdwa v68, v85, v61 dst_sel:DWORD dst_unused:UNUSED_PAD src0_sel:WORD_1 src1_sel:DWORD
	v_add_co_ci_u32_e64 v174, null, s19, v38, vcc_lo
	v_pk_fma_f16 v18, v9, v23, v18
	v_pk_fma_f16 v9, v9, v24, v22
	;; [unrolled: 1-line block ×3, first 2 shown]
	v_mul_u32_u24_sdwa v22, v84, v61 dst_sel:DWORD dst_unused:UNUSED_PAD src0_sel:WORD_0 src1_sel:DWORD
	v_mul_u32_u24_sdwa v23, v84, v61 dst_sel:DWORD dst_unused:UNUSED_PAD src0_sel:WORD_1 src1_sel:DWORD
	v_pk_fma_f16 v10, v10, v24, v20
	v_pk_fma_f16 v9, v11, v68, v9
	v_add_co_u32 v179, vcc_lo, v171, v60
	v_pk_fma_f16 v24, v11, v22, v65
	v_pk_fma_f16 v65, v11, v23, v66
	;; [unrolled: 1-line block ×6, first 2 shown]
	ds_read_b128 v[17:20], v55 offset:80
	s_waitcnt lgkmcnt(2)
	v_mul_u32_u24_sdwa v23, v5, v61 dst_sel:DWORD dst_unused:UNUSED_PAD src0_sel:WORD_0 src1_sel:DWORD
	v_mul_u32_u24_sdwa v5, v5, v61 dst_sel:DWORD dst_unused:UNUSED_PAD src0_sel:WORD_1 src1_sel:DWORD
	v_mul_u32_u24_sdwa v67, v6, v61 dst_sel:DWORD dst_unused:UNUSED_PAD src0_sel:WORD_0 src1_sel:DWORD
	v_mul_u32_u24_sdwa v6, v6, v61 dst_sel:DWORD dst_unused:UNUSED_PAD src0_sel:WORD_1 src1_sel:DWORD
	v_pk_fma_f16 v68, v12, v68, v10
	s_waitcnt lgkmcnt(1)
	v_pk_fma_f16 v24, v13, v23, v24
	v_pk_fma_f16 v65, v13, v5, v65
	;; [unrolled: 1-line block ×5, first 2 shown]
	ds_read2_b64 v[9:12], v64 offset0:64 offset1:96
	v_pk_fma_f16 v5, v14, v5, v21
	v_pk_fma_f16 v21, v14, v67, v22
	v_mul_u32_u24_sdwa v22, v7, v61 dst_sel:DWORD dst_unused:UNUSED_PAD src0_sel:WORD_0 src1_sel:DWORD
	v_mul_u32_u24_sdwa v7, v7, v61 dst_sel:DWORD dst_unused:UNUSED_PAD src0_sel:WORD_1 src1_sel:DWORD
	v_mul_u32_u24_sdwa v67, v8, v61 dst_sel:DWORD dst_unused:UNUSED_PAD src0_sel:WORD_0 src1_sel:DWORD
	v_mul_u32_u24_sdwa v8, v8, v61 dst_sel:DWORD dst_unused:UNUSED_PAD src0_sel:WORD_1 src1_sel:DWORD
	v_pk_fma_f16 v6, v14, v6, v68
	v_pk_fma_f16 v14, v15, v22, v24
	;; [unrolled: 1-line block ×8, first 2 shown]
	s_waitcnt lgkmcnt(1)
	v_mul_u32_u24_sdwa v23, v17, v61 dst_sel:DWORD dst_unused:UNUSED_PAD src0_sel:WORD_0 src1_sel:DWORD
	v_mul_u32_u24_sdwa v17, v17, v61 dst_sel:DWORD dst_unused:UNUSED_PAD src0_sel:WORD_1 src1_sel:DWORD
	v_pk_fma_f16 v66, v16, v8, v6
	v_mul_u32_u24_sdwa v67, v18, v61 dst_sel:DWORD dst_unused:UNUSED_PAD src0_sel:WORD_0 src1_sel:DWORD
	v_mul_u32_u24_sdwa v18, v18, v61 dst_sel:DWORD dst_unused:UNUSED_PAD src0_sel:WORD_1 src1_sel:DWORD
	ds_read_b128 v[5:8], v55 offset:96
	s_waitcnt lgkmcnt(1)
	v_pk_fma_f16 v68, v9, v23, v14
	v_pk_fma_f16 v24, v9, v17, v24
	;; [unrolled: 1-line block ×5, first 2 shown]
	ds_read2_b64 v[13:16], v64 offset0:128 offset1:160
	v_pk_fma_f16 v17, v10, v17, v22
	v_pk_fma_f16 v21, v10, v67, v21
	v_mul_u32_u24_sdwa v22, v19, v61 dst_sel:DWORD dst_unused:UNUSED_PAD src0_sel:WORD_0 src1_sel:DWORD
	v_mul_u32_u24_sdwa v19, v19, v61 dst_sel:DWORD dst_unused:UNUSED_PAD src0_sel:WORD_1 src1_sel:DWORD
	v_mul_u32_u24_sdwa v67, v20, v61 dst_sel:DWORD dst_unused:UNUSED_PAD src0_sel:WORD_0 src1_sel:DWORD
	v_mul_u32_u24_sdwa v82, v20, v61 dst_sel:DWORD dst_unused:UNUSED_PAD src0_sel:WORD_1 src1_sel:DWORD
	v_pk_fma_f16 v10, v10, v18, v66
	v_pk_fma_f16 v66, v11, v22, v68
	;; [unrolled: 1-line block ×8, first 2 shown]
	ds_read_b128 v[17:20], v55 offset:112
	s_waitcnt lgkmcnt(2)
	v_mul_u32_u24_sdwa v23, v5, v61 dst_sel:DWORD dst_unused:UNUSED_PAD src0_sel:WORD_0 src1_sel:DWORD
	v_mul_u32_u24_sdwa v5, v5, v61 dst_sel:DWORD dst_unused:UNUSED_PAD src0_sel:WORD_1 src1_sel:DWORD
	v_mul_u32_u24_sdwa v67, v6, v61 dst_sel:DWORD dst_unused:UNUSED_PAD src0_sel:WORD_0 src1_sel:DWORD
	v_mul_u32_u24_sdwa v6, v6, v61 dst_sel:DWORD dst_unused:UNUSED_PAD src0_sel:WORD_1 src1_sel:DWORD
	v_pk_fma_f16 v68, v12, v82, v10
	s_waitcnt lgkmcnt(1)
	v_pk_fma_f16 v66, v13, v23, v66
	v_pk_fma_f16 v24, v13, v5, v24
	;; [unrolled: 1-line block ×5, first 2 shown]
	ds_read2_b64 v[9:12], v64 offset0:192 offset1:224
	v_pk_fma_f16 v5, v14, v5, v22
	v_pk_fma_f16 v21, v14, v67, v21
	v_mul_u32_u24_sdwa v22, v7, v61 dst_sel:DWORD dst_unused:UNUSED_PAD src0_sel:WORD_0 src1_sel:DWORD
	v_mul_u32_u24_sdwa v7, v7, v61 dst_sel:DWORD dst_unused:UNUSED_PAD src0_sel:WORD_1 src1_sel:DWORD
	v_mul_u32_u24_sdwa v67, v8, v61 dst_sel:DWORD dst_unused:UNUSED_PAD src0_sel:WORD_0 src1_sel:DWORD
	v_mul_u32_u24_sdwa v8, v8, v61 dst_sel:DWORD dst_unused:UNUSED_PAD src0_sel:WORD_1 src1_sel:DWORD
	v_pk_fma_f16 v6, v14, v6, v68
	v_pk_fma_f16 v14, v15, v22, v66
	;; [unrolled: 1-line block ×8, first 2 shown]
	s_waitcnt lgkmcnt(1)
	v_mul_u32_u24_sdwa v23, v17, v61 dst_sel:DWORD dst_unused:UNUSED_PAD src0_sel:WORD_0 src1_sel:DWORD
	v_mul_u32_u24_sdwa v17, v17, v61 dst_sel:DWORD dst_unused:UNUSED_PAD src0_sel:WORD_1 src1_sel:DWORD
	v_pk_fma_f16 v67, v16, v8, v6
	v_mul_u32_u24_sdwa v68, v18, v61 dst_sel:DWORD dst_unused:UNUSED_PAD src0_sel:WORD_0 src1_sel:DWORD
	v_mul_u32_u24_sdwa v18, v18, v61 dst_sel:DWORD dst_unused:UNUSED_PAD src0_sel:WORD_1 src1_sel:DWORD
	v_add_nc_u32_e32 v65, 0x1000, v45
	ds_read_b128 v[5:8], v55 offset:128
	s_waitcnt lgkmcnt(1)
	v_pk_fma_f16 v82, v9, v23, v14
	v_pk_fma_f16 v24, v9, v17, v24
	;; [unrolled: 1-line block ×5, first 2 shown]
	ds_read2_b64 v[13:16], v65 offset1:32
	v_pk_fma_f16 v17, v10, v17, v22
	v_pk_fma_f16 v21, v10, v68, v21
	v_mul_u32_u24_sdwa v22, v19, v61 dst_sel:DWORD dst_unused:UNUSED_PAD src0_sel:WORD_0 src1_sel:DWORD
	v_mul_u32_u24_sdwa v19, v19, v61 dst_sel:DWORD dst_unused:UNUSED_PAD src0_sel:WORD_1 src1_sel:DWORD
	v_mul_u32_u24_sdwa v68, v20, v61 dst_sel:DWORD dst_unused:UNUSED_PAD src0_sel:WORD_0 src1_sel:DWORD
	v_mul_u32_u24_sdwa v83, v20, v61 dst_sel:DWORD dst_unused:UNUSED_PAD src0_sel:WORD_1 src1_sel:DWORD
	v_pk_fma_f16 v10, v10, v18, v67
	v_pk_fma_f16 v67, v11, v22, v82
	;; [unrolled: 1-line block ×8, first 2 shown]
	ds_read_b128 v[17:20], v55 offset:144
	s_waitcnt lgkmcnt(2)
	v_mul_u32_u24_sdwa v23, v5, v61 dst_sel:DWORD dst_unused:UNUSED_PAD src0_sel:WORD_0 src1_sel:DWORD
	v_mul_u32_u24_sdwa v5, v5, v61 dst_sel:DWORD dst_unused:UNUSED_PAD src0_sel:WORD_1 src1_sel:DWORD
	v_mul_u32_u24_sdwa v68, v6, v61 dst_sel:DWORD dst_unused:UNUSED_PAD src0_sel:WORD_0 src1_sel:DWORD
	v_mul_u32_u24_sdwa v6, v6, v61 dst_sel:DWORD dst_unused:UNUSED_PAD src0_sel:WORD_1 src1_sel:DWORD
	v_pk_fma_f16 v82, v12, v83, v10
	s_waitcnt lgkmcnt(1)
	v_pk_fma_f16 v67, v13, v23, v67
	v_pk_fma_f16 v24, v13, v5, v24
	;; [unrolled: 1-line block ×5, first 2 shown]
	ds_read2_b64 v[9:12], v65 offset0:64 offset1:96
	v_pk_fma_f16 v5, v14, v5, v22
	v_pk_fma_f16 v21, v14, v68, v21
	v_mul_u32_u24_sdwa v22, v7, v61 dst_sel:DWORD dst_unused:UNUSED_PAD src0_sel:WORD_0 src1_sel:DWORD
	v_mul_u32_u24_sdwa v7, v7, v61 dst_sel:DWORD dst_unused:UNUSED_PAD src0_sel:WORD_1 src1_sel:DWORD
	v_mul_u32_u24_sdwa v68, v8, v61 dst_sel:DWORD dst_unused:UNUSED_PAD src0_sel:WORD_0 src1_sel:DWORD
	v_mul_u32_u24_sdwa v8, v8, v61 dst_sel:DWORD dst_unused:UNUSED_PAD src0_sel:WORD_1 src1_sel:DWORD
	v_pk_fma_f16 v6, v14, v6, v82
	v_pk_fma_f16 v14, v15, v22, v67
	;; [unrolled: 1-line block ×8, first 2 shown]
	s_waitcnt lgkmcnt(1)
	v_mul_u32_u24_sdwa v23, v17, v61 dst_sel:DWORD dst_unused:UNUSED_PAD src0_sel:WORD_0 src1_sel:DWORD
	v_mul_u32_u24_sdwa v17, v17, v61 dst_sel:DWORD dst_unused:UNUSED_PAD src0_sel:WORD_1 src1_sel:DWORD
	v_pk_fma_f16 v67, v16, v8, v6
	v_mul_u32_u24_sdwa v68, v18, v61 dst_sel:DWORD dst_unused:UNUSED_PAD src0_sel:WORD_0 src1_sel:DWORD
	v_mul_u32_u24_sdwa v18, v18, v61 dst_sel:DWORD dst_unused:UNUSED_PAD src0_sel:WORD_1 src1_sel:DWORD
	ds_read_b128 v[5:8], v55 offset:160
	s_waitcnt lgkmcnt(1)
	v_pk_fma_f16 v82, v9, v23, v14
	v_pk_fma_f16 v24, v9, v17, v24
	;; [unrolled: 1-line block ×5, first 2 shown]
	ds_read2_b64 v[13:16], v65 offset0:128 offset1:160
	v_pk_fma_f16 v17, v10, v17, v22
	v_pk_fma_f16 v21, v10, v68, v21
	v_mul_u32_u24_sdwa v22, v19, v61 dst_sel:DWORD dst_unused:UNUSED_PAD src0_sel:WORD_0 src1_sel:DWORD
	v_mul_u32_u24_sdwa v19, v19, v61 dst_sel:DWORD dst_unused:UNUSED_PAD src0_sel:WORD_1 src1_sel:DWORD
	v_mul_u32_u24_sdwa v68, v20, v61 dst_sel:DWORD dst_unused:UNUSED_PAD src0_sel:WORD_0 src1_sel:DWORD
	v_mul_u32_u24_sdwa v83, v20, v61 dst_sel:DWORD dst_unused:UNUSED_PAD src0_sel:WORD_1 src1_sel:DWORD
	v_pk_fma_f16 v10, v10, v18, v67
	v_pk_fma_f16 v67, v11, v22, v82
	v_pk_fma_f16 v24, v11, v19, v24
	v_pk_fma_f16 v66, v11, v68, v66
	v_pk_fma_f16 v9, v11, v83, v9
	v_pk_fma_f16 v11, v12, v22, v23
	v_pk_fma_f16 v22, v12, v19, v17
	v_pk_fma_f16 v21, v12, v68, v21
	ds_read_b128 v[17:20], v55 offset:176
	s_waitcnt lgkmcnt(2)
	v_mul_u32_u24_sdwa v23, v5, v61 dst_sel:DWORD dst_unused:UNUSED_PAD src0_sel:WORD_0 src1_sel:DWORD
	v_mul_u32_u24_sdwa v5, v5, v61 dst_sel:DWORD dst_unused:UNUSED_PAD src0_sel:WORD_1 src1_sel:DWORD
	v_mul_u32_u24_sdwa v68, v6, v61 dst_sel:DWORD dst_unused:UNUSED_PAD src0_sel:WORD_0 src1_sel:DWORD
	v_mul_u32_u24_sdwa v6, v6, v61 dst_sel:DWORD dst_unused:UNUSED_PAD src0_sel:WORD_1 src1_sel:DWORD
	v_pk_fma_f16 v82, v12, v83, v10
	s_waitcnt lgkmcnt(1)
	v_pk_fma_f16 v67, v13, v23, v67
	v_pk_fma_f16 v24, v13, v5, v24
	;; [unrolled: 1-line block ×5, first 2 shown]
	ds_read2_b64 v[9:12], v65 offset0:192 offset1:224
	v_pk_fma_f16 v5, v14, v5, v22
	v_pk_fma_f16 v21, v14, v68, v21
	v_mul_u32_u24_sdwa v22, v7, v61 dst_sel:DWORD dst_unused:UNUSED_PAD src0_sel:WORD_0 src1_sel:DWORD
	v_mul_u32_u24_sdwa v7, v7, v61 dst_sel:DWORD dst_unused:UNUSED_PAD src0_sel:WORD_1 src1_sel:DWORD
	v_mul_u32_u24_sdwa v68, v8, v61 dst_sel:DWORD dst_unused:UNUSED_PAD src0_sel:WORD_0 src1_sel:DWORD
	v_mul_u32_u24_sdwa v8, v8, v61 dst_sel:DWORD dst_unused:UNUSED_PAD src0_sel:WORD_1 src1_sel:DWORD
	v_pk_fma_f16 v6, v14, v6, v82
	v_pk_fma_f16 v14, v15, v22, v67
	;; [unrolled: 1-line block ×8, first 2 shown]
	s_waitcnt lgkmcnt(1)
	v_mul_u32_u24_sdwa v23, v17, v61 dst_sel:DWORD dst_unused:UNUSED_PAD src0_sel:WORD_0 src1_sel:DWORD
	v_mul_u32_u24_sdwa v17, v17, v61 dst_sel:DWORD dst_unused:UNUSED_PAD src0_sel:WORD_1 src1_sel:DWORD
	v_pk_fma_f16 v68, v16, v8, v6
	v_mul_u32_u24_sdwa v82, v18, v61 dst_sel:DWORD dst_unused:UNUSED_PAD src0_sel:WORD_0 src1_sel:DWORD
	v_mul_u32_u24_sdwa v18, v18, v61 dst_sel:DWORD dst_unused:UNUSED_PAD src0_sel:WORD_1 src1_sel:DWORD
	v_add_nc_u32_e32 v66, 0x1800, v45
	ds_read_b128 v[5:8], v55 offset:192
	s_waitcnt lgkmcnt(1)
	v_pk_fma_f16 v83, v9, v23, v14
	v_pk_fma_f16 v24, v9, v17, v24
	;; [unrolled: 1-line block ×5, first 2 shown]
	ds_read2_b64 v[13:16], v66 offset1:32
	v_pk_fma_f16 v17, v10, v17, v22
	v_pk_fma_f16 v21, v10, v82, v21
	v_mul_u32_u24_sdwa v22, v19, v61 dst_sel:DWORD dst_unused:UNUSED_PAD src0_sel:WORD_0 src1_sel:DWORD
	v_mul_u32_u24_sdwa v19, v19, v61 dst_sel:DWORD dst_unused:UNUSED_PAD src0_sel:WORD_1 src1_sel:DWORD
	v_mul_u32_u24_sdwa v82, v20, v61 dst_sel:DWORD dst_unused:UNUSED_PAD src0_sel:WORD_0 src1_sel:DWORD
	v_mul_u32_u24_sdwa v84, v20, v61 dst_sel:DWORD dst_unused:UNUSED_PAD src0_sel:WORD_1 src1_sel:DWORD
	v_pk_fma_f16 v10, v10, v18, v68
	v_pk_fma_f16 v68, v11, v22, v83
	v_pk_fma_f16 v24, v11, v19, v24
	v_pk_fma_f16 v67, v11, v82, v67
	v_pk_fma_f16 v9, v11, v84, v9
	v_pk_fma_f16 v11, v12, v22, v23
	v_pk_fma_f16 v22, v12, v19, v17
	v_pk_fma_f16 v21, v12, v82, v21
	ds_read_b128 v[17:20], v55 offset:208
	s_waitcnt lgkmcnt(2)
	v_mul_u32_u24_sdwa v23, v5, v61 dst_sel:DWORD dst_unused:UNUSED_PAD src0_sel:WORD_0 src1_sel:DWORD
	v_mul_u32_u24_sdwa v5, v5, v61 dst_sel:DWORD dst_unused:UNUSED_PAD src0_sel:WORD_1 src1_sel:DWORD
	v_mul_u32_u24_sdwa v82, v6, v61 dst_sel:DWORD dst_unused:UNUSED_PAD src0_sel:WORD_0 src1_sel:DWORD
	v_mul_u32_u24_sdwa v6, v6, v61 dst_sel:DWORD dst_unused:UNUSED_PAD src0_sel:WORD_1 src1_sel:DWORD
	v_pk_fma_f16 v83, v12, v84, v10
	s_waitcnt lgkmcnt(1)
	v_pk_fma_f16 v68, v13, v23, v68
	v_pk_fma_f16 v24, v13, v5, v24
	;; [unrolled: 1-line block ×5, first 2 shown]
	ds_read2_b64 v[9:12], v66 offset0:64 offset1:96
	v_pk_fma_f16 v5, v14, v5, v22
	v_pk_fma_f16 v21, v14, v82, v21
	v_mul_u32_u24_sdwa v22, v7, v61 dst_sel:DWORD dst_unused:UNUSED_PAD src0_sel:WORD_0 src1_sel:DWORD
	v_mul_u32_u24_sdwa v7, v7, v61 dst_sel:DWORD dst_unused:UNUSED_PAD src0_sel:WORD_1 src1_sel:DWORD
	v_mul_u32_u24_sdwa v82, v8, v61 dst_sel:DWORD dst_unused:UNUSED_PAD src0_sel:WORD_0 src1_sel:DWORD
	v_mul_u32_u24_sdwa v8, v8, v61 dst_sel:DWORD dst_unused:UNUSED_PAD src0_sel:WORD_1 src1_sel:DWORD
	v_pk_fma_f16 v6, v14, v6, v83
	v_pk_fma_f16 v14, v15, v22, v68
	;; [unrolled: 1-line block ×8, first 2 shown]
	s_waitcnt lgkmcnt(1)
	v_mul_u32_u24_sdwa v23, v17, v61 dst_sel:DWORD dst_unused:UNUSED_PAD src0_sel:WORD_0 src1_sel:DWORD
	v_mul_u32_u24_sdwa v17, v17, v61 dst_sel:DWORD dst_unused:UNUSED_PAD src0_sel:WORD_1 src1_sel:DWORD
	v_pk_fma_f16 v68, v16, v8, v6
	v_mul_u32_u24_sdwa v82, v18, v61 dst_sel:DWORD dst_unused:UNUSED_PAD src0_sel:WORD_0 src1_sel:DWORD
	v_mul_u32_u24_sdwa v18, v18, v61 dst_sel:DWORD dst_unused:UNUSED_PAD src0_sel:WORD_1 src1_sel:DWORD
	ds_read_b128 v[5:8], v55 offset:224
	s_waitcnt lgkmcnt(1)
	v_pk_fma_f16 v83, v9, v23, v14
	v_pk_fma_f16 v24, v9, v17, v24
	;; [unrolled: 1-line block ×5, first 2 shown]
	ds_read2_b64 v[13:16], v66 offset0:128 offset1:160
	v_pk_fma_f16 v17, v10, v17, v22
	v_pk_fma_f16 v21, v10, v82, v21
	v_mul_u32_u24_sdwa v22, v19, v61 dst_sel:DWORD dst_unused:UNUSED_PAD src0_sel:WORD_0 src1_sel:DWORD
	v_mul_u32_u24_sdwa v19, v19, v61 dst_sel:DWORD dst_unused:UNUSED_PAD src0_sel:WORD_1 src1_sel:DWORD
	v_mul_u32_u24_sdwa v82, v20, v61 dst_sel:DWORD dst_unused:UNUSED_PAD src0_sel:WORD_0 src1_sel:DWORD
	v_mul_u32_u24_sdwa v84, v20, v61 dst_sel:DWORD dst_unused:UNUSED_PAD src0_sel:WORD_1 src1_sel:DWORD
	v_pk_fma_f16 v10, v10, v18, v68
	v_pk_fma_f16 v68, v11, v22, v83
	;; [unrolled: 1-line block ×8, first 2 shown]
	ds_read_b128 v[17:20], v55 offset:240
	s_waitcnt lgkmcnt(2)
	v_mul_u32_u24_sdwa v23, v5, v61 dst_sel:DWORD dst_unused:UNUSED_PAD src0_sel:WORD_0 src1_sel:DWORD
	v_mul_u32_u24_sdwa v5, v5, v61 dst_sel:DWORD dst_unused:UNUSED_PAD src0_sel:WORD_1 src1_sel:DWORD
	v_mul_u32_u24_sdwa v82, v6, v61 dst_sel:DWORD dst_unused:UNUSED_PAD src0_sel:WORD_0 src1_sel:DWORD
	v_mul_u32_u24_sdwa v6, v6, v61 dst_sel:DWORD dst_unused:UNUSED_PAD src0_sel:WORD_1 src1_sel:DWORD
	v_pk_fma_f16 v83, v12, v84, v10
	s_waitcnt lgkmcnt(1)
	v_pk_fma_f16 v68, v13, v23, v68
	v_pk_fma_f16 v24, v13, v5, v24
	;; [unrolled: 1-line block ×5, first 2 shown]
	ds_read2_b64 v[9:12], v66 offset0:192 offset1:224
	v_pk_fma_f16 v5, v14, v5, v22
	v_pk_fma_f16 v21, v14, v82, v21
	v_mul_u32_u24_sdwa v22, v7, v61 dst_sel:DWORD dst_unused:UNUSED_PAD src0_sel:WORD_0 src1_sel:DWORD
	v_mul_u32_u24_sdwa v7, v7, v61 dst_sel:DWORD dst_unused:UNUSED_PAD src0_sel:WORD_1 src1_sel:DWORD
	v_mul_u32_u24_sdwa v82, v8, v61 dst_sel:DWORD dst_unused:UNUSED_PAD src0_sel:WORD_0 src1_sel:DWORD
	v_mul_u32_u24_sdwa v8, v8, v61 dst_sel:DWORD dst_unused:UNUSED_PAD src0_sel:WORD_1 src1_sel:DWORD
	v_pk_fma_f16 v6, v14, v6, v83
	v_pk_fma_f16 v14, v15, v22, v68
	;; [unrolled: 1-line block ×8, first 2 shown]
	s_waitcnt lgkmcnt(1)
	v_mul_u32_u24_sdwa v23, v17, v61 dst_sel:DWORD dst_unused:UNUSED_PAD src0_sel:WORD_0 src1_sel:DWORD
	v_mul_u32_u24_sdwa v17, v17, v61 dst_sel:DWORD dst_unused:UNUSED_PAD src0_sel:WORD_1 src1_sel:DWORD
	v_pk_fma_f16 v82, v16, v8, v6
	v_mul_u32_u24_sdwa v83, v18, v61 dst_sel:DWORD dst_unused:UNUSED_PAD src0_sel:WORD_0 src1_sel:DWORD
	v_mul_u32_u24_sdwa v18, v18, v61 dst_sel:DWORD dst_unused:UNUSED_PAD src0_sel:WORD_1 src1_sel:DWORD
	v_add_nc_u32_e32 v67, 0x2000, v45
	ds_read_b128 v[5:8], v55 offset:256
	s_waitcnt lgkmcnt(1)
	v_pk_fma_f16 v84, v9, v23, v14
	v_pk_fma_f16 v24, v9, v17, v24
	;; [unrolled: 1-line block ×5, first 2 shown]
	ds_read2_b64 v[13:16], v67 offset1:32
	v_pk_fma_f16 v17, v10, v17, v22
	v_pk_fma_f16 v21, v10, v83, v21
	v_mul_u32_u24_sdwa v22, v19, v61 dst_sel:DWORD dst_unused:UNUSED_PAD src0_sel:WORD_0 src1_sel:DWORD
	v_mul_u32_u24_sdwa v19, v19, v61 dst_sel:DWORD dst_unused:UNUSED_PAD src0_sel:WORD_1 src1_sel:DWORD
	v_mul_u32_u24_sdwa v83, v20, v61 dst_sel:DWORD dst_unused:UNUSED_PAD src0_sel:WORD_0 src1_sel:DWORD
	v_mul_u32_u24_sdwa v85, v20, v61 dst_sel:DWORD dst_unused:UNUSED_PAD src0_sel:WORD_1 src1_sel:DWORD
	v_pk_fma_f16 v10, v10, v18, v82
	v_pk_fma_f16 v82, v11, v22, v84
	;; [unrolled: 1-line block ×8, first 2 shown]
	ds_read_b128 v[17:20], v55 offset:272
	s_waitcnt lgkmcnt(2)
	v_mul_u32_u24_sdwa v21, v5, v61 dst_sel:DWORD dst_unused:UNUSED_PAD src0_sel:WORD_0 src1_sel:DWORD
	v_mul_u32_u24_sdwa v5, v5, v61 dst_sel:DWORD dst_unused:UNUSED_PAD src0_sel:WORD_1 src1_sel:DWORD
	v_pk_fma_f16 v10, v12, v85, v10
	v_mul_u32_u24_sdwa v86, v6, v61 dst_sel:DWORD dst_unused:UNUSED_PAD src0_sel:WORD_0 src1_sel:DWORD
	v_mul_u32_u24_sdwa v6, v6, v61 dst_sel:DWORD dst_unused:UNUSED_PAD src0_sel:WORD_1 src1_sel:DWORD
	s_waitcnt lgkmcnt(1)
	v_pk_fma_f16 v12, v13, v21, v82
	v_pk_fma_f16 v82, v13, v5, v24
	v_pk_fma_f16 v11, v14, v21, v11
	ds_read2_b64 v[21:24], v67 offset0:64 offset1:96
	v_pk_fma_f16 v68, v13, v86, v68
	v_pk_fma_f16 v9, v13, v6, v9
	;; [unrolled: 1-line block ×4, first 2 shown]
	v_mul_u32_u24_sdwa v83, v7, v61 dst_sel:DWORD dst_unused:UNUSED_PAD src0_sel:WORD_0 src1_sel:DWORD
	v_mul_u32_u24_sdwa v7, v7, v61 dst_sel:DWORD dst_unused:UNUSED_PAD src0_sel:WORD_1 src1_sel:DWORD
	v_mul_u32_u24_sdwa v84, v8, v61 dst_sel:DWORD dst_unused:UNUSED_PAD src0_sel:WORD_0 src1_sel:DWORD
	v_mul_u32_u24_sdwa v8, v8, v61 dst_sel:DWORD dst_unused:UNUSED_PAD src0_sel:WORD_1 src1_sel:DWORD
	v_pk_fma_f16 v6, v14, v6, v10
	v_pk_fma_f16 v10, v15, v83, v12
	v_pk_fma_f16 v12, v15, v7, v82
	v_pk_fma_f16 v5, v16, v7, v5
	s_waitcnt lgkmcnt(1)
	v_mul_u32_u24_sdwa v7, v17, v61 dst_sel:DWORD dst_unused:UNUSED_PAD src0_sel:WORD_0 src1_sel:DWORD
	v_mul_u32_u24_sdwa v17, v17, v61 dst_sel:DWORD dst_unused:UNUSED_PAD src0_sel:WORD_1 src1_sel:DWORD
	v_pk_fma_f16 v14, v15, v84, v68
	v_pk_fma_f16 v15, v15, v8, v9
	;; [unrolled: 1-line block ×4, first 2 shown]
	v_mul_u32_u24_sdwa v82, v18, v61 dst_sel:DWORD dst_unused:UNUSED_PAD src0_sel:WORD_0 src1_sel:DWORD
	v_mul_u32_u24_sdwa v18, v18, v61 dst_sel:DWORD dst_unused:UNUSED_PAD src0_sel:WORD_1 src1_sel:DWORD
	s_waitcnt lgkmcnt(0)
	v_pk_fma_f16 v83, v21, v7, v10
	v_pk_fma_f16 v84, v21, v17, v12
	ds_read_b128 v[9:12], v55 offset:288
	v_pk_fma_f16 v16, v16, v8, v6
	v_pk_fma_f16 v14, v21, v82, v14
	;; [unrolled: 1-line block ×5, first 2 shown]
	ds_read2_b64 v[5:8], v67 offset0:128 offset1:160
	v_add_co_ci_u32_e64 v180, null, 0, v172, vcc_lo
	v_add_co_u32 v183, vcc_lo, v173, v60
	v_add_co_ci_u32_e64 v184, null, 0, v174, vcc_lo
	v_add_co_u32 v171, vcc_lo, s18, v39
	v_pk_fma_f16 v13, v22, v82, v13
	v_mul_u32_u24_sdwa v68, v19, v61 dst_sel:DWORD dst_unused:UNUSED_PAD src0_sel:WORD_0 src1_sel:DWORD
	v_mul_u32_u24_sdwa v19, v19, v61 dst_sel:DWORD dst_unused:UNUSED_PAD src0_sel:WORD_1 src1_sel:DWORD
	v_mul_u32_u24_sdwa v85, v20, v61 dst_sel:DWORD dst_unused:UNUSED_PAD src0_sel:WORD_0 src1_sel:DWORD
	v_mul_u32_u24_sdwa v20, v20, v61 dst_sel:DWORD dst_unused:UNUSED_PAD src0_sel:WORD_1 src1_sel:DWORD
	v_add_co_ci_u32_e64 v172, null, s19, v40, vcc_lo
	v_add_co_u32 v173, vcc_lo, s18, v41
	v_add_co_ci_u32_e64 v174, null, s19, v42, vcc_lo
	v_add_co_u32 v187, vcc_lo, v171, v60
	v_pk_fma_f16 v18, v22, v18, v16
	v_pk_fma_f16 v22, v23, v68, v83
	;; [unrolled: 1-line block ×7, first 2 shown]
	ds_read_b128 v[13:16], v55 offset:304
	s_waitcnt lgkmcnt(2)
	v_mul_u32_u24_sdwa v195, v9, v61 dst_sel:DWORD dst_unused:UNUSED_PAD src0_sel:WORD_0 src1_sel:DWORD
	v_mul_u32_u24_sdwa v196, v9, v61 dst_sel:DWORD dst_unused:UNUSED_PAD src0_sel:WORD_1 src1_sel:DWORD
	v_mul_u32_u24_sdwa v197, v10, v61 dst_sel:DWORD dst_unused:UNUSED_PAD src0_sel:WORD_0 src1_sel:DWORD
	v_mul_u32_u24_sdwa v86, v10, v61 dst_sel:DWORD dst_unused:UNUSED_PAD src0_sel:WORD_1 src1_sel:DWORD
	v_add_nc_u32_e32 v68, 0x2800, v45
	v_add_nc_u32_e32 v10, 0x3000, v45
	;; [unrolled: 1-line block ×3, first 2 shown]
	v_add_co_ci_u32_e64 v188, null, 0, v172, vcc_lo
	v_add_co_u32 v191, vcc_lo, v173, v60
	v_add_co_ci_u32_e64 v192, null, 0, v174, vcc_lo
	v_pk_fma_f16 v84, v24, v19, v17
	v_pk_fma_f16 v198, v24, v20, v18
	s_waitcnt lgkmcnt(1)
	v_pk_fma_f16 v199, v5, v195, v22
	v_pk_fma_f16 v200, v5, v196, v87
	;; [unrolled: 1-line block ×3, first 2 shown]
	ds_read2_b64 v[87:90], v67 offset0:192 offset1:224
	ds_read2_b64 v[21:24], v68 offset1:32
	ds_read2_b64 v[17:20], v68 offset0:64 offset1:96
	ds_read_b128 v[91:94], v55 offset:320
	ds_read_b128 v[95:98], v55 offset:336
	ds_read2_b64 v[99:102], v68 offset0:128 offset1:160
	ds_read2_b64 v[103:106], v68 offset0:192 offset1:224
	ds_read_b128 v[107:110], v55 offset:352
	ds_read_b128 v[111:114], v55 offset:368
	ds_read2_b64 v[115:118], v10 offset1:32
	ds_read2_b64 v[119:122], v10 offset0:64 offset1:96
	ds_read_b128 v[123:126], v55 offset:384
	ds_read_b128 v[127:130], v55 offset:400
	ds_read2_b64 v[131:134], v10 offset0:128 offset1:160
	ds_read2_b64 v[135:138], v10 offset0:192 offset1:224
	ds_read_b128 v[139:142], v55 offset:416
	ds_read_b128 v[143:146], v55 offset:432
	;; [unrolled: 8-line block ×3, first 2 shown]
	s_waitcnt lgkmcnt(0)
	s_barrier
	buffer_gl0_inv
	s_clause 0x3
	global_load_dwordx4 v[179:182], v[179:180], off
	global_load_dwordx4 v[183:186], v[183:184], off
	;; [unrolled: 1-line block ×4, first 2 shown]
	v_pk_fma_f16 v5, v5, v86, v82
	v_pk_fma_f16 v82, v6, v195, v83
	;; [unrolled: 1-line block ×4, first 2 shown]
	v_mul_u32_u24_sdwa v85, v11, v61 dst_sel:DWORD dst_unused:UNUSED_PAD src0_sel:WORD_0 src1_sel:DWORD
	v_mul_u32_u24_sdwa v11, v11, v61 dst_sel:DWORD dst_unused:UNUSED_PAD src0_sel:WORD_1 src1_sel:DWORD
	v_mul_u32_u24_sdwa v195, v12, v61 dst_sel:DWORD dst_unused:UNUSED_PAD src0_sel:WORD_0 src1_sel:DWORD
	v_mul_u32_u24_sdwa v12, v12, v61 dst_sel:DWORD dst_unused:UNUSED_PAD src0_sel:WORD_1 src1_sel:DWORD
	v_pk_fma_f16 v6, v6, v86, v198
	v_pk_fma_f16 v86, v7, v85, v199
	;; [unrolled: 1-line block ×8, first 2 shown]
	v_mul_u32_u24_sdwa v83, v13, v61 dst_sel:DWORD dst_unused:UNUSED_PAD src0_sel:WORD_0 src1_sel:DWORD
	v_mul_u32_u24_sdwa v13, v13, v61 dst_sel:DWORD dst_unused:UNUSED_PAD src0_sel:WORD_1 src1_sel:DWORD
	v_mul_u32_u24_sdwa v84, v14, v61 dst_sel:DWORD dst_unused:UNUSED_PAD src0_sel:WORD_0 src1_sel:DWORD
	v_mul_u32_u24_sdwa v14, v14, v61 dst_sel:DWORD dst_unused:UNUSED_PAD src0_sel:WORD_1 src1_sel:DWORD
	v_pk_fma_f16 v6, v8, v12, v6
	v_pk_fma_f16 v8, v87, v83, v86
	;; [unrolled: 1-line block ×8, first 2 shown]
	v_mul_u32_u24_sdwa v82, v15, v61 dst_sel:DWORD dst_unused:UNUSED_PAD src0_sel:WORD_0 src1_sel:DWORD
	v_mul_u32_u24_sdwa v15, v15, v61 dst_sel:DWORD dst_unused:UNUSED_PAD src0_sel:WORD_1 src1_sel:DWORD
	v_mul_u32_u24_sdwa v83, v16, v61 dst_sel:DWORD dst_unused:UNUSED_PAD src0_sel:WORD_0 src1_sel:DWORD
	v_pk_fma_f16 v6, v88, v14, v6
	v_mul_u32_u24_sdwa v14, v16, v61 dst_sel:DWORD dst_unused:UNUSED_PAD src0_sel:WORD_1 src1_sel:DWORD
	v_pk_fma_f16 v8, v89, v82, v8
	v_pk_fma_f16 v12, v89, v15, v12
	;; [unrolled: 1-line block ×7, first 2 shown]
	v_mul_u32_u24_sdwa v15, v91, v61 dst_sel:DWORD dst_unused:UNUSED_PAD src0_sel:WORD_0 src1_sel:DWORD
	v_mul_u32_u24_sdwa v82, v91, v61 dst_sel:DWORD dst_unused:UNUSED_PAD src0_sel:WORD_1 src1_sel:DWORD
	v_mul_u32_u24_sdwa v83, v92, v61 dst_sel:DWORD dst_unused:UNUSED_PAD src0_sel:WORD_0 src1_sel:DWORD
	v_mul_u32_u24_sdwa v84, v92, v61 dst_sel:DWORD dst_unused:UNUSED_PAD src0_sel:WORD_1 src1_sel:DWORD
	v_pk_fma_f16 v6, v90, v14, v6
	v_pk_fma_f16 v8, v21, v15, v8
	;; [unrolled: 1-line block ×8, first 2 shown]
	v_mul_u32_u24_sdwa v15, v93, v61 dst_sel:DWORD dst_unused:UNUSED_PAD src0_sel:WORD_0 src1_sel:DWORD
	v_mul_u32_u24_sdwa v16, v93, v61 dst_sel:DWORD dst_unused:UNUSED_PAD src0_sel:WORD_1 src1_sel:DWORD
	v_mul_u32_u24_sdwa v21, v94, v61 dst_sel:DWORD dst_unused:UNUSED_PAD src0_sel:WORD_0 src1_sel:DWORD
	v_mul_u32_u24_sdwa v82, v94, v61 dst_sel:DWORD dst_unused:UNUSED_PAD src0_sel:WORD_1 src1_sel:DWORD
	v_pk_fma_f16 v22, v22, v84, v6
	v_pk_fma_f16 v8, v23, v15, v8
	;; [unrolled: 1-line block ×9, first 2 shown]
	v_mul_u32_u24_sdwa v21, v95, v61 dst_sel:DWORD dst_unused:UNUSED_PAD src0_sel:WORD_0 src1_sel:DWORD
	v_mul_u32_u24_sdwa v22, v95, v61 dst_sel:DWORD dst_unused:UNUSED_PAD src0_sel:WORD_1 src1_sel:DWORD
	v_mul_u32_u24_sdwa v23, v96, v61 dst_sel:DWORD dst_unused:UNUSED_PAD src0_sel:WORD_0 src1_sel:DWORD
	v_mul_u32_u24_sdwa v24, v96, v61 dst_sel:DWORD dst_unused:UNUSED_PAD src0_sel:WORD_1 src1_sel:DWORD
	v_add_f32_e32 v5, v69, v80
	v_pk_fma_f16 v8, v17, v21, v8
	v_pk_fma_f16 v12, v17, v22, v12
	;; [unrolled: 1-line block ×7, first 2 shown]
	v_mul_u32_u24_sdwa v17, v97, v61 dst_sel:DWORD dst_unused:UNUSED_PAD src0_sel:WORD_0 src1_sel:DWORD
	v_mul_u32_u24_sdwa v21, v97, v61 dst_sel:DWORD dst_unused:UNUSED_PAD src0_sel:WORD_1 src1_sel:DWORD
	v_mul_u32_u24_sdwa v22, v98, v61 dst_sel:DWORD dst_unused:UNUSED_PAD src0_sel:WORD_0 src1_sel:DWORD
	v_mul_u32_u24_sdwa v23, v98, v61 dst_sel:DWORD dst_unused:UNUSED_PAD src0_sel:WORD_1 src1_sel:DWORD
	v_pk_fma_f16 v16, v18, v24, v16
	v_pk_fma_f16 v8, v19, v17, v8
	;; [unrolled: 1-line block ×7, first 2 shown]
	v_mul_u32_u24_sdwa v18, v107, v61 dst_sel:DWORD dst_unused:UNUSED_PAD src0_sel:WORD_1 src1_sel:DWORD
	v_mul_u32_u24_sdwa v19, v108, v61 dst_sel:DWORD dst_unused:UNUSED_PAD src0_sel:WORD_0 src1_sel:DWORD
	v_pk_fma_f16 v7, v20, v17, v7
	v_mul_u32_u24_sdwa v17, v107, v61 dst_sel:DWORD dst_unused:UNUSED_PAD src0_sel:WORD_0 src1_sel:DWORD
	v_mul_u32_u24_sdwa v21, v108, v61 dst_sel:DWORD dst_unused:UNUSED_PAD src0_sel:WORD_1 src1_sel:DWORD
	v_pk_fma_f16 v16, v20, v23, v16
	v_pk_fma_f16 v12, v99, v18, v12
	v_pk_fma_f16 v14, v99, v19, v14
	v_pk_fma_f16 v11, v100, v18, v11
	v_pk_fma_f16 v13, v100, v19, v13
	v_mul_u32_u24_sdwa v18, v109, v61 dst_sel:DWORD dst_unused:UNUSED_PAD src0_sel:WORD_1 src1_sel:DWORD
	v_mul_u32_u24_sdwa v19, v110, v61 dst_sel:DWORD dst_unused:UNUSED_PAD src0_sel:WORD_0 src1_sel:DWORD
	v_pk_fma_f16 v8, v99, v17, v8
	v_pk_fma_f16 v15, v99, v21, v15
	v_pk_fma_f16 v7, v100, v17, v7
	v_mul_u32_u24_sdwa v17, v109, v61 dst_sel:DWORD dst_unused:UNUSED_PAD src0_sel:WORD_0 src1_sel:DWORD
	v_mul_u32_u24_sdwa v20, v110, v61 dst_sel:DWORD dst_unused:UNUSED_PAD src0_sel:WORD_1 src1_sel:DWORD
	v_pk_fma_f16 v16, v100, v21, v16
	v_pk_fma_f16 v12, v101, v18, v12
	v_pk_fma_f16 v14, v101, v19, v14
	v_pk_fma_f16 v11, v102, v18, v11
	v_pk_fma_f16 v13, v102, v19, v13
	v_mul_u32_u24_sdwa v18, v111, v61 dst_sel:DWORD dst_unused:UNUSED_PAD src0_sel:WORD_1 src1_sel:DWORD
	v_mul_u32_u24_sdwa v19, v112, v61 dst_sel:DWORD dst_unused:UNUSED_PAD src0_sel:WORD_0 src1_sel:DWORD
	v_pk_fma_f16 v8, v101, v17, v8
	v_pk_fma_f16 v15, v101, v20, v15
	;; [unrolled: 12-line block ×17, first 2 shown]
	v_pk_fma_f16 v7, v164, v17, v7
	v_mul_u32_u24_sdwa v17, v173, v61 dst_sel:DWORD dst_unused:UNUSED_PAD src0_sel:WORD_0 src1_sel:DWORD
	v_mul_u32_u24_sdwa v20, v174, v61 dst_sel:DWORD dst_unused:UNUSED_PAD src0_sel:WORD_1 src1_sel:DWORD
	v_pk_fma_f16 v16, v164, v21, v16
	v_pk_fma_f16 v12, v165, v18, v12
	v_pk_fma_f16 v14, v165, v19, v14
	v_mul_u32_u24_sdwa v21, v175, v61 dst_sel:DWORD dst_unused:UNUSED_PAD src0_sel:WORD_1 src1_sel:DWORD
	v_mul_u32_u24_sdwa v22, v176, v61 dst_sel:DWORD dst_unused:UNUSED_PAD src0_sel:WORD_0 src1_sel:DWORD
	v_add_f32_e32 v6, v70, v81
	v_fmac_f32_e32 v5, v62, v71
	v_pk_fma_f16 v8, v165, v17, v8
	v_pk_fma_f16 v15, v165, v20, v15
	;; [unrolled: 1-line block ×5, first 2 shown]
	v_mul_u32_u24_sdwa v19, v175, v61 dst_sel:DWORD dst_unused:UNUSED_PAD src0_sel:WORD_0 src1_sel:DWORD
	v_mul_u32_u24_sdwa v23, v176, v61 dst_sel:DWORD dst_unused:UNUSED_PAD src0_sel:WORD_1 src1_sel:DWORD
	v_pk_fma_f16 v24, v167, v21, v12
	v_pk_fma_f16 v62, v167, v22, v14
	s_waitcnt vmcnt(3)
	ds_write_b128 v54, v[179:182]
	s_waitcnt vmcnt(2)
	ds_write_b128 v56, v[183:186]
	;; [unrolled: 2-line block ×4, first 2 shown]
	s_waitcnt lgkmcnt(0)
	s_barrier
	buffer_gl0_inv
	ds_read_b128 v[11:14], v55 offset:512
	v_fmac_f32_e32 v6, v63, v72
	v_pk_fma_f16 v20, v166, v20, v16
	v_pk_fma_f16 v8, v167, v19, v8
	;; [unrolled: 1-line block ×6, first 2 shown]
	ds_read2_b64 v[15:18], v45 offset1:32
	v_mul_u32_u24_sdwa v22, v177, v61 dst_sel:DWORD dst_unused:UNUSED_PAD src0_sel:WORD_0 src1_sel:DWORD
	v_mul_u32_u24_sdwa v69, v177, v61 dst_sel:DWORD dst_unused:UNUSED_PAD src0_sel:WORD_1 src1_sel:DWORD
	v_mul_u32_u24_sdwa v70, v178, v61 dst_sel:DWORD dst_unused:UNUSED_PAD src0_sel:WORD_0 src1_sel:DWORD
	v_mul_u32_u24_sdwa v71, v178, v61 dst_sel:DWORD dst_unused:UNUSED_PAD src0_sel:WORD_1 src1_sel:DWORD
	v_pk_fma_f16 v20, v168, v23, v20
	v_pk_fma_f16 v8, v169, v22, v8
	;; [unrolled: 1-line block ×9, first 2 shown]
	ds_read_b128 v[19:22], v55 offset:528
	s_waitcnt lgkmcnt(2)
	v_mul_u32_u24_sdwa v84, v11, v61 dst_sel:DWORD dst_unused:UNUSED_PAD src0_sel:WORD_0 src1_sel:DWORD
	ds_read_b128 v[69:72], v55 offset:544
	ds_read_b128 v[80:83], v55 offset:560
	v_mul_u32_u24_sdwa v11, v11, v61 dst_sel:DWORD dst_unused:UNUSED_PAD src0_sel:WORD_1 src1_sel:DWORD
	v_mul_u32_u24_sdwa v90, v12, v61 dst_sel:DWORD dst_unused:UNUSED_PAD src0_sel:WORD_0 src1_sel:DWORD
	v_mul_u32_u24_sdwa v12, v12, v61 dst_sel:DWORD dst_unused:UNUSED_PAD src0_sel:WORD_1 src1_sel:DWORD
	s_waitcnt lgkmcnt(3)
	v_pk_fma_f16 v8, v15, v84, v8
	v_pk_fma_f16 v7, v16, v84, v7
	ds_read2_b64 v[84:87], v45 offset0:64 offset1:96
	v_pk_fma_f16 v23, v15, v11, v23
	v_pk_fma_f16 v24, v15, v90, v24
	;; [unrolled: 1-line block ×5, first 2 shown]
	v_mul_u32_u24_sdwa v63, v13, v61 dst_sel:DWORD dst_unused:UNUSED_PAD src0_sel:WORD_0 src1_sel:DWORD
	v_mul_u32_u24_sdwa v13, v13, v61 dst_sel:DWORD dst_unused:UNUSED_PAD src0_sel:WORD_1 src1_sel:DWORD
	v_mul_u32_u24_sdwa v88, v14, v61 dst_sel:DWORD dst_unused:UNUSED_PAD src0_sel:WORD_0 src1_sel:DWORD
	v_mul_u32_u24_sdwa v14, v14, v61 dst_sel:DWORD dst_unused:UNUSED_PAD src0_sel:WORD_1 src1_sel:DWORD
	v_pk_fma_f16 v12, v16, v12, v89
	v_pk_fma_f16 v8, v17, v63, v8
	;; [unrolled: 1-line block ×7, first 2 shown]
	s_waitcnt lgkmcnt(3)
	v_mul_u32_u24_sdwa v11, v19, v61 dst_sel:DWORD dst_unused:UNUSED_PAD src0_sel:WORD_0 src1_sel:DWORD
	v_pk_fma_f16 v24, v18, v88, v62
	v_pk_fma_f16 v18, v18, v14, v12
	v_mul_u32_u24_sdwa v19, v19, v61 dst_sel:DWORD dst_unused:UNUSED_PAD src0_sel:WORD_1 src1_sel:DWORD
	v_mul_u32_u24_sdwa v62, v20, v61 dst_sel:DWORD dst_unused:UNUSED_PAD src0_sel:WORD_0 src1_sel:DWORD
	s_waitcnt lgkmcnt(0)
	v_pk_fma_f16 v8, v84, v11, v8
	v_pk_fma_f16 v7, v85, v11, v7
	ds_read2_b64 v[11:14], v45 offset0:128 offset1:160
	v_mul_u32_u24_sdwa v20, v20, v61 dst_sel:DWORD dst_unused:UNUSED_PAD src0_sel:WORD_1 src1_sel:DWORD
	v_pk_fma_f16 v16, v84, v19, v16
	v_pk_fma_f16 v23, v84, v62, v23
	;; [unrolled: 1-line block ×5, first 2 shown]
	v_mul_u32_u24_sdwa v24, v21, v61 dst_sel:DWORD dst_unused:UNUSED_PAD src0_sel:WORD_0 src1_sel:DWORD
	v_mul_u32_u24_sdwa v21, v21, v61 dst_sel:DWORD dst_unused:UNUSED_PAD src0_sel:WORD_1 src1_sel:DWORD
	v_mul_u32_u24_sdwa v62, v22, v61 dst_sel:DWORD dst_unused:UNUSED_PAD src0_sel:WORD_0 src1_sel:DWORD
	v_mul_u32_u24_sdwa v22, v22, v61 dst_sel:DWORD dst_unused:UNUSED_PAD src0_sel:WORD_1 src1_sel:DWORD
	v_pk_fma_f16 v18, v85, v20, v18
	v_pk_fma_f16 v8, v86, v24, v8
	v_pk_fma_f16 v16, v86, v21, v16
	v_pk_fma_f16 v20, v86, v62, v23
	v_pk_fma_f16 v15, v86, v22, v15
	v_pk_fma_f16 v7, v87, v24, v7
	v_pk_fma_f16 v21, v87, v21, v17
	v_pk_fma_f16 v19, v87, v62, v19
	v_mul_u32_u24_sdwa v17, v69, v61 dst_sel:DWORD dst_unused:UNUSED_PAD src0_sel:WORD_0 src1_sel:DWORD
	v_mul_u32_u24_sdwa v23, v69, v61 dst_sel:DWORD dst_unused:UNUSED_PAD src0_sel:WORD_1 src1_sel:DWORD
	v_mul_u32_u24_sdwa v24, v70, v61 dst_sel:DWORD dst_unused:UNUSED_PAD src0_sel:WORD_0 src1_sel:DWORD
	v_mul_u32_u24_sdwa v62, v70, v61 dst_sel:DWORD dst_unused:UNUSED_PAD src0_sel:WORD_1 src1_sel:DWORD
	v_pk_fma_f16 v22, v87, v22, v18
	s_waitcnt lgkmcnt(0)
	v_pk_fma_f16 v8, v11, v17, v8
	v_pk_fma_f16 v63, v11, v23, v16
	v_pk_fma_f16 v20, v11, v24, v20
	v_pk_fma_f16 v11, v11, v62, v15
	v_pk_fma_f16 v7, v12, v17, v7
	ds_read2_b64 v[15:18], v45 offset0:192 offset1:224
	v_pk_fma_f16 v21, v12, v23, v21
	v_pk_fma_f16 v19, v12, v24, v19
	v_mul_u32_u24_sdwa v23, v71, v61 dst_sel:DWORD dst_unused:UNUSED_PAD src0_sel:WORD_0 src1_sel:DWORD
	v_mul_u32_u24_sdwa v24, v71, v61 dst_sel:DWORD dst_unused:UNUSED_PAD src0_sel:WORD_1 src1_sel:DWORD
	v_mul_u32_u24_sdwa v69, v72, v61 dst_sel:DWORD dst_unused:UNUSED_PAD src0_sel:WORD_0 src1_sel:DWORD
	v_mul_u32_u24_sdwa v70, v72, v61 dst_sel:DWORD dst_unused:UNUSED_PAD src0_sel:WORD_1 src1_sel:DWORD
	v_pk_fma_f16 v12, v12, v62, v22
	v_pk_fma_f16 v8, v13, v23, v8
	;; [unrolled: 1-line block ×8, first 2 shown]
	v_mul_u32_u24_sdwa v19, v80, v61 dst_sel:DWORD dst_unused:UNUSED_PAD src0_sel:WORD_0 src1_sel:DWORD
	v_mul_u32_u24_sdwa v24, v80, v61 dst_sel:DWORD dst_unused:UNUSED_PAD src0_sel:WORD_1 src1_sel:DWORD
	v_pk_fma_f16 v63, v14, v70, v12
	v_mul_u32_u24_sdwa v69, v81, v61 dst_sel:DWORD dst_unused:UNUSED_PAD src0_sel:WORD_0 src1_sel:DWORD
	ds_read_b128 v[11:14], v55 offset:576
	s_waitcnt lgkmcnt(1)
	v_pk_fma_f16 v8, v15, v19, v8
	v_pk_fma_f16 v71, v15, v24, v22
	v_pk_fma_f16 v7, v16, v19, v7
	v_pk_fma_f16 v72, v15, v69, v20
	v_pk_fma_f16 v24, v16, v24, v21
	ds_read2_b64 v[19:22], v64 offset1:32
	v_mul_u32_u24_sdwa v70, v81, v61 dst_sel:DWORD dst_unused:UNUSED_PAD src0_sel:WORD_1 src1_sel:DWORD
	v_pk_fma_f16 v23, v16, v69, v23
	v_mul_u32_u24_sdwa v69, v82, v61 dst_sel:DWORD dst_unused:UNUSED_PAD src0_sel:WORD_1 src1_sel:DWORD
	v_mul_u32_u24_sdwa v80, v83, v61 dst_sel:DWORD dst_unused:UNUSED_PAD src0_sel:WORD_0 src1_sel:DWORD
	v_mul_u32_u24_sdwa v81, v83, v61 dst_sel:DWORD dst_unused:UNUSED_PAD src0_sel:WORD_1 src1_sel:DWORD
	v_pk_fma_f16 v15, v15, v70, v62
	v_mul_u32_u24_sdwa v62, v82, v61 dst_sel:DWORD dst_unused:UNUSED_PAD src0_sel:WORD_0 src1_sel:DWORD
	v_pk_fma_f16 v16, v16, v70, v63
	v_pk_fma_f16 v63, v17, v69, v71
	v_pk_fma_f16 v82, v17, v80, v72
	v_pk_fma_f16 v15, v17, v81, v15
	v_pk_fma_f16 v8, v17, v62, v8
	v_pk_fma_f16 v7, v18, v62, v7
	v_pk_fma_f16 v24, v18, v69, v24
	ds_read_b128 v[69:72], v55 offset:592
	s_waitcnt lgkmcnt(2)
	v_mul_u32_u24_sdwa v17, v11, v61 dst_sel:DWORD dst_unused:UNUSED_PAD src0_sel:WORD_0 src1_sel:DWORD
	v_mul_u32_u24_sdwa v11, v11, v61 dst_sel:DWORD dst_unused:UNUSED_PAD src0_sel:WORD_1 src1_sel:DWORD
	v_mul_u32_u24_sdwa v62, v12, v61 dst_sel:DWORD dst_unused:UNUSED_PAD src0_sel:WORD_0 src1_sel:DWORD
	v_mul_u32_u24_sdwa v12, v12, v61 dst_sel:DWORD dst_unused:UNUSED_PAD src0_sel:WORD_1 src1_sel:DWORD
	v_pk_fma_f16 v23, v18, v80, v23
	v_pk_fma_f16 v80, v18, v81, v16
	s_waitcnt lgkmcnt(1)
	v_pk_fma_f16 v8, v19, v17, v8
	v_pk_fma_f16 v63, v19, v11, v63
	;; [unrolled: 1-line block ×5, first 2 shown]
	ds_read2_b64 v[15:18], v64 offset0:64 offset1:96
	v_pk_fma_f16 v11, v20, v11, v24
	v_pk_fma_f16 v23, v20, v62, v23
	v_mul_u32_u24_sdwa v24, v13, v61 dst_sel:DWORD dst_unused:UNUSED_PAD src0_sel:WORD_0 src1_sel:DWORD
	v_mul_u32_u24_sdwa v13, v13, v61 dst_sel:DWORD dst_unused:UNUSED_PAD src0_sel:WORD_1 src1_sel:DWORD
	v_mul_u32_u24_sdwa v62, v14, v61 dst_sel:DWORD dst_unused:UNUSED_PAD src0_sel:WORD_0 src1_sel:DWORD
	v_mul_u32_u24_sdwa v14, v14, v61 dst_sel:DWORD dst_unused:UNUSED_PAD src0_sel:WORD_1 src1_sel:DWORD
	v_pk_fma_f16 v12, v20, v12, v80
	v_pk_fma_f16 v8, v21, v24, v8
	;; [unrolled: 1-line block ×8, first 2 shown]
	s_waitcnt lgkmcnt(1)
	v_mul_u32_u24_sdwa v24, v69, v61 dst_sel:DWORD dst_unused:UNUSED_PAD src0_sel:WORD_0 src1_sel:DWORD
	v_mul_u32_u24_sdwa v62, v69, v61 dst_sel:DWORD dst_unused:UNUSED_PAD src0_sel:WORD_1 src1_sel:DWORD
	v_pk_fma_f16 v69, v22, v14, v12
	v_mul_u32_u24_sdwa v80, v70, v61 dst_sel:DWORD dst_unused:UNUSED_PAD src0_sel:WORD_0 src1_sel:DWORD
	v_mul_u32_u24_sdwa v70, v70, v61 dst_sel:DWORD dst_unused:UNUSED_PAD src0_sel:WORD_1 src1_sel:DWORD
	ds_read_b128 v[11:14], v55 offset:608
	s_waitcnt lgkmcnt(1)
	v_pk_fma_f16 v8, v15, v24, v8
	v_pk_fma_f16 v81, v15, v62, v20
	;; [unrolled: 1-line block ×6, first 2 shown]
	ds_read2_b64 v[19:22], v64 offset0:128 offset1:160
	v_pk_fma_f16 v23, v16, v80, v23
	v_mul_u32_u24_sdwa v62, v71, v61 dst_sel:DWORD dst_unused:UNUSED_PAD src0_sel:WORD_0 src1_sel:DWORD
	v_mul_u32_u24_sdwa v71, v71, v61 dst_sel:DWORD dst_unused:UNUSED_PAD src0_sel:WORD_1 src1_sel:DWORD
	v_mul_u32_u24_sdwa v80, v72, v61 dst_sel:DWORD dst_unused:UNUSED_PAD src0_sel:WORD_0 src1_sel:DWORD
	v_mul_u32_u24_sdwa v82, v72, v61 dst_sel:DWORD dst_unused:UNUSED_PAD src0_sel:WORD_1 src1_sel:DWORD
	v_pk_fma_f16 v16, v16, v70, v69
	v_pk_fma_f16 v8, v17, v62, v8
	;; [unrolled: 1-line block ×7, first 2 shown]
	ds_read_b128 v[69:72], v55 offset:624
	s_waitcnt lgkmcnt(2)
	v_mul_u32_u24_sdwa v17, v11, v61 dst_sel:DWORD dst_unused:UNUSED_PAD src0_sel:WORD_0 src1_sel:DWORD
	v_mul_u32_u24_sdwa v11, v11, v61 dst_sel:DWORD dst_unused:UNUSED_PAD src0_sel:WORD_1 src1_sel:DWORD
	v_mul_u32_u24_sdwa v62, v12, v61 dst_sel:DWORD dst_unused:UNUSED_PAD src0_sel:WORD_0 src1_sel:DWORD
	v_mul_u32_u24_sdwa v12, v12, v61 dst_sel:DWORD dst_unused:UNUSED_PAD src0_sel:WORD_1 src1_sel:DWORD
	v_pk_fma_f16 v23, v18, v80, v23
	v_pk_fma_f16 v80, v18, v82, v16
	s_waitcnt lgkmcnt(1)
	v_pk_fma_f16 v8, v19, v17, v8
	v_pk_fma_f16 v81, v19, v11, v81
	;; [unrolled: 1-line block ×5, first 2 shown]
	ds_read2_b64 v[15:18], v64 offset0:192 offset1:224
	v_pk_fma_f16 v11, v20, v11, v24
	v_pk_fma_f16 v23, v20, v62, v23
	v_mul_u32_u24_sdwa v24, v13, v61 dst_sel:DWORD dst_unused:UNUSED_PAD src0_sel:WORD_0 src1_sel:DWORD
	v_mul_u32_u24_sdwa v13, v13, v61 dst_sel:DWORD dst_unused:UNUSED_PAD src0_sel:WORD_1 src1_sel:DWORD
	v_mul_u32_u24_sdwa v62, v14, v61 dst_sel:DWORD dst_unused:UNUSED_PAD src0_sel:WORD_0 src1_sel:DWORD
	v_mul_u32_u24_sdwa v14, v14, v61 dst_sel:DWORD dst_unused:UNUSED_PAD src0_sel:WORD_1 src1_sel:DWORD
	v_pk_fma_f16 v12, v20, v12, v80
	v_pk_fma_f16 v8, v21, v24, v8
	;; [unrolled: 1-line block ×8, first 2 shown]
	s_waitcnt lgkmcnt(1)
	v_mul_u32_u24_sdwa v24, v69, v61 dst_sel:DWORD dst_unused:UNUSED_PAD src0_sel:WORD_0 src1_sel:DWORD
	v_mul_u32_u24_sdwa v62, v69, v61 dst_sel:DWORD dst_unused:UNUSED_PAD src0_sel:WORD_1 src1_sel:DWORD
	v_pk_fma_f16 v64, v22, v14, v12
	v_mul_u32_u24_sdwa v69, v70, v61 dst_sel:DWORD dst_unused:UNUSED_PAD src0_sel:WORD_0 src1_sel:DWORD
	v_mul_u32_u24_sdwa v70, v70, v61 dst_sel:DWORD dst_unused:UNUSED_PAD src0_sel:WORD_1 src1_sel:DWORD
	ds_read_b128 v[11:14], v55 offset:640
	s_waitcnt lgkmcnt(1)
	v_pk_fma_f16 v8, v15, v24, v8
	v_pk_fma_f16 v80, v15, v62, v20
	;; [unrolled: 1-line block ×6, first 2 shown]
	ds_read2_b64 v[19:22], v65 offset1:32
	v_pk_fma_f16 v23, v16, v69, v23
	v_mul_u32_u24_sdwa v62, v71, v61 dst_sel:DWORD dst_unused:UNUSED_PAD src0_sel:WORD_0 src1_sel:DWORD
	v_mul_u32_u24_sdwa v69, v71, v61 dst_sel:DWORD dst_unused:UNUSED_PAD src0_sel:WORD_1 src1_sel:DWORD
	v_mul_u32_u24_sdwa v71, v72, v61 dst_sel:DWORD dst_unused:UNUSED_PAD src0_sel:WORD_0 src1_sel:DWORD
	v_mul_u32_u24_sdwa v81, v72, v61 dst_sel:DWORD dst_unused:UNUSED_PAD src0_sel:WORD_1 src1_sel:DWORD
	v_pk_fma_f16 v16, v16, v70, v64
	v_pk_fma_f16 v8, v17, v62, v8
	;; [unrolled: 1-line block ×8, first 2 shown]
	ds_read_b128 v[69:72], v55 offset:656
	s_waitcnt lgkmcnt(2)
	v_mul_u32_u24_sdwa v17, v11, v61 dst_sel:DWORD dst_unused:UNUSED_PAD src0_sel:WORD_0 src1_sel:DWORD
	v_mul_u32_u24_sdwa v11, v11, v61 dst_sel:DWORD dst_unused:UNUSED_PAD src0_sel:WORD_1 src1_sel:DWORD
	v_mul_u32_u24_sdwa v62, v12, v61 dst_sel:DWORD dst_unused:UNUSED_PAD src0_sel:WORD_0 src1_sel:DWORD
	v_mul_u32_u24_sdwa v12, v12, v61 dst_sel:DWORD dst_unused:UNUSED_PAD src0_sel:WORD_1 src1_sel:DWORD
	v_pk_fma_f16 v80, v18, v81, v16
	s_waitcnt lgkmcnt(1)
	v_pk_fma_f16 v8, v19, v17, v8
	v_pk_fma_f16 v64, v19, v11, v64
	;; [unrolled: 1-line block ×5, first 2 shown]
	ds_read2_b64 v[15:18], v65 offset0:64 offset1:96
	v_pk_fma_f16 v11, v20, v11, v24
	v_pk_fma_f16 v23, v20, v62, v23
	v_mul_u32_u24_sdwa v24, v13, v61 dst_sel:DWORD dst_unused:UNUSED_PAD src0_sel:WORD_0 src1_sel:DWORD
	v_mul_u32_u24_sdwa v13, v13, v61 dst_sel:DWORD dst_unused:UNUSED_PAD src0_sel:WORD_1 src1_sel:DWORD
	v_mul_u32_u24_sdwa v62, v14, v61 dst_sel:DWORD dst_unused:UNUSED_PAD src0_sel:WORD_0 src1_sel:DWORD
	v_mul_u32_u24_sdwa v14, v14, v61 dst_sel:DWORD dst_unused:UNUSED_PAD src0_sel:WORD_1 src1_sel:DWORD
	v_pk_fma_f16 v12, v20, v12, v80
	v_pk_fma_f16 v8, v21, v24, v8
	;; [unrolled: 1-line block ×8, first 2 shown]
	s_waitcnt lgkmcnt(1)
	v_mul_u32_u24_sdwa v24, v69, v61 dst_sel:DWORD dst_unused:UNUSED_PAD src0_sel:WORD_0 src1_sel:DWORD
	v_mul_u32_u24_sdwa v62, v69, v61 dst_sel:DWORD dst_unused:UNUSED_PAD src0_sel:WORD_1 src1_sel:DWORD
	v_pk_fma_f16 v64, v22, v14, v12
	v_mul_u32_u24_sdwa v69, v70, v61 dst_sel:DWORD dst_unused:UNUSED_PAD src0_sel:WORD_0 src1_sel:DWORD
	v_mul_u32_u24_sdwa v70, v70, v61 dst_sel:DWORD dst_unused:UNUSED_PAD src0_sel:WORD_1 src1_sel:DWORD
	ds_read_b128 v[11:14], v55 offset:672
	s_waitcnt lgkmcnt(1)
	v_pk_fma_f16 v8, v15, v24, v8
	v_pk_fma_f16 v80, v15, v62, v20
	;; [unrolled: 1-line block ×6, first 2 shown]
	ds_read2_b64 v[19:22], v65 offset0:128 offset1:160
	v_pk_fma_f16 v23, v16, v69, v23
	v_mul_u32_u24_sdwa v62, v71, v61 dst_sel:DWORD dst_unused:UNUSED_PAD src0_sel:WORD_0 src1_sel:DWORD
	v_mul_u32_u24_sdwa v69, v71, v61 dst_sel:DWORD dst_unused:UNUSED_PAD src0_sel:WORD_1 src1_sel:DWORD
	v_mul_u32_u24_sdwa v71, v72, v61 dst_sel:DWORD dst_unused:UNUSED_PAD src0_sel:WORD_0 src1_sel:DWORD
	v_mul_u32_u24_sdwa v81, v72, v61 dst_sel:DWORD dst_unused:UNUSED_PAD src0_sel:WORD_1 src1_sel:DWORD
	v_pk_fma_f16 v16, v16, v70, v64
	v_pk_fma_f16 v8, v17, v62, v8
	;; [unrolled: 1-line block ×8, first 2 shown]
	ds_read_b128 v[69:72], v55 offset:688
	s_waitcnt lgkmcnt(2)
	v_mul_u32_u24_sdwa v17, v11, v61 dst_sel:DWORD dst_unused:UNUSED_PAD src0_sel:WORD_0 src1_sel:DWORD
	v_mul_u32_u24_sdwa v11, v11, v61 dst_sel:DWORD dst_unused:UNUSED_PAD src0_sel:WORD_1 src1_sel:DWORD
	v_mul_u32_u24_sdwa v62, v12, v61 dst_sel:DWORD dst_unused:UNUSED_PAD src0_sel:WORD_0 src1_sel:DWORD
	v_mul_u32_u24_sdwa v12, v12, v61 dst_sel:DWORD dst_unused:UNUSED_PAD src0_sel:WORD_1 src1_sel:DWORD
	v_pk_fma_f16 v80, v18, v81, v16
	s_waitcnt lgkmcnt(1)
	v_pk_fma_f16 v8, v19, v17, v8
	v_pk_fma_f16 v64, v19, v11, v64
	;; [unrolled: 1-line block ×5, first 2 shown]
	ds_read2_b64 v[15:18], v65 offset0:192 offset1:224
	v_pk_fma_f16 v11, v20, v11, v24
	v_pk_fma_f16 v23, v20, v62, v23
	v_mul_u32_u24_sdwa v24, v13, v61 dst_sel:DWORD dst_unused:UNUSED_PAD src0_sel:WORD_0 src1_sel:DWORD
	v_mul_u32_u24_sdwa v13, v13, v61 dst_sel:DWORD dst_unused:UNUSED_PAD src0_sel:WORD_1 src1_sel:DWORD
	v_mul_u32_u24_sdwa v62, v14, v61 dst_sel:DWORD dst_unused:UNUSED_PAD src0_sel:WORD_0 src1_sel:DWORD
	v_mul_u32_u24_sdwa v14, v14, v61 dst_sel:DWORD dst_unused:UNUSED_PAD src0_sel:WORD_1 src1_sel:DWORD
	v_pk_fma_f16 v12, v20, v12, v80
	v_pk_fma_f16 v8, v21, v24, v8
	;; [unrolled: 1-line block ×8, first 2 shown]
	s_waitcnt lgkmcnt(1)
	v_mul_u32_u24_sdwa v24, v69, v61 dst_sel:DWORD dst_unused:UNUSED_PAD src0_sel:WORD_0 src1_sel:DWORD
	v_mul_u32_u24_sdwa v62, v69, v61 dst_sel:DWORD dst_unused:UNUSED_PAD src0_sel:WORD_1 src1_sel:DWORD
	v_pk_fma_f16 v64, v22, v14, v12
	v_mul_u32_u24_sdwa v65, v70, v61 dst_sel:DWORD dst_unused:UNUSED_PAD src0_sel:WORD_0 src1_sel:DWORD
	v_mul_u32_u24_sdwa v69, v70, v61 dst_sel:DWORD dst_unused:UNUSED_PAD src0_sel:WORD_1 src1_sel:DWORD
	ds_read_b128 v[11:14], v55 offset:704
	s_waitcnt lgkmcnt(1)
	v_pk_fma_f16 v8, v15, v24, v8
	v_pk_fma_f16 v70, v15, v62, v20
	v_pk_fma_f16 v63, v15, v65, v63
	v_pk_fma_f16 v15, v15, v69, v19
	v_pk_fma_f16 v7, v16, v24, v7
	v_pk_fma_f16 v24, v16, v62, v21
	ds_read2_b64 v[19:22], v66 offset1:32
	v_pk_fma_f16 v23, v16, v65, v23
	v_mul_u32_u24_sdwa v62, v71, v61 dst_sel:DWORD dst_unused:UNUSED_PAD src0_sel:WORD_0 src1_sel:DWORD
	v_mul_u32_u24_sdwa v65, v71, v61 dst_sel:DWORD dst_unused:UNUSED_PAD src0_sel:WORD_1 src1_sel:DWORD
	v_mul_u32_u24_sdwa v71, v72, v61 dst_sel:DWORD dst_unused:UNUSED_PAD src0_sel:WORD_0 src1_sel:DWORD
	v_mul_u32_u24_sdwa v72, v72, v61 dst_sel:DWORD dst_unused:UNUSED_PAD src0_sel:WORD_1 src1_sel:DWORD
	v_pk_fma_f16 v16, v16, v69, v64
	v_pk_fma_f16 v8, v17, v62, v8
	;; [unrolled: 1-line block ×8, first 2 shown]
	ds_read_b128 v[62:65], v55 offset:720
	s_waitcnt lgkmcnt(2)
	v_mul_u32_u24_sdwa v17, v11, v61 dst_sel:DWORD dst_unused:UNUSED_PAD src0_sel:WORD_0 src1_sel:DWORD
	v_mul_u32_u24_sdwa v11, v11, v61 dst_sel:DWORD dst_unused:UNUSED_PAD src0_sel:WORD_1 src1_sel:DWORD
	v_mul_u32_u24_sdwa v71, v12, v61 dst_sel:DWORD dst_unused:UNUSED_PAD src0_sel:WORD_0 src1_sel:DWORD
	v_mul_u32_u24_sdwa v12, v12, v61 dst_sel:DWORD dst_unused:UNUSED_PAD src0_sel:WORD_1 src1_sel:DWORD
	v_pk_fma_f16 v72, v18, v72, v16
	s_waitcnt lgkmcnt(1)
	v_pk_fma_f16 v8, v19, v17, v8
	v_pk_fma_f16 v69, v19, v11, v69
	v_pk_fma_f16 v70, v19, v71, v70
	v_pk_fma_f16 v19, v19, v12, v15
	v_pk_fma_f16 v7, v20, v17, v7
	ds_read2_b64 v[15:18], v66 offset0:64 offset1:96
	v_pk_fma_f16 v11, v20, v11, v24
	v_pk_fma_f16 v23, v20, v71, v23
	v_mul_u32_u24_sdwa v24, v13, v61 dst_sel:DWORD dst_unused:UNUSED_PAD src0_sel:WORD_0 src1_sel:DWORD
	v_mul_u32_u24_sdwa v13, v13, v61 dst_sel:DWORD dst_unused:UNUSED_PAD src0_sel:WORD_1 src1_sel:DWORD
	v_mul_u32_u24_sdwa v71, v14, v61 dst_sel:DWORD dst_unused:UNUSED_PAD src0_sel:WORD_0 src1_sel:DWORD
	v_mul_u32_u24_sdwa v14, v14, v61 dst_sel:DWORD dst_unused:UNUSED_PAD src0_sel:WORD_1 src1_sel:DWORD
	v_pk_fma_f16 v12, v20, v12, v72
	v_pk_fma_f16 v8, v21, v24, v8
	;; [unrolled: 1-line block ×8, first 2 shown]
	s_waitcnt lgkmcnt(1)
	v_mul_u32_u24_sdwa v24, v62, v61 dst_sel:DWORD dst_unused:UNUSED_PAD src0_sel:WORD_0 src1_sel:DWORD
	v_mul_u32_u24_sdwa v62, v62, v61 dst_sel:DWORD dst_unused:UNUSED_PAD src0_sel:WORD_1 src1_sel:DWORD
	v_pk_fma_f16 v70, v22, v14, v12
	v_mul_u32_u24_sdwa v71, v63, v61 dst_sel:DWORD dst_unused:UNUSED_PAD src0_sel:WORD_0 src1_sel:DWORD
	v_mul_u32_u24_sdwa v63, v63, v61 dst_sel:DWORD dst_unused:UNUSED_PAD src0_sel:WORD_1 src1_sel:DWORD
	ds_read_b128 v[11:14], v55 offset:736
	s_waitcnt lgkmcnt(1)
	v_pk_fma_f16 v8, v15, v24, v8
	v_pk_fma_f16 v72, v15, v62, v20
	;; [unrolled: 1-line block ×6, first 2 shown]
	ds_read2_b64 v[19:22], v66 offset0:128 offset1:160
	v_pk_fma_f16 v23, v16, v71, v23
	v_mul_u32_u24_sdwa v62, v64, v61 dst_sel:DWORD dst_unused:UNUSED_PAD src0_sel:WORD_0 src1_sel:DWORD
	v_mul_u32_u24_sdwa v64, v64, v61 dst_sel:DWORD dst_unused:UNUSED_PAD src0_sel:WORD_1 src1_sel:DWORD
	v_mul_u32_u24_sdwa v71, v65, v61 dst_sel:DWORD dst_unused:UNUSED_PAD src0_sel:WORD_0 src1_sel:DWORD
	v_mul_u32_u24_sdwa v80, v65, v61 dst_sel:DWORD dst_unused:UNUSED_PAD src0_sel:WORD_1 src1_sel:DWORD
	v_pk_fma_f16 v16, v16, v63, v70
	v_pk_fma_f16 v8, v17, v62, v8
	;; [unrolled: 1-line block ×8, first 2 shown]
	ds_read_b128 v[62:65], v55 offset:752
	s_waitcnt lgkmcnt(2)
	v_mul_u32_u24_sdwa v17, v11, v61 dst_sel:DWORD dst_unused:UNUSED_PAD src0_sel:WORD_0 src1_sel:DWORD
	v_mul_u32_u24_sdwa v11, v11, v61 dst_sel:DWORD dst_unused:UNUSED_PAD src0_sel:WORD_1 src1_sel:DWORD
	v_mul_u32_u24_sdwa v71, v12, v61 dst_sel:DWORD dst_unused:UNUSED_PAD src0_sel:WORD_0 src1_sel:DWORD
	v_mul_u32_u24_sdwa v12, v12, v61 dst_sel:DWORD dst_unused:UNUSED_PAD src0_sel:WORD_1 src1_sel:DWORD
	v_pk_fma_f16 v72, v18, v80, v16
	s_waitcnt lgkmcnt(1)
	v_pk_fma_f16 v8, v19, v17, v8
	v_pk_fma_f16 v70, v19, v11, v70
	;; [unrolled: 1-line block ×5, first 2 shown]
	ds_read2_b64 v[15:18], v66 offset0:192 offset1:224
	v_pk_fma_f16 v11, v20, v11, v24
	v_pk_fma_f16 v23, v20, v71, v23
	v_mul_u32_u24_sdwa v24, v13, v61 dst_sel:DWORD dst_unused:UNUSED_PAD src0_sel:WORD_0 src1_sel:DWORD
	v_mul_u32_u24_sdwa v13, v13, v61 dst_sel:DWORD dst_unused:UNUSED_PAD src0_sel:WORD_1 src1_sel:DWORD
	v_mul_u32_u24_sdwa v66, v14, v61 dst_sel:DWORD dst_unused:UNUSED_PAD src0_sel:WORD_0 src1_sel:DWORD
	v_mul_u32_u24_sdwa v14, v14, v61 dst_sel:DWORD dst_unused:UNUSED_PAD src0_sel:WORD_1 src1_sel:DWORD
	v_pk_fma_f16 v12, v20, v12, v72
	v_pk_fma_f16 v8, v21, v24, v8
	;; [unrolled: 1-line block ×8, first 2 shown]
	s_waitcnt lgkmcnt(1)
	v_mul_u32_u24_sdwa v24, v62, v61 dst_sel:DWORD dst_unused:UNUSED_PAD src0_sel:WORD_0 src1_sel:DWORD
	v_mul_u32_u24_sdwa v62, v62, v61 dst_sel:DWORD dst_unused:UNUSED_PAD src0_sel:WORD_1 src1_sel:DWORD
	v_pk_fma_f16 v66, v22, v14, v12
	v_mul_u32_u24_sdwa v70, v63, v61 dst_sel:DWORD dst_unused:UNUSED_PAD src0_sel:WORD_0 src1_sel:DWORD
	v_mul_u32_u24_sdwa v63, v63, v61 dst_sel:DWORD dst_unused:UNUSED_PAD src0_sel:WORD_1 src1_sel:DWORD
	ds_read_b128 v[11:14], v55 offset:768
	s_waitcnt lgkmcnt(1)
	v_pk_fma_f16 v8, v15, v24, v8
	v_pk_fma_f16 v71, v15, v62, v20
	;; [unrolled: 1-line block ×6, first 2 shown]
	ds_read2_b64 v[19:22], v67 offset1:32
	v_pk_fma_f16 v23, v16, v70, v23
	v_mul_u32_u24_sdwa v62, v64, v61 dst_sel:DWORD dst_unused:UNUSED_PAD src0_sel:WORD_0 src1_sel:DWORD
	v_mul_u32_u24_sdwa v64, v64, v61 dst_sel:DWORD dst_unused:UNUSED_PAD src0_sel:WORD_1 src1_sel:DWORD
	v_mul_u32_u24_sdwa v70, v65, v61 dst_sel:DWORD dst_unused:UNUSED_PAD src0_sel:WORD_0 src1_sel:DWORD
	v_mul_u32_u24_sdwa v72, v65, v61 dst_sel:DWORD dst_unused:UNUSED_PAD src0_sel:WORD_1 src1_sel:DWORD
	v_pk_fma_f16 v16, v16, v63, v66
	v_pk_fma_f16 v8, v17, v62, v8
	;; [unrolled: 1-line block ×8, first 2 shown]
	ds_read_b128 v[62:65], v55 offset:784
	s_waitcnt lgkmcnt(2)
	v_mul_u32_u24_sdwa v17, v11, v61 dst_sel:DWORD dst_unused:UNUSED_PAD src0_sel:WORD_0 src1_sel:DWORD
	v_mul_u32_u24_sdwa v11, v11, v61 dst_sel:DWORD dst_unused:UNUSED_PAD src0_sel:WORD_1 src1_sel:DWORD
	v_mul_u32_u24_sdwa v70, v12, v61 dst_sel:DWORD dst_unused:UNUSED_PAD src0_sel:WORD_0 src1_sel:DWORD
	v_mul_u32_u24_sdwa v12, v12, v61 dst_sel:DWORD dst_unused:UNUSED_PAD src0_sel:WORD_1 src1_sel:DWORD
	v_pk_fma_f16 v71, v18, v72, v16
	s_waitcnt lgkmcnt(1)
	v_pk_fma_f16 v8, v19, v17, v8
	v_pk_fma_f16 v66, v19, v11, v66
	;; [unrolled: 1-line block ×5, first 2 shown]
	ds_read2_b64 v[15:18], v67 offset0:64 offset1:96
	v_pk_fma_f16 v11, v20, v11, v24
	v_pk_fma_f16 v23, v20, v70, v23
	v_mul_u32_u24_sdwa v24, v13, v61 dst_sel:DWORD dst_unused:UNUSED_PAD src0_sel:WORD_0 src1_sel:DWORD
	v_mul_u32_u24_sdwa v13, v13, v61 dst_sel:DWORD dst_unused:UNUSED_PAD src0_sel:WORD_1 src1_sel:DWORD
	v_mul_u32_u24_sdwa v70, v14, v61 dst_sel:DWORD dst_unused:UNUSED_PAD src0_sel:WORD_0 src1_sel:DWORD
	v_mul_u32_u24_sdwa v14, v14, v61 dst_sel:DWORD dst_unused:UNUSED_PAD src0_sel:WORD_1 src1_sel:DWORD
	v_pk_fma_f16 v12, v20, v12, v71
	v_pk_fma_f16 v8, v21, v24, v8
	;; [unrolled: 1-line block ×8, first 2 shown]
	s_waitcnt lgkmcnt(1)
	v_mul_u32_u24_sdwa v24, v62, v61 dst_sel:DWORD dst_unused:UNUSED_PAD src0_sel:WORD_0 src1_sel:DWORD
	v_mul_u32_u24_sdwa v62, v62, v61 dst_sel:DWORD dst_unused:UNUSED_PAD src0_sel:WORD_1 src1_sel:DWORD
	v_pk_fma_f16 v69, v22, v14, v12
	v_mul_u32_u24_sdwa v70, v63, v61 dst_sel:DWORD dst_unused:UNUSED_PAD src0_sel:WORD_0 src1_sel:DWORD
	v_mul_u32_u24_sdwa v63, v63, v61 dst_sel:DWORD dst_unused:UNUSED_PAD src0_sel:WORD_1 src1_sel:DWORD
	ds_read_b128 v[11:14], v55 offset:800
	s_waitcnt lgkmcnt(1)
	v_pk_fma_f16 v8, v15, v24, v8
	v_pk_fma_f16 v71, v15, v62, v20
	v_pk_fma_f16 v66, v15, v70, v66
	v_pk_fma_f16 v15, v15, v63, v19
	v_pk_fma_f16 v7, v16, v24, v7
	v_pk_fma_f16 v24, v16, v62, v21
	ds_read2_b64 v[19:22], v67 offset0:128 offset1:160
	v_pk_fma_f16 v23, v16, v70, v23
	v_mul_u32_u24_sdwa v62, v64, v61 dst_sel:DWORD dst_unused:UNUSED_PAD src0_sel:WORD_0 src1_sel:DWORD
	v_mul_u32_u24_sdwa v64, v64, v61 dst_sel:DWORD dst_unused:UNUSED_PAD src0_sel:WORD_1 src1_sel:DWORD
	v_mul_u32_u24_sdwa v70, v65, v61 dst_sel:DWORD dst_unused:UNUSED_PAD src0_sel:WORD_0 src1_sel:DWORD
	v_mul_u32_u24_sdwa v72, v65, v61 dst_sel:DWORD dst_unused:UNUSED_PAD src0_sel:WORD_1 src1_sel:DWORD
	v_pk_fma_f16 v16, v16, v63, v69
	v_pk_fma_f16 v8, v17, v62, v8
	;; [unrolled: 1-line block ×8, first 2 shown]
	ds_read_b128 v[62:65], v55 offset:816
	s_waitcnt lgkmcnt(2)
	v_mul_u32_u24_sdwa v17, v11, v61 dst_sel:DWORD dst_unused:UNUSED_PAD src0_sel:WORD_0 src1_sel:DWORD
	v_mul_u32_u24_sdwa v11, v11, v61 dst_sel:DWORD dst_unused:UNUSED_PAD src0_sel:WORD_1 src1_sel:DWORD
	v_mul_u32_u24_sdwa v70, v12, v61 dst_sel:DWORD dst_unused:UNUSED_PAD src0_sel:WORD_0 src1_sel:DWORD
	v_mul_u32_u24_sdwa v12, v12, v61 dst_sel:DWORD dst_unused:UNUSED_PAD src0_sel:WORD_1 src1_sel:DWORD
	v_pk_fma_f16 v71, v18, v72, v16
	s_waitcnt lgkmcnt(1)
	v_pk_fma_f16 v8, v19, v17, v8
	v_pk_fma_f16 v69, v19, v11, v69
	;; [unrolled: 1-line block ×5, first 2 shown]
	ds_read2_b64 v[15:18], v67 offset0:192 offset1:224
	v_pk_fma_f16 v11, v20, v11, v24
	v_pk_fma_f16 v23, v20, v70, v23
	v_mul_u32_u24_sdwa v24, v13, v61 dst_sel:DWORD dst_unused:UNUSED_PAD src0_sel:WORD_0 src1_sel:DWORD
	v_mul_u32_u24_sdwa v13, v13, v61 dst_sel:DWORD dst_unused:UNUSED_PAD src0_sel:WORD_1 src1_sel:DWORD
	v_mul_u32_u24_sdwa v67, v14, v61 dst_sel:DWORD dst_unused:UNUSED_PAD src0_sel:WORD_0 src1_sel:DWORD
	v_mul_u32_u24_sdwa v14, v14, v61 dst_sel:DWORD dst_unused:UNUSED_PAD src0_sel:WORD_1 src1_sel:DWORD
	v_pk_fma_f16 v12, v20, v12, v71
	v_pk_fma_f16 v8, v21, v24, v8
	v_pk_fma_f16 v20, v21, v13, v69
	v_pk_fma_f16 v66, v21, v67, v66
	v_pk_fma_f16 v19, v21, v14, v19
	v_pk_fma_f16 v7, v22, v24, v7
	v_pk_fma_f16 v21, v22, v13, v11
	v_pk_fma_f16 v23, v22, v67, v23
	s_waitcnt lgkmcnt(1)
	v_mul_u32_u24_sdwa v24, v62, v61 dst_sel:DWORD dst_unused:UNUSED_PAD src0_sel:WORD_0 src1_sel:DWORD
	v_mul_u32_u24_sdwa v62, v62, v61 dst_sel:DWORD dst_unused:UNUSED_PAD src0_sel:WORD_1 src1_sel:DWORD
	v_pk_fma_f16 v67, v22, v14, v12
	v_mul_u32_u24_sdwa v69, v63, v61 dst_sel:DWORD dst_unused:UNUSED_PAD src0_sel:WORD_0 src1_sel:DWORD
	v_mul_u32_u24_sdwa v63, v63, v61 dst_sel:DWORD dst_unused:UNUSED_PAD src0_sel:WORD_1 src1_sel:DWORD
	ds_read_b128 v[11:14], v55 offset:832
	s_waitcnt lgkmcnt(1)
	v_pk_fma_f16 v8, v15, v24, v8
	v_pk_fma_f16 v70, v15, v62, v20
	;; [unrolled: 1-line block ×6, first 2 shown]
	ds_read2_b64 v[19:22], v68 offset1:32
	v_pk_fma_f16 v23, v16, v69, v23
	v_mul_u32_u24_sdwa v62, v64, v61 dst_sel:DWORD dst_unused:UNUSED_PAD src0_sel:WORD_0 src1_sel:DWORD
	v_mul_u32_u24_sdwa v64, v64, v61 dst_sel:DWORD dst_unused:UNUSED_PAD src0_sel:WORD_1 src1_sel:DWORD
	v_mul_u32_u24_sdwa v69, v65, v61 dst_sel:DWORD dst_unused:UNUSED_PAD src0_sel:WORD_0 src1_sel:DWORD
	v_mul_u32_u24_sdwa v71, v65, v61 dst_sel:DWORD dst_unused:UNUSED_PAD src0_sel:WORD_1 src1_sel:DWORD
	v_pk_fma_f16 v16, v16, v63, v67
	v_pk_fma_f16 v8, v17, v62, v8
	;; [unrolled: 1-line block ×8, first 2 shown]
	ds_read_b128 v[62:65], v55 offset:848
	s_waitcnt lgkmcnt(2)
	v_mul_u32_u24_sdwa v17, v11, v61 dst_sel:DWORD dst_unused:UNUSED_PAD src0_sel:WORD_0 src1_sel:DWORD
	v_mul_u32_u24_sdwa v11, v11, v61 dst_sel:DWORD dst_unused:UNUSED_PAD src0_sel:WORD_1 src1_sel:DWORD
	v_mul_u32_u24_sdwa v69, v12, v61 dst_sel:DWORD dst_unused:UNUSED_PAD src0_sel:WORD_0 src1_sel:DWORD
	v_mul_u32_u24_sdwa v12, v12, v61 dst_sel:DWORD dst_unused:UNUSED_PAD src0_sel:WORD_1 src1_sel:DWORD
	v_pk_fma_f16 v70, v18, v71, v16
	s_waitcnt lgkmcnt(1)
	v_pk_fma_f16 v8, v19, v17, v8
	v_pk_fma_f16 v67, v19, v11, v67
	;; [unrolled: 1-line block ×5, first 2 shown]
	ds_read2_b64 v[15:18], v68 offset0:64 offset1:96
	v_pk_fma_f16 v11, v20, v11, v24
	v_pk_fma_f16 v23, v20, v69, v23
	v_mul_u32_u24_sdwa v24, v13, v61 dst_sel:DWORD dst_unused:UNUSED_PAD src0_sel:WORD_0 src1_sel:DWORD
	v_mul_u32_u24_sdwa v13, v13, v61 dst_sel:DWORD dst_unused:UNUSED_PAD src0_sel:WORD_1 src1_sel:DWORD
	v_mul_u32_u24_sdwa v69, v14, v61 dst_sel:DWORD dst_unused:UNUSED_PAD src0_sel:WORD_0 src1_sel:DWORD
	v_mul_u32_u24_sdwa v14, v14, v61 dst_sel:DWORD dst_unused:UNUSED_PAD src0_sel:WORD_1 src1_sel:DWORD
	v_pk_fma_f16 v12, v20, v12, v70
	v_pk_fma_f16 v8, v21, v24, v8
	;; [unrolled: 1-line block ×8, first 2 shown]
	s_waitcnt lgkmcnt(1)
	v_mul_u32_u24_sdwa v24, v62, v61 dst_sel:DWORD dst_unused:UNUSED_PAD src0_sel:WORD_0 src1_sel:DWORD
	v_mul_u32_u24_sdwa v62, v62, v61 dst_sel:DWORD dst_unused:UNUSED_PAD src0_sel:WORD_1 src1_sel:DWORD
	v_pk_fma_f16 v67, v22, v14, v12
	v_mul_u32_u24_sdwa v69, v63, v61 dst_sel:DWORD dst_unused:UNUSED_PAD src0_sel:WORD_0 src1_sel:DWORD
	v_mul_u32_u24_sdwa v63, v63, v61 dst_sel:DWORD dst_unused:UNUSED_PAD src0_sel:WORD_1 src1_sel:DWORD
	ds_read_b128 v[11:14], v55 offset:864
	s_waitcnt lgkmcnt(1)
	v_pk_fma_f16 v8, v15, v24, v8
	v_pk_fma_f16 v70, v15, v62, v20
	;; [unrolled: 1-line block ×6, first 2 shown]
	ds_read2_b64 v[19:22], v68 offset0:128 offset1:160
	v_pk_fma_f16 v23, v16, v69, v23
	v_mul_u32_u24_sdwa v62, v64, v61 dst_sel:DWORD dst_unused:UNUSED_PAD src0_sel:WORD_0 src1_sel:DWORD
	v_mul_u32_u24_sdwa v64, v64, v61 dst_sel:DWORD dst_unused:UNUSED_PAD src0_sel:WORD_1 src1_sel:DWORD
	v_mul_u32_u24_sdwa v69, v65, v61 dst_sel:DWORD dst_unused:UNUSED_PAD src0_sel:WORD_0 src1_sel:DWORD
	v_mul_u32_u24_sdwa v71, v65, v61 dst_sel:DWORD dst_unused:UNUSED_PAD src0_sel:WORD_1 src1_sel:DWORD
	v_pk_fma_f16 v16, v16, v63, v67
	v_pk_fma_f16 v8, v17, v62, v8
	;; [unrolled: 1-line block ×8, first 2 shown]
	ds_read_b128 v[62:65], v55 offset:880
	s_waitcnt lgkmcnt(2)
	v_mul_u32_u24_sdwa v17, v11, v61 dst_sel:DWORD dst_unused:UNUSED_PAD src0_sel:WORD_0 src1_sel:DWORD
	v_mul_u32_u24_sdwa v11, v11, v61 dst_sel:DWORD dst_unused:UNUSED_PAD src0_sel:WORD_1 src1_sel:DWORD
	v_mul_u32_u24_sdwa v69, v12, v61 dst_sel:DWORD dst_unused:UNUSED_PAD src0_sel:WORD_0 src1_sel:DWORD
	v_mul_u32_u24_sdwa v12, v12, v61 dst_sel:DWORD dst_unused:UNUSED_PAD src0_sel:WORD_1 src1_sel:DWORD
	v_pk_fma_f16 v70, v18, v71, v16
	s_waitcnt lgkmcnt(1)
	v_pk_fma_f16 v8, v19, v17, v8
	v_pk_fma_f16 v67, v19, v11, v67
	v_pk_fma_f16 v66, v19, v69, v66
	v_pk_fma_f16 v19, v19, v12, v15
	v_pk_fma_f16 v7, v20, v17, v7
	ds_read2_b64 v[15:18], v68 offset0:192 offset1:224
	v_pk_fma_f16 v11, v20, v11, v24
	v_pk_fma_f16 v23, v20, v69, v23
	v_mul_u32_u24_sdwa v24, v13, v61 dst_sel:DWORD dst_unused:UNUSED_PAD src0_sel:WORD_0 src1_sel:DWORD
	v_mul_u32_u24_sdwa v13, v13, v61 dst_sel:DWORD dst_unused:UNUSED_PAD src0_sel:WORD_1 src1_sel:DWORD
	v_mul_u32_u24_sdwa v68, v14, v61 dst_sel:DWORD dst_unused:UNUSED_PAD src0_sel:WORD_0 src1_sel:DWORD
	v_mul_u32_u24_sdwa v14, v14, v61 dst_sel:DWORD dst_unused:UNUSED_PAD src0_sel:WORD_1 src1_sel:DWORD
	v_pk_fma_f16 v12, v20, v12, v70
	v_pk_fma_f16 v8, v21, v24, v8
	;; [unrolled: 1-line block ×8, first 2 shown]
	s_waitcnt lgkmcnt(1)
	v_mul_u32_u24_sdwa v24, v62, v61 dst_sel:DWORD dst_unused:UNUSED_PAD src0_sel:WORD_0 src1_sel:DWORD
	v_mul_u32_u24_sdwa v62, v62, v61 dst_sel:DWORD dst_unused:UNUSED_PAD src0_sel:WORD_1 src1_sel:DWORD
	v_pk_fma_f16 v67, v22, v14, v12
	v_mul_u32_u24_sdwa v68, v63, v61 dst_sel:DWORD dst_unused:UNUSED_PAD src0_sel:WORD_0 src1_sel:DWORD
	v_mul_u32_u24_sdwa v63, v63, v61 dst_sel:DWORD dst_unused:UNUSED_PAD src0_sel:WORD_1 src1_sel:DWORD
	ds_read_b128 v[11:14], v55 offset:896
	s_waitcnt lgkmcnt(1)
	v_pk_fma_f16 v8, v15, v24, v8
	v_pk_fma_f16 v69, v15, v62, v20
	;; [unrolled: 1-line block ×6, first 2 shown]
	ds_read2_b64 v[19:22], v10 offset1:32
	v_pk_fma_f16 v23, v16, v68, v23
	v_mul_u32_u24_sdwa v62, v64, v61 dst_sel:DWORD dst_unused:UNUSED_PAD src0_sel:WORD_0 src1_sel:DWORD
	v_mul_u32_u24_sdwa v64, v64, v61 dst_sel:DWORD dst_unused:UNUSED_PAD src0_sel:WORD_1 src1_sel:DWORD
	v_mul_u32_u24_sdwa v68, v65, v61 dst_sel:DWORD dst_unused:UNUSED_PAD src0_sel:WORD_0 src1_sel:DWORD
	v_mul_u32_u24_sdwa v70, v65, v61 dst_sel:DWORD dst_unused:UNUSED_PAD src0_sel:WORD_1 src1_sel:DWORD
	v_pk_fma_f16 v16, v16, v63, v67
	v_pk_fma_f16 v8, v17, v62, v8
	;; [unrolled: 1-line block ×8, first 2 shown]
	ds_read_b128 v[62:65], v55 offset:912
	s_waitcnt lgkmcnt(2)
	v_mul_u32_u24_sdwa v17, v11, v61 dst_sel:DWORD dst_unused:UNUSED_PAD src0_sel:WORD_0 src1_sel:DWORD
	v_mul_u32_u24_sdwa v11, v11, v61 dst_sel:DWORD dst_unused:UNUSED_PAD src0_sel:WORD_1 src1_sel:DWORD
	v_mul_u32_u24_sdwa v68, v12, v61 dst_sel:DWORD dst_unused:UNUSED_PAD src0_sel:WORD_0 src1_sel:DWORD
	v_mul_u32_u24_sdwa v12, v12, v61 dst_sel:DWORD dst_unused:UNUSED_PAD src0_sel:WORD_1 src1_sel:DWORD
	v_pk_fma_f16 v69, v18, v70, v16
	s_waitcnt lgkmcnt(1)
	v_pk_fma_f16 v8, v19, v17, v8
	v_pk_fma_f16 v67, v19, v11, v67
	v_pk_fma_f16 v66, v19, v68, v66
	v_pk_fma_f16 v19, v19, v12, v15
	v_pk_fma_f16 v7, v20, v17, v7
	ds_read2_b64 v[15:18], v10 offset0:64 offset1:96
	v_pk_fma_f16 v11, v20, v11, v24
	v_pk_fma_f16 v23, v20, v68, v23
	v_mul_u32_u24_sdwa v24, v13, v61 dst_sel:DWORD dst_unused:UNUSED_PAD src0_sel:WORD_0 src1_sel:DWORD
	v_mul_u32_u24_sdwa v13, v13, v61 dst_sel:DWORD dst_unused:UNUSED_PAD src0_sel:WORD_1 src1_sel:DWORD
	v_mul_u32_u24_sdwa v68, v14, v61 dst_sel:DWORD dst_unused:UNUSED_PAD src0_sel:WORD_0 src1_sel:DWORD
	v_mul_u32_u24_sdwa v14, v14, v61 dst_sel:DWORD dst_unused:UNUSED_PAD src0_sel:WORD_1 src1_sel:DWORD
	v_pk_fma_f16 v12, v20, v12, v69
	v_pk_fma_f16 v8, v21, v24, v8
	;; [unrolled: 1-line block ×8, first 2 shown]
	s_waitcnt lgkmcnt(1)
	v_mul_u32_u24_sdwa v24, v62, v61 dst_sel:DWORD dst_unused:UNUSED_PAD src0_sel:WORD_0 src1_sel:DWORD
	v_mul_u32_u24_sdwa v62, v62, v61 dst_sel:DWORD dst_unused:UNUSED_PAD src0_sel:WORD_1 src1_sel:DWORD
	v_pk_fma_f16 v67, v22, v14, v12
	v_mul_u32_u24_sdwa v68, v63, v61 dst_sel:DWORD dst_unused:UNUSED_PAD src0_sel:WORD_0 src1_sel:DWORD
	v_mul_u32_u24_sdwa v63, v63, v61 dst_sel:DWORD dst_unused:UNUSED_PAD src0_sel:WORD_1 src1_sel:DWORD
	ds_read_b128 v[11:14], v55 offset:928
	s_waitcnt lgkmcnt(1)
	v_pk_fma_f16 v8, v15, v24, v8
	v_pk_fma_f16 v69, v15, v62, v20
	;; [unrolled: 1-line block ×6, first 2 shown]
	ds_read2_b64 v[19:22], v10 offset0:128 offset1:160
	v_pk_fma_f16 v23, v16, v68, v23
	v_mul_u32_u24_sdwa v62, v64, v61 dst_sel:DWORD dst_unused:UNUSED_PAD src0_sel:WORD_0 src1_sel:DWORD
	v_mul_u32_u24_sdwa v64, v64, v61 dst_sel:DWORD dst_unused:UNUSED_PAD src0_sel:WORD_1 src1_sel:DWORD
	v_mul_u32_u24_sdwa v68, v65, v61 dst_sel:DWORD dst_unused:UNUSED_PAD src0_sel:WORD_0 src1_sel:DWORD
	v_mul_u32_u24_sdwa v70, v65, v61 dst_sel:DWORD dst_unused:UNUSED_PAD src0_sel:WORD_1 src1_sel:DWORD
	v_pk_fma_f16 v16, v16, v63, v67
	v_pk_fma_f16 v8, v17, v62, v8
	;; [unrolled: 1-line block ×8, first 2 shown]
	ds_read_b128 v[62:65], v55 offset:944
	s_waitcnt lgkmcnt(2)
	v_mul_u32_u24_sdwa v17, v11, v61 dst_sel:DWORD dst_unused:UNUSED_PAD src0_sel:WORD_0 src1_sel:DWORD
	v_mul_u32_u24_sdwa v11, v11, v61 dst_sel:DWORD dst_unused:UNUSED_PAD src0_sel:WORD_1 src1_sel:DWORD
	v_mul_u32_u24_sdwa v68, v12, v61 dst_sel:DWORD dst_unused:UNUSED_PAD src0_sel:WORD_0 src1_sel:DWORD
	v_mul_u32_u24_sdwa v12, v12, v61 dst_sel:DWORD dst_unused:UNUSED_PAD src0_sel:WORD_1 src1_sel:DWORD
	v_pk_fma_f16 v69, v18, v70, v16
	s_waitcnt lgkmcnt(1)
	v_pk_fma_f16 v8, v19, v17, v8
	v_pk_fma_f16 v67, v19, v11, v67
	;; [unrolled: 1-line block ×5, first 2 shown]
	ds_read2_b64 v[15:18], v10 offset0:192 offset1:224
	v_pk_fma_f16 v10, v20, v11, v24
	v_pk_fma_f16 v11, v20, v68, v23
	v_mul_u32_u24_sdwa v23, v13, v61 dst_sel:DWORD dst_unused:UNUSED_PAD src0_sel:WORD_0 src1_sel:DWORD
	v_mul_u32_u24_sdwa v13, v13, v61 dst_sel:DWORD dst_unused:UNUSED_PAD src0_sel:WORD_1 src1_sel:DWORD
	v_mul_u32_u24_sdwa v24, v14, v61 dst_sel:DWORD dst_unused:UNUSED_PAD src0_sel:WORD_0 src1_sel:DWORD
	v_mul_u32_u24_sdwa v14, v14, v61 dst_sel:DWORD dst_unused:UNUSED_PAD src0_sel:WORD_1 src1_sel:DWORD
	v_pk_fma_f16 v12, v20, v12, v69
	v_pk_fma_f16 v8, v21, v23, v8
	;; [unrolled: 1-line block ×8, first 2 shown]
	s_waitcnt lgkmcnt(1)
	v_mul_u32_u24_sdwa v24, v62, v61 dst_sel:DWORD dst_unused:UNUSED_PAD src0_sel:WORD_0 src1_sel:DWORD
	v_mul_u32_u24_sdwa v62, v62, v61 dst_sel:DWORD dst_unused:UNUSED_PAD src0_sel:WORD_1 src1_sel:DWORD
	v_pk_fma_f16 v14, v22, v14, v12
	v_mul_u32_u24_sdwa v67, v63, v61 dst_sel:DWORD dst_unused:UNUSED_PAD src0_sel:WORD_0 src1_sel:DWORD
	v_mul_u32_u24_sdwa v63, v63, v61 dst_sel:DWORD dst_unused:UNUSED_PAD src0_sel:WORD_1 src1_sel:DWORD
	ds_read_b128 v[10:13], v55 offset:960
	s_waitcnt lgkmcnt(1)
	v_pk_fma_f16 v8, v15, v24, v8
	v_pk_fma_f16 v68, v15, v62, v20
	;; [unrolled: 1-line block ×6, first 2 shown]
	ds_read2_b64 v[19:22], v9 offset1:32
	v_pk_fma_f16 v23, v16, v67, v23
	v_mul_u32_u24_sdwa v62, v64, v61 dst_sel:DWORD dst_unused:UNUSED_PAD src0_sel:WORD_0 src1_sel:DWORD
	v_mul_u32_u24_sdwa v64, v64, v61 dst_sel:DWORD dst_unused:UNUSED_PAD src0_sel:WORD_1 src1_sel:DWORD
	v_mul_u32_u24_sdwa v67, v65, v61 dst_sel:DWORD dst_unused:UNUSED_PAD src0_sel:WORD_0 src1_sel:DWORD
	v_mul_u32_u24_sdwa v65, v65, v61 dst_sel:DWORD dst_unused:UNUSED_PAD src0_sel:WORD_1 src1_sel:DWORD
	v_pk_fma_f16 v63, v16, v63, v14
	v_pk_fma_f16 v8, v17, v62, v8
	;; [unrolled: 1-line block ×6, first 2 shown]
	ds_read_b128 v[14:17], v55 offset:976
	s_waitcnt lgkmcnt(2)
	v_mul_u32_u24_sdwa v62, v10, v61 dst_sel:DWORD dst_unused:UNUSED_PAD src0_sel:WORD_0 src1_sel:DWORD
	v_pk_fma_f16 v24, v18, v64, v24
	v_pk_fma_f16 v23, v18, v67, v23
	;; [unrolled: 1-line block ×3, first 2 shown]
	v_mul_u32_u24_sdwa v10, v10, v61 dst_sel:DWORD dst_unused:UNUSED_PAD src0_sel:WORD_1 src1_sel:DWORD
	v_mul_u32_u24_sdwa v67, v11, v61 dst_sel:DWORD dst_unused:UNUSED_PAD src0_sel:WORD_0 src1_sel:DWORD
	v_mul_u32_u24_sdwa v11, v11, v61 dst_sel:DWORD dst_unused:UNUSED_PAD src0_sel:WORD_1 src1_sel:DWORD
	s_waitcnt lgkmcnt(1)
	v_pk_fma_f16 v8, v19, v62, v8
	v_pk_fma_f16 v7, v20, v62, v7
	ds_read2_b64 v[62:65], v9 offset0:64 offset1:96
	v_pk_fma_f16 v68, v19, v10, v68
	v_pk_fma_f16 v66, v19, v67, v66
	;; [unrolled: 1-line block ×5, first 2 shown]
	v_mul_u32_u24_sdwa v24, v12, v61 dst_sel:DWORD dst_unused:UNUSED_PAD src0_sel:WORD_0 src1_sel:DWORD
	v_mul_u32_u24_sdwa v12, v12, v61 dst_sel:DWORD dst_unused:UNUSED_PAD src0_sel:WORD_1 src1_sel:DWORD
	v_mul_u32_u24_sdwa v67, v13, v61 dst_sel:DWORD dst_unused:UNUSED_PAD src0_sel:WORD_0 src1_sel:DWORD
	v_mul_u32_u24_sdwa v13, v13, v61 dst_sel:DWORD dst_unused:UNUSED_PAD src0_sel:WORD_1 src1_sel:DWORD
	v_pk_fma_f16 v11, v20, v11, v18
	v_pk_fma_f16 v8, v21, v24, v8
	;; [unrolled: 1-line block ×8, first 2 shown]
	s_waitcnt lgkmcnt(1)
	v_mul_u32_u24_sdwa v24, v14, v61 dst_sel:DWORD dst_unused:UNUSED_PAD src0_sel:WORD_0 src1_sel:DWORD
	v_mul_u32_u24_sdwa v14, v14, v61 dst_sel:DWORD dst_unused:UNUSED_PAD src0_sel:WORD_1 src1_sel:DWORD
	v_pk_fma_f16 v22, v22, v13, v11
	v_mul_u32_u24_sdwa v66, v15, v61 dst_sel:DWORD dst_unused:UNUSED_PAD src0_sel:WORD_0 src1_sel:DWORD
	v_mul_u32_u24_sdwa v15, v15, v61 dst_sel:DWORD dst_unused:UNUSED_PAD src0_sel:WORD_1 src1_sel:DWORD
	ds_read_b128 v[10:13], v55 offset:992
	s_waitcnt lgkmcnt(1)
	v_pk_fma_f16 v8, v62, v24, v8
	v_pk_fma_f16 v67, v62, v14, v18
	;; [unrolled: 1-line block ×5, first 2 shown]
	ds_read2_b64 v[18:21], v9 offset0:128 offset1:160
	v_pk_fma_f16 v7, v63, v24, v7
	v_pk_fma_f16 v23, v63, v66, v23
	v_mul_u32_u24_sdwa v24, v16, v61 dst_sel:DWORD dst_unused:UNUSED_PAD src0_sel:WORD_0 src1_sel:DWORD
	v_mul_u32_u24_sdwa v16, v16, v61 dst_sel:DWORD dst_unused:UNUSED_PAD src0_sel:WORD_1 src1_sel:DWORD
	v_mul_u32_u24_sdwa v66, v17, v61 dst_sel:DWORD dst_unused:UNUSED_PAD src0_sel:WORD_0 src1_sel:DWORD
	v_mul_u32_u24_sdwa v69, v17, v61 dst_sel:DWORD dst_unused:UNUSED_PAD src0_sel:WORD_1 src1_sel:DWORD
	v_pk_fma_f16 v22, v63, v15, v22
	v_pk_fma_f16 v8, v64, v24, v8
	;; [unrolled: 1-line block ×8, first 2 shown]
	ds_read_b128 v[14:17], v55 offset:1008
	s_waitcnt lgkmcnt(2)
	v_mul_u32_u24_sdwa v64, v10, v61 dst_sel:DWORD dst_unused:UNUSED_PAD src0_sel:WORD_0 src1_sel:DWORD
	v_mul_u32_u24_sdwa v10, v10, v61 dst_sel:DWORD dst_unused:UNUSED_PAD src0_sel:WORD_1 src1_sel:DWORD
	v_mul_u32_u24_sdwa v66, v11, v61 dst_sel:DWORD dst_unused:UNUSED_PAD src0_sel:WORD_0 src1_sel:DWORD
	v_mul_u32_u24_sdwa v11, v11, v61 dst_sel:DWORD dst_unused:UNUSED_PAD src0_sel:WORD_1 src1_sel:DWORD
	v_pk_fma_f16 v22, v65, v69, v22
	s_waitcnt lgkmcnt(1)
	v_pk_fma_f16 v65, v18, v64, v8
	v_pk_fma_f16 v63, v18, v10, v63
	;; [unrolled: 1-line block ×6, first 2 shown]
	ds_read2_b64 v[7:10], v9 offset0:192 offset1:224
	s_waitcnt lgkmcnt(0)
	s_barrier
	buffer_gl0_inv
	s_load_dword s18, s[0:1], 0x4
	v_pk_fma_f16 v23, v19, v66, v23
	v_mul_u32_u24_sdwa v64, v12, v61 dst_sel:DWORD dst_unused:UNUSED_PAD src0_sel:WORD_0 src1_sel:DWORD
	v_mul_u32_u24_sdwa v12, v12, v61 dst_sel:DWORD dst_unused:UNUSED_PAD src0_sel:WORD_1 src1_sel:DWORD
	v_mul_u32_u24_sdwa v66, v13, v61 dst_sel:DWORD dst_unused:UNUSED_PAD src0_sel:WORD_0 src1_sel:DWORD
	v_mul_u32_u24_sdwa v13, v13, v61 dst_sel:DWORD dst_unused:UNUSED_PAD src0_sel:WORD_1 src1_sel:DWORD
	v_pk_fma_f16 v11, v19, v11, v22
	v_pk_fma_f16 v19, v20, v64, v65
	;; [unrolled: 1-line block ×9, first 2 shown]
	v_mul_u32_u24_sdwa v13, v14, v61 dst_sel:DWORD dst_unused:UNUSED_PAD src0_sel:WORD_0 src1_sel:DWORD
	v_mul_u32_u24_sdwa v14, v14, v61 dst_sel:DWORD dst_unused:UNUSED_PAD src0_sel:WORD_1 src1_sel:DWORD
	v_mul_u32_u24_sdwa v21, v15, v61 dst_sel:DWORD dst_unused:UNUSED_PAD src0_sel:WORD_0 src1_sel:DWORD
	v_mul_u32_u24_sdwa v15, v15, v61 dst_sel:DWORD dst_unused:UNUSED_PAD src0_sel:WORD_1 src1_sel:DWORD
	v_pk_fma_f16 v19, v7, v13, v19
	v_pk_fma_f16 v22, v7, v14, v22
	;; [unrolled: 1-line block ×7, first 2 shown]
	v_mul_u32_u24_sdwa v18, v16, v61 dst_sel:DWORD dst_unused:UNUSED_PAD src0_sel:WORD_0 src1_sel:DWORD
	v_mul_u32_u24_sdwa v16, v16, v61 dst_sel:DWORD dst_unused:UNUSED_PAD src0_sel:WORD_1 src1_sel:DWORD
	v_mul_u32_u24_sdwa v20, v17, v61 dst_sel:DWORD dst_unused:UNUSED_PAD src0_sel:WORD_0 src1_sel:DWORD
	v_mul_u32_u24_sdwa v17, v17, v61 dst_sel:DWORD dst_unused:UNUSED_PAD src0_sel:WORD_1 src1_sel:DWORD
	v_pk_fma_f16 v8, v8, v15, v11
	s_waitcnt lgkmcnt(0)
	s_lshl_b32 s18, s18, 7
	v_pk_fma_f16 v66, v9, v18, v19
	v_pk_fma_f16 v64, v9, v16, v22
	;; [unrolled: 1-line block ×8, first 2 shown]
	s_add_i32 s6, s18, s6
	s_cmp_ge_i32 s6, s30
	s_cbranch_scc1 .LBB72_75
; %bb.74:                               ;   in Loop: Header=BB72_9 Depth=1
	v_mov_b32_e32 v9, v1
	v_mov_b32_e32 v71, v2
	;; [unrolled: 1-line block ×8, first 2 shown]
	s_branch .LBB72_9
.LBB72_75:
	v_mov_b32_e32 v7, v46
.LBB72_76:
	v_cmp_lt_i32_e32 vcc_lo, v77, v47
	s_cmp_lg_u64 s[16:17], 0
	s_cselect_b32 s0, -1, 0
	s_cmp_eq_u32 s28, 0
	v_cndmask_b32_e32 v8, v7, v77, vcc_lo
	v_cmp_lt_i32_e32 vcc_lo, v76, v47
	s_cselect_b32 s1, -1, 0
	s_and_b32 s0, s1, s0
	v_lshlrev_b32_e32 v8, 2, v8
	v_cndmask_b32_e32 v12, v7, v76, vcc_lo
	v_cmp_lt_i32_e32 vcc_lo, v75, v47
	ds_bpermute_b32 v9, v8, v78
	ds_bpermute_b32 v10, v8, v79
	;; [unrolled: 1-line block ×4, first 2 shown]
	v_lshlrev_b32_e32 v12, 2, v12
	v_cndmask_b32_e32 v14, v7, v75, vcc_lo
	v_cmp_lt_i32_e32 vcc_lo, v74, v47
	v_lshlrev_b32_e32 v14, 2, v14
	s_waitcnt lgkmcnt(3)
	v_add_f32_e32 v9, v78, v9
	s_waitcnt lgkmcnt(2)
	v_add_f32_e32 v10, v79, v10
	;; [unrolled: 2-line block ×4, first 2 shown]
	ds_bpermute_b32 v8, v12, v9
	ds_bpermute_b32 v11, v12, v10
	;; [unrolled: 1-line block ×4, first 2 shown]
	s_waitcnt lgkmcnt(3)
	v_add_f32_e32 v8, v9, v8
	s_waitcnt lgkmcnt(2)
	v_add_f32_e32 v9, v10, v11
	;; [unrolled: 2-line block ×4, first 2 shown]
	ds_bpermute_b32 v10, v14, v8
	ds_bpermute_b32 v11, v14, v9
	;; [unrolled: 1-line block ×4, first 2 shown]
	v_cndmask_b32_e32 v14, v7, v74, vcc_lo
	v_cmp_lt_i32_e32 vcc_lo, v73, v47
	v_lshlrev_b32_e32 v14, 2, v14
	v_cndmask_b32_e32 v7, v7, v73, vcc_lo
	s_and_b32 vcc_lo, exec_lo, s0
	v_lshlrev_b32_e32 v7, 2, v7
	s_waitcnt lgkmcnt(3)
	v_add_f32_e32 v8, v8, v10
	s_waitcnt lgkmcnt(2)
	v_add_f32_e32 v9, v9, v11
	;; [unrolled: 2-line block ×4, first 2 shown]
	ds_bpermute_b32 v10, v14, v8
	ds_bpermute_b32 v11, v14, v9
	;; [unrolled: 1-line block ×4, first 2 shown]
	s_waitcnt lgkmcnt(3)
	v_add_f32_e32 v8, v8, v10
	s_waitcnt lgkmcnt(2)
	v_add_f32_e32 v9, v9, v11
	;; [unrolled: 2-line block ×4, first 2 shown]
	ds_bpermute_b32 v5, v7, v8
	ds_bpermute_b32 v6, v7, v9
	;; [unrolled: 1-line block ×4, first 2 shown]
	s_waitcnt lgkmcnt(3)
	v_add_f32_e32 v5, v8, v5
	s_waitcnt lgkmcnt(2)
	v_add_f32_e32 v6, v9, v6
	;; [unrolled: 2-line block ×4, first 2 shown]
	s_cbranch_vccz .LBB72_79
; %bb.77:
	v_add_nc_u32_e32 v9, s29, v44
	v_max_f32_e32 v13, v1, v1
	v_max_f32_e32 v14, v2, v2
	;; [unrolled: 1-line block ×4, first 2 shown]
	v_ashrrev_i32_e32 v10, 31, v9
	v_mov_b32_e32 v26, 0x10001
	v_lshlrev_b64 v[9:10], 2, v[9:10]
	v_add_co_u32 v9, vcc_lo, s16, v9
	v_add_co_ci_u32_e64 v10, null, s17, v10, vcc_lo
	global_load_dwordx4 v[9:12], v[9:10], off
	s_waitcnt vmcnt(0)
	v_max_f32_e32 v16, v9, v9
	v_max_f32_e32 v18, v10, v10
	;; [unrolled: 1-line block ×8, first 2 shown]
	v_sub_f32_e32 v17, v1, v13
	v_sub_f32_e32 v18, v2, v14
	v_sub_f32_e32 v19, v3, v15
	v_sub_f32_e32 v20, v4, v16
	v_mov_b32_e32 v1, v13
	v_sub_f32_e32 v9, v9, v13
	v_mov_b32_e32 v2, v14
	v_mov_b32_e32 v3, v15
	;; [unrolled: 1-line block ×3, first 2 shown]
	v_mul_f32_e32 v13, 0x3fb8aa3b, v17
	v_sub_f32_e32 v10, v10, v14
	v_mul_f32_e32 v14, 0x3fb8aa3b, v9
	v_sub_f32_e32 v11, v11, v15
	v_mul_f32_e32 v15, 0x3fb8aa3b, v18
	v_fma_f32 v31, 0x3fb8aa3b, v17, -v13
	v_rndne_f32_e32 v32, v13
	v_fma_f32 v33, 0x3fb8aa3b, v9, -v14
	v_rndne_f32_e32 v34, v14
	v_sub_f32_e32 v12, v12, v16
	v_fmac_f32_e32 v31, 0x32a5705f, v17
	v_sub_f32_e32 v13, v13, v32
	v_mul_f32_e32 v16, 0x3fb8aa3b, v10
	v_fma_f32 v35, 0x3fb8aa3b, v18, -v15
	v_rndne_f32_e32 v36, v15
	v_fmac_f32_e32 v33, 0x32a5705f, v9
	v_sub_f32_e32 v14, v14, v34
	v_add_f32_e32 v13, v13, v31
	v_mul_f32_e32 v27, 0x3fb8aa3b, v19
	v_fma_f32 v37, 0x3fb8aa3b, v10, -v16
	v_rndne_f32_e32 v38, v16
	v_fmac_f32_e32 v35, 0x32a5705f, v18
	v_sub_f32_e32 v15, v15, v36
	v_add_f32_e32 v14, v14, v33
	v_exp_f32_e32 v13, v13
	v_mul_f32_e32 v28, 0x3fb8aa3b, v11
	v_fma_f32 v39, 0x3fb8aa3b, v19, -v27
	v_rndne_f32_e32 v40, v27
	v_cvt_i32_f32_e32 v32, v32
	v_fmac_f32_e32 v37, 0x32a5705f, v10
	v_sub_f32_e32 v16, v16, v38
	v_add_f32_e32 v15, v15, v35
	v_exp_f32_e32 v14, v14
	v_mul_f32_e32 v29, 0x3fb8aa3b, v20
	v_fma_f32 v41, 0x3fb8aa3b, v11, -v28
	v_rndne_f32_e32 v42, v28
	v_cvt_i32_f32_e32 v34, v34
	v_fmac_f32_e32 v39, 0x32a5705f, v19
	v_sub_f32_e32 v27, v27, v40
	v_add_f32_e32 v16, v16, v37
	v_exp_f32_e32 v15, v15
	v_ldexp_f32 v13, v13, v32
	v_cmp_ngt_f32_e32 vcc_lo, 0xc2ce8ed0, v17
	v_mul_f32_e32 v30, 0x3fb8aa3b, v12
	v_fma_f32 v45, 0x3fb8aa3b, v20, -v29
	v_rndne_f32_e32 v46, v29
	v_cvt_i32_f32_e32 v36, v36
	v_fmac_f32_e32 v41, 0x32a5705f, v11
	v_sub_f32_e32 v28, v28, v42
	v_add_f32_e32 v27, v27, v39
	v_exp_f32_e32 v16, v16
	v_ldexp_f32 v14, v14, v34
	v_cndmask_b32_e32 v13, 0, v13, vcc_lo
	v_cmp_ngt_f32_e32 vcc_lo, 0xc2ce8ed0, v9
	v_fma_f32 v47, 0x3fb8aa3b, v12, -v30
	v_rndne_f32_e32 v48, v30
	v_cvt_i32_f32_e32 v38, v38
	v_fmac_f32_e32 v45, 0x32a5705f, v20
	v_sub_f32_e32 v29, v29, v46
	v_add_f32_e32 v28, v28, v41
	v_exp_f32_e32 v27, v27
	v_ldexp_f32 v15, v15, v36
	v_cndmask_b32_e32 v14, 0, v14, vcc_lo
	v_cmp_ngt_f32_e32 vcc_lo, 0xc2ce8ed0, v18
	v_cvt_i32_f32_e32 v40, v40
	v_fmac_f32_e32 v47, 0x32a5705f, v12
	v_sub_f32_e32 v30, v30, v48
	v_add_f32_e32 v29, v29, v45
	v_exp_f32_e32 v28, v28
	v_ldexp_f32 v16, v16, v38
	v_cndmask_b32_e32 v15, 0, v15, vcc_lo
	v_cmp_ngt_f32_e32 vcc_lo, 0xc2ce8ed0, v10
	v_cvt_i32_f32_e32 v42, v42
	v_add_f32_e32 v30, v30, v47
	v_exp_f32_e32 v29, v29
	v_ldexp_f32 v27, v27, v40
	v_cndmask_b32_e32 v16, 0, v16, vcc_lo
	v_cmp_ngt_f32_e32 vcc_lo, 0xc2ce8ed0, v19
	v_exp_f32_e32 v30, v30
	v_cvt_i32_f32_e32 v31, v46
	v_ldexp_f32 v28, v28, v42
	v_cvt_i32_f32_e32 v33, v48
	v_cndmask_b32_e32 v27, 0, v27, vcc_lo
	v_cmp_ngt_f32_e32 vcc_lo, 0xc2ce8ed0, v11
	v_ldexp_f32 v29, v29, v31
	v_cndmask_b32_e32 v28, 0, v28, vcc_lo
	v_cmp_ngt_f32_e32 vcc_lo, 0xc2ce8ed0, v20
	v_ldexp_f32 v30, v30, v33
	v_cndmask_b32_e32 v29, 0, v29, vcc_lo
	v_cmp_ngt_f32_e32 vcc_lo, 0xc2ce8ed0, v12
	v_cndmask_b32_e32 v30, 0, v30, vcc_lo
	v_cmp_nlt_f32_e32 vcc_lo, 0x42b17218, v17
	v_cndmask_b32_e32 v13, 0x7f800000, v13, vcc_lo
	v_cmp_nlt_f32_e32 vcc_lo, 0x42b17218, v9
	;; [unrolled: 2-line block ×3, first 2 shown]
	v_fmac_f32_e32 v9, v5, v13
	v_cndmask_b32_e32 v14, 0x7f800000, v15, vcc_lo
	v_cmp_nlt_f32_e32 vcc_lo, 0x42b17218, v10
	v_cvt_f16_f32_e32 v5, v13
	v_cndmask_b32_e32 v10, 0x7f800000, v16, vcc_lo
	v_cmp_nlt_f32_e32 vcc_lo, 0x42b17218, v19
	v_fmac_f32_e32 v10, v6, v14
	v_cndmask_b32_e32 v15, 0x7f800000, v27, vcc_lo
	v_cmp_nlt_f32_e32 vcc_lo, 0x42b17218, v11
	v_cvt_f16_f32_e32 v6, v14
	v_cndmask_b32_e32 v11, 0x7f800000, v28, vcc_lo
	v_cmp_nlt_f32_e32 vcc_lo, 0x42b17218, v20
	v_mul_u32_u24_sdwa v14, v6, v26 dst_sel:DWORD dst_unused:UNUSED_PAD src0_sel:WORD_0 src1_sel:DWORD
	v_mov_b32_e32 v6, v10
	v_fmac_f32_e32 v11, v7, v15
	v_cndmask_b32_e32 v16, 0x7f800000, v29, vcc_lo
	v_cmp_nlt_f32_e32 vcc_lo, 0x42b17218, v12
	v_cvt_f16_f32_e32 v7, v15
	v_pk_mul_f16 v64, v64, v14
	v_pk_mul_f16 v65, v65, v14
	v_cvt_f16_f32_e32 v13, v16
	v_cndmask_b32_e32 v12, 0x7f800000, v30, vcc_lo
	v_mul_u32_u24_sdwa v15, v7, v26 dst_sel:DWORD dst_unused:UNUSED_PAD src0_sel:WORD_0 src1_sel:DWORD
	v_mov_b32_e32 v7, v11
	v_mul_u32_u24_sdwa v13, v13, v26 dst_sel:DWORD dst_unused:UNUSED_PAD src0_sel:WORD_0 src1_sel:DWORD
	v_fmac_f32_e32 v12, v8, v16
	v_mul_u32_u24_sdwa v8, v5, v26 dst_sel:DWORD dst_unused:UNUSED_PAD src0_sel:WORD_0 src1_sel:DWORD
	v_mov_b32_e32 v5, v9
	v_pk_mul_f16 v23, v23, v15
	v_pk_mul_f16 v24, v24, v15
	;; [unrolled: 1-line block ×6, first 2 shown]
	v_mov_b32_e32 v8, v12
	s_mov_b32 s0, exec_lo
	v_cmpx_gt_i32_e64 s2, v25
	s_cbranch_execnz .LBB72_80
.LBB72_78:
	s_endpgm
.LBB72_79:
	v_mov_b32_e32 v12, v8
	v_mov_b32_e32 v11, v7
	;; [unrolled: 1-line block ×4, first 2 shown]
	s_mov_b32 s0, exec_lo
	v_cmpx_gt_i32_e64 s2, v25
	s_cbranch_execz .LBB72_78
.LBB72_80:
	s_load_dword s1, s[4:5], 0xd4
	v_mov_b32_e32 v15, 1.0
	s_waitcnt lgkmcnt(0)
	s_cmp_lg_u32 s1, 1
	s_cselect_b32 s5, -1, 0
	s_cmp_eq_u32 s1, 1
	s_cselect_b32 s4, -1, 0
	s_and_b32 vcc_lo, exec_lo, s5
	s_cbranch_vccnz .LBB72_82
; %bb.81:
	v_div_scale_f32 v13, null, v5, v5, 1.0
	v_rcp_f32_e32 v14, v13
	v_fma_f32 v15, -v13, v14, 1.0
	v_fmac_f32_e32 v14, v15, v14
	v_div_scale_f32 v15, vcc_lo, 1.0, v5, 1.0
	v_mul_f32_e32 v16, v15, v14
	v_fma_f32 v17, -v13, v16, v15
	v_fmac_f32_e32 v16, v17, v14
	v_fma_f32 v13, -v13, v16, v15
	v_div_fmas_f32 v13, v13, v14, v16
	v_div_fixup_f32 v15, v13, v5, 1.0
.LBB72_82:
	v_mad_u64_u32 v[13:14], null, s7, s2, v[25:26]
	v_mov_b32_e32 v17, 0
	v_cmp_eq_u32_e32 vcc_lo, 0, v0
	v_cvt_f32_f16_e32 v0, v66
	v_cvt_f32_f16_sdwa v19, v67 dst_sel:DWORD dst_unused:UNUSED_PAD src0_sel:WORD_1
	v_mul_lo_u32 v5, v13, s3
	v_mul_f32_e32 v19, v15, v19
	v_add3_u32 v5, s29, v44, v5
	v_mad_u64_u32 v[13:14], null, s1, v5, s[28:29]
	v_cvt_f32_f16_e32 v14, v67
	v_cvt_f32_f16_sdwa v5, v66 dst_sel:DWORD dst_unused:UNUSED_PAD src0_sel:WORD_1
	v_mul_f32_e32 v18, v15, v14
	v_lshl_add_u32 v16, v13, 7, v43
	v_lshlrev_b64 v[25:26], 2, v[16:17]
	v_mul_f32_e32 v16, v15, v0
	v_mul_f32_e32 v17, v15, v5
	v_add_co_u32 v14, s0, s20, v25
	v_add_co_ci_u32_e64 v15, null, s21, v26, s0
	s_and_b32 s0, vcc_lo, s5
	global_store_dwordx4 v[14:15], v[16:19], off
	s_and_saveexec_b32 s2, s0
	s_cbranch_execz .LBB72_84
; %bb.83:
	v_ashrrev_i32_e32 v14, 31, v13
	v_mov_b32_e32 v0, v1
	v_mov_b32_e32 v1, v9
	v_lshlrev_b64 v[14:15], 3, v[13:14]
	v_add_co_u32 v14, vcc_lo, s22, v14
	v_add_co_ci_u32_e64 v15, null, s23, v15, vcc_lo
	global_store_dwordx2 v[14:15], v[0:1], off
.LBB72_84:
	s_or_b32 exec_lo, exec_lo, s2
	v_cndmask_b32_e64 v5, 0, 1, s4
	v_mov_b32_e32 v1, 1.0
	s_andn2_b32 vcc_lo, exec_lo, s4
	s_cbranch_vccnz .LBB72_86
; %bb.85:
	v_div_scale_f32 v0, null, v6, v6, 1.0
	v_rcp_f32_e32 v1, v0
	v_fma_f32 v9, -v0, v1, 1.0
	v_fmac_f32_e32 v1, v9, v1
	v_div_scale_f32 v9, vcc_lo, 1.0, v6, 1.0
	v_mul_f32_e32 v14, v9, v1
	v_fma_f32 v15, -v0, v14, v9
	v_fmac_f32_e32 v14, v15, v1
	v_fma_f32 v0, -v0, v14, v9
	v_div_fmas_f32 v0, v0, v1, v14
	v_div_fixup_f32 v1, v0, v6, 1.0
.LBB72_86:
	v_add_nc_u32_e32 v0, s1, v13
	v_mov_b32_e32 v14, 0
	v_cvt_f32_f16_e32 v6, v64
	v_cvt_f32_f16_sdwa v9, v64 dst_sel:DWORD dst_unused:UNUSED_PAD src0_sel:WORD_1
	v_cvt_f32_f16_e32 v15, v65
	v_lshl_add_u32 v13, v0, 7, v43
	v_cvt_f32_f16_sdwa v16, v65 dst_sel:DWORD dst_unused:UNUSED_PAD src0_sel:WORD_1
	v_mul_f32_e32 v15, v1, v15
	v_lshlrev_b64 v[17:18], 2, v[13:14]
	v_mul_f32_e32 v13, v1, v6
	v_mul_f32_e32 v14, v1, v9
	;; [unrolled: 1-line block ×3, first 2 shown]
	v_add_co_u32 v17, vcc_lo, s20, v17
	v_add_co_ci_u32_e64 v18, null, s21, v18, vcc_lo
	global_store_dwordx4 v[17:18], v[13:16], off
	s_and_saveexec_b32 s2, s0
	s_cbranch_execz .LBB72_88
; %bb.87:
	v_ashrrev_i32_e32 v1, 31, v0
	v_mov_b32_e32 v9, v2
	v_lshlrev_b64 v[13:14], 3, v[0:1]
	v_add_co_u32 v13, vcc_lo, s22, v13
	v_add_co_ci_u32_e64 v14, null, s23, v14, vcc_lo
	global_store_dwordx2 v[13:14], v[9:10], off
.LBB72_88:
	s_or_b32 exec_lo, exec_lo, s2
	v_cmp_ne_u32_e32 vcc_lo, 1, v5
	v_mov_b32_e32 v1, 1.0
	s_cbranch_vccnz .LBB72_90
; %bb.89:
	v_div_scale_f32 v1, null, v7, v7, 1.0
	v_rcp_f32_e32 v2, v1
	v_fma_f32 v6, -v1, v2, 1.0
	v_fmac_f32_e32 v2, v6, v2
	v_div_scale_f32 v6, vcc_lo, 1.0, v7, 1.0
	v_mul_f32_e32 v9, v6, v2
	v_fma_f32 v10, -v1, v9, v6
	v_fmac_f32_e32 v9, v10, v2
	v_fma_f32 v1, -v1, v9, v6
	v_div_fmas_f32 v1, v1, v2, v9
	v_div_fixup_f32 v1, v1, v7, 1.0
.LBB72_90:
	v_add_nc_u32_e32 v0, s1, v0
	v_mov_b32_e32 v7, 0
	v_cvt_f32_f16_e32 v2, v23
	v_cvt_f32_f16_sdwa v9, v23 dst_sel:DWORD dst_unused:UNUSED_PAD src0_sel:WORD_1
	v_cvt_f32_f16_e32 v10, v24
	v_lshl_add_u32 v6, v0, 7, v43
	v_cvt_f32_f16_sdwa v16, v24 dst_sel:DWORD dst_unused:UNUSED_PAD src0_sel:WORD_1
	v_mul_f32_e32 v13, v1, v2
	v_mul_f32_e32 v14, v1, v9
	;; [unrolled: 1-line block ×3, first 2 shown]
	v_lshlrev_b64 v[6:7], 2, v[6:7]
	v_mul_f32_e32 v16, v1, v16
	v_add_co_u32 v1, vcc_lo, s20, v6
	v_add_co_ci_u32_e64 v2, null, s21, v7, vcc_lo
	global_store_dwordx4 v[1:2], v[13:16], off
	s_and_saveexec_b32 s2, s0
	s_cbranch_execz .LBB72_92
; %bb.91:
	v_ashrrev_i32_e32 v1, 31, v0
	v_mov_b32_e32 v10, v3
	v_lshlrev_b64 v[1:2], 3, v[0:1]
	v_add_co_u32 v1, vcc_lo, s22, v1
	v_add_co_ci_u32_e64 v2, null, s23, v2, vcc_lo
	global_store_dwordx2 v[1:2], v[10:11], off
.LBB72_92:
	s_or_b32 exec_lo, exec_lo, s2
	v_cmp_ne_u32_e32 vcc_lo, 1, v5
	v_mov_b32_e32 v1, 1.0
	s_cbranch_vccnz .LBB72_94
; %bb.93:
	v_div_scale_f32 v1, null, v8, v8, 1.0
	v_rcp_f32_e32 v2, v1
	v_fma_f32 v3, -v1, v2, 1.0
	v_fmac_f32_e32 v2, v3, v2
	v_div_scale_f32 v3, vcc_lo, 1.0, v8, 1.0
	v_mul_f32_e32 v5, v3, v2
	v_fma_f32 v6, -v1, v5, v3
	v_fmac_f32_e32 v5, v6, v2
	v_fma_f32 v1, -v1, v5, v3
	v_div_fmas_f32 v1, v1, v2, v5
	v_div_fixup_f32 v1, v1, v8, 1.0
.LBB72_94:
	v_add_nc_u32_e32 v0, s1, v0
	v_mov_b32_e32 v3, 0
	v_cvt_f32_f16_e32 v5, v22
	v_cvt_f32_f16_sdwa v6, v22 dst_sel:DWORD dst_unused:UNUSED_PAD src0_sel:WORD_1
	v_cvt_f32_f16_e32 v7, v21
	v_lshl_add_u32 v2, v0, 7, v43
	v_cvt_f32_f16_sdwa v8, v21 dst_sel:DWORD dst_unused:UNUSED_PAD src0_sel:WORD_1
	v_mul_f32_e32 v5, v1, v5
	v_mul_f32_e32 v6, v1, v6
	;; [unrolled: 1-line block ×3, first 2 shown]
	v_lshlrev_b64 v[2:3], 2, v[2:3]
	v_mul_f32_e32 v8, v1, v8
	v_add_co_u32 v1, vcc_lo, s20, v2
	v_add_co_ci_u32_e64 v2, null, s21, v3, vcc_lo
	global_store_dwordx4 v[1:2], v[5:8], off
	s_and_b32 exec_lo, exec_lo, s0
	s_cbranch_execz .LBB72_78
; %bb.95:
	v_ashrrev_i32_e32 v1, 31, v0
	v_mov_b32_e32 v11, v4
	v_lshlrev_b64 v[0:1], 3, v[0:1]
	v_add_co_u32 v0, vcc_lo, s22, v0
	v_add_co_ci_u32_e64 v1, null, s23, v1, vcc_lo
	global_store_dwordx2 v[0:1], v[11:12], off
	s_endpgm
	.section	.rodata,"a",@progbits
	.p2align	6, 0x0
	.amdhsa_kernel _ZL15flash_attn_tileILi128ELi128ELi4ELi8ELb1EEvPKcS1_S1_S1_S1_PKiPfP15HIP_vector_typeIfLj2EEffffjfiS5_IjLj3EEiiiiiiiiiiiliiliiiiil
		.amdhsa_group_segment_fixed_size 34816
		.amdhsa_private_segment_fixed_size 0
		.amdhsa_kernarg_size 464
		.amdhsa_user_sgpr_count 6
		.amdhsa_user_sgpr_private_segment_buffer 1
		.amdhsa_user_sgpr_dispatch_ptr 0
		.amdhsa_user_sgpr_queue_ptr 0
		.amdhsa_user_sgpr_kernarg_segment_ptr 1
		.amdhsa_user_sgpr_dispatch_id 0
		.amdhsa_user_sgpr_flat_scratch_init 0
		.amdhsa_user_sgpr_private_segment_size 0
		.amdhsa_wavefront_size32 1
		.amdhsa_uses_dynamic_stack 0
		.amdhsa_system_sgpr_private_segment_wavefront_offset 0
		.amdhsa_system_sgpr_workgroup_id_x 1
		.amdhsa_system_sgpr_workgroup_id_y 1
		.amdhsa_system_sgpr_workgroup_id_z 1
		.amdhsa_system_sgpr_workgroup_info 0
		.amdhsa_system_vgpr_workitem_id 1
		.amdhsa_next_free_vgpr 202
		.amdhsa_next_free_sgpr 40
		.amdhsa_reserve_vcc 1
		.amdhsa_reserve_flat_scratch 0
		.amdhsa_float_round_mode_32 0
		.amdhsa_float_round_mode_16_64 0
		.amdhsa_float_denorm_mode_32 3
		.amdhsa_float_denorm_mode_16_64 3
		.amdhsa_dx10_clamp 1
		.amdhsa_ieee_mode 1
		.amdhsa_fp16_overflow 0
		.amdhsa_workgroup_processor_mode 1
		.amdhsa_memory_ordered 1
		.amdhsa_forward_progress 1
		.amdhsa_shared_vgpr_count 0
		.amdhsa_exception_fp_ieee_invalid_op 0
		.amdhsa_exception_fp_denorm_src 0
		.amdhsa_exception_fp_ieee_div_zero 0
		.amdhsa_exception_fp_ieee_overflow 0
		.amdhsa_exception_fp_ieee_underflow 0
		.amdhsa_exception_fp_ieee_inexact 0
		.amdhsa_exception_int_div_zero 0
	.end_amdhsa_kernel
	.section	.text._ZL15flash_attn_tileILi128ELi128ELi4ELi8ELb1EEvPKcS1_S1_S1_S1_PKiPfP15HIP_vector_typeIfLj2EEffffjfiS5_IjLj3EEiiiiiiiiiiiliiliiiiil,"axG",@progbits,_ZL15flash_attn_tileILi128ELi128ELi4ELi8ELb1EEvPKcS1_S1_S1_S1_PKiPfP15HIP_vector_typeIfLj2EEffffjfiS5_IjLj3EEiiiiiiiiiiiliiliiiiil,comdat
.Lfunc_end72:
	.size	_ZL15flash_attn_tileILi128ELi128ELi4ELi8ELb1EEvPKcS1_S1_S1_S1_PKiPfP15HIP_vector_typeIfLj2EEffffjfiS5_IjLj3EEiiiiiiiiiiiliiliiiiil, .Lfunc_end72-_ZL15flash_attn_tileILi128ELi128ELi4ELi8ELb1EEvPKcS1_S1_S1_S1_PKiPfP15HIP_vector_typeIfLj2EEffffjfiS5_IjLj3EEiiiiiiiiiiiliiliiiiil
                                        ; -- End function
	.set _ZL15flash_attn_tileILi128ELi128ELi4ELi8ELb1EEvPKcS1_S1_S1_S1_PKiPfP15HIP_vector_typeIfLj2EEffffjfiS5_IjLj3EEiiiiiiiiiiiliiliiiiil.num_vgpr, 202
	.set _ZL15flash_attn_tileILi128ELi128ELi4ELi8ELb1EEvPKcS1_S1_S1_S1_PKiPfP15HIP_vector_typeIfLj2EEffffjfiS5_IjLj3EEiiiiiiiiiiiliiliiiiil.num_agpr, 0
	.set _ZL15flash_attn_tileILi128ELi128ELi4ELi8ELb1EEvPKcS1_S1_S1_S1_PKiPfP15HIP_vector_typeIfLj2EEffffjfiS5_IjLj3EEiiiiiiiiiiiliiliiiiil.numbered_sgpr, 40
	.set _ZL15flash_attn_tileILi128ELi128ELi4ELi8ELb1EEvPKcS1_S1_S1_S1_PKiPfP15HIP_vector_typeIfLj2EEffffjfiS5_IjLj3EEiiiiiiiiiiiliiliiiiil.num_named_barrier, 0
	.set _ZL15flash_attn_tileILi128ELi128ELi4ELi8ELb1EEvPKcS1_S1_S1_S1_PKiPfP15HIP_vector_typeIfLj2EEffffjfiS5_IjLj3EEiiiiiiiiiiiliiliiiiil.private_seg_size, 0
	.set _ZL15flash_attn_tileILi128ELi128ELi4ELi8ELb1EEvPKcS1_S1_S1_S1_PKiPfP15HIP_vector_typeIfLj2EEffffjfiS5_IjLj3EEiiiiiiiiiiiliiliiiiil.uses_vcc, 1
	.set _ZL15flash_attn_tileILi128ELi128ELi4ELi8ELb1EEvPKcS1_S1_S1_S1_PKiPfP15HIP_vector_typeIfLj2EEffffjfiS5_IjLj3EEiiiiiiiiiiiliiliiiiil.uses_flat_scratch, 0
	.set _ZL15flash_attn_tileILi128ELi128ELi4ELi8ELb1EEvPKcS1_S1_S1_S1_PKiPfP15HIP_vector_typeIfLj2EEffffjfiS5_IjLj3EEiiiiiiiiiiiliiliiiiil.has_dyn_sized_stack, 0
	.set _ZL15flash_attn_tileILi128ELi128ELi4ELi8ELb1EEvPKcS1_S1_S1_S1_PKiPfP15HIP_vector_typeIfLj2EEffffjfiS5_IjLj3EEiiiiiiiiiiiliiliiiiil.has_recursion, 0
	.set _ZL15flash_attn_tileILi128ELi128ELi4ELi8ELb1EEvPKcS1_S1_S1_S1_PKiPfP15HIP_vector_typeIfLj2EEffffjfiS5_IjLj3EEiiiiiiiiiiiliiliiiiil.has_indirect_call, 0
	.section	.AMDGPU.csdata,"",@progbits
; Kernel info:
; codeLenInByte = 47572
; TotalNumSgprs: 42
; NumVgprs: 202
; ScratchSize: 0
; MemoryBound: 0
; FloatMode: 240
; IeeeMode: 1
; LDSByteSize: 34816 bytes/workgroup (compile time only)
; SGPRBlocks: 0
; VGPRBlocks: 25
; NumSGPRsForWavesPerEU: 42
; NumVGPRsForWavesPerEU: 202
; Occupancy: 4
; WaveLimiterHint : 1
; COMPUTE_PGM_RSRC2:SCRATCH_EN: 0
; COMPUTE_PGM_RSRC2:USER_SGPR: 6
; COMPUTE_PGM_RSRC2:TRAP_HANDLER: 0
; COMPUTE_PGM_RSRC2:TGID_X_EN: 1
; COMPUTE_PGM_RSRC2:TGID_Y_EN: 1
; COMPUTE_PGM_RSRC2:TGID_Z_EN: 1
; COMPUTE_PGM_RSRC2:TIDIG_COMP_CNT: 1
	.section	.text._ZL15flash_attn_tileILi128ELi128ELi2ELi8ELb1EEvPKcS1_S1_S1_S1_PKiPfP15HIP_vector_typeIfLj2EEffffjfiS5_IjLj3EEiiiiiiiiiiiliiliiiiil,"axG",@progbits,_ZL15flash_attn_tileILi128ELi128ELi2ELi8ELb1EEvPKcS1_S1_S1_S1_PKiPfP15HIP_vector_typeIfLj2EEffffjfiS5_IjLj3EEiiiiiiiiiiiliiliiiiil,comdat
	.globl	_ZL15flash_attn_tileILi128ELi128ELi2ELi8ELb1EEvPKcS1_S1_S1_S1_PKiPfP15HIP_vector_typeIfLj2EEffffjfiS5_IjLj3EEiiiiiiiiiiiliiliiiiil ; -- Begin function _ZL15flash_attn_tileILi128ELi128ELi2ELi8ELb1EEvPKcS1_S1_S1_S1_PKiPfP15HIP_vector_typeIfLj2EEffffjfiS5_IjLj3EEiiiiiiiiiiiliiliiiiil
	.p2align	8
	.type	_ZL15flash_attn_tileILi128ELi128ELi2ELi8ELb1EEvPKcS1_S1_S1_S1_PKiPfP15HIP_vector_typeIfLj2EEffffjfiS5_IjLj3EEiiiiiiiiiiiliiliiiiil,@function
_ZL15flash_attn_tileILi128ELi128ELi2ELi8ELb1EEvPKcS1_S1_S1_S1_PKiPfP15HIP_vector_typeIfLj2EEffffjfiS5_IjLj3EEiiiiiiiiiiiliiliiiiil: ; @_ZL15flash_attn_tileILi128ELi128ELi2ELi8ELb1EEvPKcS1_S1_S1_S1_PKiPfP15HIP_vector_typeIfLj2EEffffjfiS5_IjLj3EEiiiiiiiiiiiliiliiiiil
; %bb.0:
	s_clause 0x1
	s_load_dwordx4 s[0:3], s[4:5], 0x5c
	s_load_dwordx2 s[30:31], s[4:5], 0x80
	s_mov_b32 s28, s7
	s_mov_b64 s[34:35], 0
	s_waitcnt lgkmcnt(0)
	s_ashr_i32 s7, s3, 31
	s_lshr_b32 s7, s7, 29
	s_add_i32 s7, s3, s7
	s_ashr_i32 s7, s7, 3
	v_cvt_f32_u32_e32 v2, s7
	s_sub_i32 s10, 0, s7
	v_rcp_iflag_f32_e32 v2, v2
	v_mul_f32_e32 v2, 0x4f7ffffe, v2
	v_cvt_u32_f32_e32 v2, v2
	v_readfirstlane_b32 s9, v2
	s_mul_i32 s10, s10, s9
	s_mul_hi_u32 s10, s9, s10
	s_add_i32 s9, s9, s10
	s_mul_hi_u32 s9, s8, s9
	s_mul_i32 s10, s9, s7
	s_add_i32 s11, s9, 1
	s_sub_i32 s10, s8, s10
	s_sub_i32 s12, s10, s7
	s_cmp_ge_u32 s10, s7
	s_cselect_b32 s9, s11, s9
	s_cselect_b32 s10, s12, s10
	s_add_i32 s11, s9, 1
	s_cmp_ge_u32 s10, s7
	s_cselect_b32 s7, s11, s9
	s_abs_i32 s9, s31
	s_lshl_b32 s8, s8, 3
	v_cvt_f32_u32_e32 v2, s9
	s_sub_i32 s11, 0, s9
	s_mul_i32 s12, s7, s3
	s_abs_i32 s13, s3
	s_sub_i32 s29, s8, s12
	v_rcp_iflag_f32_e32 v2, v2
	v_mul_f32_e32 v2, 0x4f7ffffe, v2
	v_cvt_u32_f32_e32 v2, v2
	v_readfirstlane_b32 s10, v2
	s_mul_i32 s11, s11, s10
	s_mul_hi_u32 s11, s10, s11
	s_add_i32 s10, s10, s11
	s_mul_hi_u32 s8, s13, s10
	s_xor_b32 s10, s3, s31
	s_mul_i32 s11, s8, s9
	s_ashr_i32 s10, s10, 31
	s_sub_i32 s11, s13, s11
	s_add_i32 s12, s8, 1
	s_sub_i32 s13, s11, s9
	s_cmp_ge_u32 s11, s9
	s_cselect_b32 s8, s12, s8
	s_cselect_b32 s11, s13, s11
	s_add_i32 s12, s8, 1
	s_cmp_ge_u32 s11, s9
	s_cselect_b32 s8, s12, s8
	s_xor_b32 s8, s8, s10
	s_sub_i32 s33, s8, s10
	s_clause 0x1
	s_load_dwordx16 s[8:23], s[4:5], 0x0
	s_load_dwordx2 s[36:37], s[4:5], 0xb8
	s_abs_i32 s31, s33
	v_cvt_f32_u32_e32 v2, s31
	v_rcp_iflag_f32_e32 v2, v2
	v_mul_f32_e32 v2, 0x4f7ffffe, v2
	s_waitcnt lgkmcnt(0)
	s_cmp_eq_u64 s[14:15], 0
	v_cvt_u32_f32_e32 v2, v2
	v_readfirstlane_b32 s38, v2
	s_cbranch_scc1 .LBB73_2
; %bb.1:
	s_abs_i32 s26, s36
	s_abs_i32 s27, s7
	v_cvt_f32_u32_e32 v2, s26
	s_sub_i32 s25, 0, s26
	v_rcp_iflag_f32_e32 v2, v2
	v_mul_f32_e32 v2, 0x4f7ffffe, v2
	v_cvt_u32_f32_e32 v2, v2
	v_readfirstlane_b32 s24, v2
	s_mul_i32 s25, s25, s24
	s_mul_hi_u32 s25, s24, s25
	s_add_i32 s24, s24, s25
	s_mul_hi_u32 s34, s27, s24
	s_load_dwordx2 s[24:25], s[4:5], 0xc8
	s_mul_i32 s34, s34, s26
	s_sub_i32 s27, s27, s34
	s_ashr_i32 s34, s7, 31
	s_sub_i32 s35, s27, s26
	s_cmp_ge_u32 s27, s26
	s_cselect_b32 s27, s35, s27
	s_sub_i32 s35, s27, s26
	s_cmp_ge_u32 s27, s26
	s_cselect_b32 s26, s35, s27
	s_xor_b32 s26, s26, s34
	s_sub_i32 s26, s26, s34
	s_ashr_i32 s27, s26, 31
	s_waitcnt lgkmcnt(0)
	s_mul_hi_u32 s34, s24, s26
	s_mul_i32 s27, s24, s27
	s_mul_i32 s25, s25, s26
	s_add_i32 s27, s34, s27
	s_mul_i32 s24, s24, s26
	s_add_i32 s27, s27, s25
	s_add_u32 s34, s14, s24
	s_addc_u32 s35, s15, s27
.LBB73_2:
	v_lshrrev_b32_e32 v2, 2, v1
	s_load_dwordx4 s[24:27], s[4:5], 0x70
	v_lshlrev_b32_e32 v3, 1, v1
	v_lshlrev_b32_e32 v71, 3, v0
	;; [unrolled: 1-line block ×3, first 2 shown]
	v_lshl_add_u32 v33, s6, 1, v2
	v_and_b32_e32 v69, 6, v3
	v_or_b32_e32 v13, 1, v3
	v_mul_hi_u32 v2, s0, v33
	v_and_b32_e32 v14, 7, v13
	v_add_nc_u32_e32 v2, v33, v2
	s_waitcnt lgkmcnt(0)
	s_mul_i32 s14, s29, s25
	s_mov_b32 s0, s25
	v_lshrrev_b32_e32 v2, s1, v2
	s_mul_i32 s1, s7, s26
	s_ashr_i32 s15, s1, 31
	s_add_u32 s1, s8, s1
	v_mul_lo_u32 v2, v2, s2
	s_addc_u32 s8, s9, s15
	s_ashr_i32 s9, s14, 31
	s_add_u32 s14, s1, s14
	s_addc_u32 s15, s8, s9
	s_ashr_i32 s1, s25, 31
	s_ashr_i32 s25, s24, 31
	s_lshr_b64 s[8:9], s[24:25], 2
	v_sub_nc_u32_e32 v2, v33, v2
	v_mad_u64_u32 v[4:5], null, s8, v2, 0
	s_lshr_b64 s[8:9], s[0:1], 2
	s_lshr_b32 s0, s25, 2
	v_mad_u64_u32 v[6:7], null, s8, v69, 0
	v_mad_u64_u32 v[8:9], null, s8, v14, 0
	;; [unrolled: 1-line block ×3, first 2 shown]
	v_mov_b32_e32 v5, v7
	s_lshr_b32 s0, s1, 2
	v_mov_b32_e32 v7, v9
	s_cmp_eq_u64 s[18:19], 0
	v_mad_u64_u32 v[11:12], null, s0, v69, v[5:6]
	v_mov_b32_e32 v5, v10
	v_mad_u64_u32 v[9:10], null, s0, v14, v[7:8]
	v_lshlrev_b32_e32 v10, 4, v0
	s_load_dword s0, s[4:5], 0x40
	v_lshlrev_b64 v[4:5], 2, v[4:5]
	v_mov_b32_e32 v7, v11
	v_add_co_u32 v11, vcc_lo, s14, v4
	v_add_co_ci_u32_e64 v12, null, s15, v5, vcc_lo
	v_lshlrev_b64 v[4:5], 2, v[6:7]
	v_add_co_u32 v10, vcc_lo, v11, v10
	v_lshlrev_b64 v[6:7], 2, v[8:9]
	v_add_co_ci_u32_e64 v11, null, 0, v12, vcc_lo
	v_add_co_u32 v4, vcc_lo, v10, v4
	v_or_b32_e32 v12, 0x9800, v71
	v_add_co_ci_u32_e64 v5, null, v11, v5, vcc_lo
	v_add_co_u32 v8, vcc_lo, v10, v6
	v_add_co_ci_u32_e64 v9, null, v11, v7, vcc_lo
	s_clause 0x1
	global_load_dwordx4 v[4:7], v[4:5], off
	global_load_dwordx4 v[8:11], v[8:9], off
	v_add_nc_u32_e32 v14, v12, v1
	s_waitcnt vmcnt(1) lgkmcnt(0)
	v_fma_mixlo_f16 v4, s0, v4, 0
	v_fma_mixlo_f16 v5, s0, v5, 0
	s_waitcnt vmcnt(0)
	v_fma_mixlo_f16 v8, s0, v8, 0
	v_fma_mixlo_f16 v9, s0, v9, 0
	;; [unrolled: 1-line block ×4, first 2 shown]
	v_lshlrev_b32_e32 v5, 16, v5
	v_and_b32_e32 v4, 0xffff, v4
	v_fma_mixlo_f16 v10, s0, v10, 0
	v_fma_mixlo_f16 v11, s0, v11, 0
	v_lshlrev_b32_e32 v9, 16, v9
	v_and_b32_e32 v8, 0xffff, v8
	v_lshlrev_b32_e32 v7, 16, v7
	v_and_b32_e32 v6, 0xffff, v6
	v_or_b32_e32 v4, v5, v4
	v_lshlrev_b32_e32 v11, 16, v11
	v_and_b32_e32 v10, 0xffff, v10
	v_or_b32_e32 v8, v9, v8
	v_or3_b32 v5, v7, v6, 0
	v_or3_b32 v4, 0, 0, v4
	v_lshl_add_u32 v9, v13, 8, v12
	v_or3_b32 v7, v11, v10, 0
	v_or3_b32 v6, 0, 0, v8
	ds_write_b64 v14, v[4:5]
	ds_write_b64 v9, v[6:7]
	s_waitcnt lgkmcnt(0)
	s_barrier
	buffer_gl0_inv
	s_cbranch_scc1 .LBB73_4
; %bb.3:
	s_load_dword s0, s[4:5], 0xd0
	s_mov_b32 s1, 0
	s_waitcnt lgkmcnt(0)
	s_mul_i32 s0, s0, s7
	s_add_i32 s0, s0, s6
	s_lshl_b64 s[0:1], s[0:1], 2
	s_add_u32 s0, s18, s0
	s_addc_u32 s1, s19, s1
	s_load_dword s30, s[0:1], 0x0
.LBB73_4:
	v_mbcnt_lo_u32_b32 v72, -1, 0
	s_lshl_b32 s6, s28, 7
	s_waitcnt lgkmcnt(0)
	s_cmp_lt_i32 s6, s30
	s_cbranch_scc1 .LBB73_7
; %bb.5:
	v_mbcnt_lo_u32_b32 v4, -1, 0
	v_mov_b32_e32 v73, 32
	v_xor_b32_e32 v107, 16, v4
	v_xor_b32_e32 v103, 8, v4
	v_xor_b32_e32 v104, 4, v4
	v_xor_b32_e32 v105, 2, v4
	v_xor_b32_e32 v106, 1, v4
	v_lshlrev_b32_e32 v70, 2, v0
	s_cbranch_execz .LBB73_8
; %bb.6:
	v_mov_b32_e32 v98, 0
	v_mov_b32_e32 v2, 0
	;; [unrolled: 1-line block ×8, first 2 shown]
	s_branch .LBB73_44
.LBB73_7:
                                        ; implicit-def: $vgpr4
                                        ; implicit-def: $vgpr73
                                        ; implicit-def: $vgpr107
                                        ; implicit-def: $vgpr103
                                        ; implicit-def: $vgpr104
                                        ; implicit-def: $vgpr105
                                        ; implicit-def: $vgpr106
	v_lshlrev_b32_e32 v70, 2, v0
.LBB73_8:
	s_clause 0x1
	s_load_dwordx4 s[24:27], s[4:5], 0x98
	s_load_dwordx2 s[0:1], s[4:5], 0x8c
	s_sub_i32 s8, 0, s31
	s_abs_i32 s18, s29
	s_mul_i32 s8, s8, s38
	s_ashr_i32 s36, s37, 1
	s_mul_hi_u32 s8, s38, s8
	s_ashr_i32 s19, s29, 31
	s_add_i32 s38, s38, s8
	s_ashr_i32 s33, s33, 31
	s_mul_hi_u32 s37, s18, s38
	s_ashr_i32 s38, s7, 31
	s_load_dwordx2 s[14:15], s[4:5], 0xa8
	s_mul_i32 s39, s37, s31
	v_lshrrev_b32_e32 v4, 4, v0
	v_add_nc_u32_e32 v75, 0x9800, v1
	v_mad_u64_u32 v[34:35], null, v2, s36, v[0:1]
	v_add_nc_u32_e32 v85, 0x8800, v1
	v_add_nc_u32_e32 v12, v4, v3
	s_waitcnt lgkmcnt(0)
	s_ashr_i32 s8, s26, 2
	s_ashr_i32 s9, s0, 2
	s_mul_hi_u32 s0, s24, s7
	s_mul_i32 s26, s24, s38
	s_mul_i32 s25, s25, s7
	s_add_i32 s0, s0, s26
	s_mul_i32 s24, s24, s7
	s_add_i32 s0, s0, s25
	s_add_u32 s10, s10, s24
	s_addc_u32 s0, s11, s0
	s_sub_i32 s18, s18, s39
	s_xor_b32 s11, s19, s33
	s_add_i32 s19, s37, 1
	s_sub_i32 s24, s18, s31
	s_cmp_ge_u32 s18, s31
	s_mul_i32 s15, s15, s7
	s_cselect_b32 s19, s19, s37
	s_cselect_b32 s18, s24, s18
	s_add_i32 s24, s19, 1
	s_cmp_ge_u32 s18, s31
	v_mul_lo_u32 v3, s9, v12
	s_cselect_b32 s18, s24, s19
	s_mul_hi_u32 s19, s14, s7
	s_xor_b32 s18, s18, s11
	s_mul_i32 s24, s14, s38
	s_sub_i32 s18, s18, s11
	v_mul_lo_u32 v11, s8, v12
	s_mul_i32 s1, s18, s1
	s_mul_i32 s14, s14, s7
	s_ashr_i32 s11, s1, 31
	s_add_u32 s10, s10, s1
	s_addc_u32 s11, s0, s11
	s_add_i32 s0, s19, s24
	s_mul_i32 s18, s18, s27
	s_add_i32 s0, s0, s15
	s_add_u32 s1, s12, s14
	s_addc_u32 s0, s13, s0
	s_ashr_i32 s13, s18, 31
	s_add_u32 s12, s1, s18
	s_addc_u32 s13, s0, s13
	s_lshl_b32 s0, s9, 4
	s_lshl_b32 s1, s8, 4
	v_add_nc_u32_e32 v5, s0, v3
	v_add_nc_u32_e32 v15, s1, v11
	v_and_b32_e32 v37, 60, v70
	s_load_dword s14, s[4:5], 0x54
	v_ashrrev_i32_e32 v4, 31, v3
	v_add_nc_u32_e32 v7, s0, v5
	v_add_nc_u32_e32 v19, s1, v15
	v_lshlrev_b32_e32 v16, 2, v37
	v_ashrrev_i32_e32 v6, 31, v5
	v_lshlrev_b64 v[35:36], 2, v[3:4]
	v_add_nc_u32_e32 v9, s0, v7
	v_add_nc_u32_e32 v23, s1, v19
	v_mad_u32_u24 v74, 0x110, v12, v16
	v_ashrrev_i32_e32 v8, 31, v7
	v_lshl_or_b32 v84, v12, 8, v16
	v_add_nc_u32_e32 v13, s0, v9
	v_add_nc_u32_e32 v27, s1, v23
	v_ashrrev_i32_e32 v10, 31, v9
	v_ashrrev_i32_e32 v12, 31, v11
	v_ashrrev_i32_e32 v16, 31, v15
	v_add_nc_u32_e32 v17, s0, v13
	v_add_nc_u32_e32 v1, s1, v27
	v_ashrrev_i32_e32 v14, 31, v13
	v_ashrrev_i32_e32 v20, 31, v19
	v_ashrrev_i32_e32 v24, 31, v23
	;; [unrolled: 5-line block ×3, first 2 shown]
	v_add_nc_u32_e32 v25, s0, v21
	v_add_nc_u32_e32 v31, s1, v29
	v_ashrrev_i32_e32 v22, 31, v21
	v_ashrrev_i32_e32 v30, 31, v29
	v_lshlrev_b32_e32 v93, 2, v37
	v_ashrrev_i32_e32 v26, 31, v25
	v_ashrrev_i32_e32 v32, 31, v31
	v_lshlrev_b64 v[37:38], 2, v[5:6]
	v_lshlrev_b64 v[39:40], 2, v[7:8]
	;; [unrolled: 1-line block ×15, first 2 shown]
	v_mov_b32_e32 v99, 0
	v_mul_u32_u24_e32 v76, 0x110, v0
	v_add_nc_u32_e32 v77, 0x1100, v74
	v_add_nc_u32_e32 v78, 0x2200, v74
	;; [unrolled: 1-line block ×14, first 2 shown]
	v_mov_b32_e32 v102, 0xfeffffff
	v_mov_b32_e32 v73, 32
	;; [unrolled: 1-line block ×9, first 2 shown]
	s_add_u32 s0, s4, 0xd0
	s_addc_u32 s1, s5, 0
	s_mov_b32 s15, 0xbbbac73d
.LBB73_9:                               ; =>This Inner Loop Header: Depth=1
	s_mul_hi_i32 s19, s6, s9
	s_mul_i32 s18, s6, s9
	v_mov_b32_e32 v67, 0
	s_lshl_b64 s[18:19], s[18:19], 2
	v_mov_b32_e32 v68, 0
	s_add_u32 s18, s10, s18
	s_addc_u32 s19, s11, s19
	v_add_co_u32 v1, vcc_lo, s18, v35
	v_add_co_ci_u32_e64 v2, null, s19, v36, vcc_lo
	v_add_co_u32 v3, vcc_lo, s18, v37
	v_add_co_ci_u32_e64 v4, null, s19, v38, vcc_lo
	;; [unrolled: 2-line block ×16, first 2 shown]
	s_clause 0x7
	global_load_dwordx4 v[1:4], v[1:2], off
	global_load_dwordx4 v[5:8], v[5:6], off
	;; [unrolled: 1-line block ×8, first 2 shown]
	v_mov_b32_e32 v108, 0
	v_mov_b32_e32 v109, 0
	s_waitcnt vmcnt(7)
	ds_write_b128 v74, v[1:4]
	s_waitcnt vmcnt(6)
	ds_write_b128 v77, v[5:8]
	;; [unrolled: 2-line block ×8, first 2 shown]
	s_waitcnt lgkmcnt(0)
	s_barrier
	buffer_gl0_inv
	ds_read_b128 v[7:10], v76
	ds_read_b128 v[11:14], v75
	ds_read_b128 v[15:18], v75 offset:256
	ds_read_b128 v[19:22], v76 offset:8704
	v_mov_b32_e32 v3, 0
	ds_read_b128 v[23:26], v76 offset:17408
	ds_read_b128 v[27:30], v76 offset:26112
	s_waitcnt lgkmcnt(4)
	;;#ASMSTART
	v_dot2_f32_f16 v3, v7, v11, v3
	;;#ASMEND
	;;#ASMSTART
	v_dot2_f32_f16 v3, v8, v12, v3
	;;#ASMEND
	;; [unrolled: 3-line block ×4, first 2 shown]
	s_waitcnt lgkmcnt(3)
	;;#ASMSTART
	v_dot2_f32_f16 v67, v7, v15, v67
	;;#ASMEND
	;;#ASMSTART
	v_dot2_f32_f16 v67, v8, v16, v67
	;;#ASMEND
	v_mov_b32_e32 v4, 0
	;;#ASMSTART
	v_dot2_f32_f16 v67, v9, v17, v67
	;;#ASMEND
	;;#ASMSTART
	v_dot2_f32_f16 v67, v10, v18, v67
	;;#ASMEND
	s_waitcnt lgkmcnt(2)
	;;#ASMSTART
	v_dot2_f32_f16 v4, v19, v11, v4
	;;#ASMEND
	;;#ASMSTART
	v_dot2_f32_f16 v4, v20, v12, v4
	;;#ASMEND
	;;#ASMSTART
	v_dot2_f32_f16 v4, v21, v13, v4
	;;#ASMEND
	;;#ASMSTART
	v_dot2_f32_f16 v4, v22, v14, v4
	;;#ASMEND
	;;#ASMSTART
	v_dot2_f32_f16 v68, v19, v15, v68
	;;#ASMEND
	;;#ASMSTART
	v_dot2_f32_f16 v68, v20, v16, v68
	;;#ASMEND
	v_mov_b32_e32 v5, 0
	;;#ASMSTART
	v_dot2_f32_f16 v68, v21, v17, v68
	;;#ASMEND
	;;#ASMSTART
	v_dot2_f32_f16 v68, v22, v18, v68
	;;#ASMEND
	s_waitcnt lgkmcnt(1)
	;;#ASMSTART
	v_dot2_f32_f16 v5, v23, v11, v5
	;;#ASMEND
	;;#ASMSTART
	v_dot2_f32_f16 v5, v24, v12, v5
	;;#ASMEND
	;;#ASMSTART
	v_dot2_f32_f16 v5, v25, v13, v5
	;;#ASMEND
	;;#ASMSTART
	v_dot2_f32_f16 v5, v26, v14, v5
	;;#ASMEND
	;; [unrolled: 26-line block ×3, first 2 shown]
	;;#ASMSTART
	v_dot2_f32_f16 v109, v27, v15, v109
	;;#ASMEND
	;;#ASMSTART
	v_dot2_f32_f16 v109, v28, v16, v109
	;;#ASMEND
	;; [unrolled: 3-line block ×4, first 2 shown]
	ds_read_b128 v[7:10], v76 offset:16
	ds_read_b128 v[11:14], v75 offset:16
	;; [unrolled: 1-line block ×6, first 2 shown]
	s_waitcnt lgkmcnt(4)
	;;#ASMSTART
	v_dot2_f32_f16 v3, v7, v11, v3
	;;#ASMEND
	;;#ASMSTART
	v_dot2_f32_f16 v3, v8, v12, v3
	;;#ASMEND
	;;#ASMSTART
	v_dot2_f32_f16 v3, v9, v13, v3
	;;#ASMEND
	;;#ASMSTART
	v_dot2_f32_f16 v3, v10, v14, v3
	;;#ASMEND
	s_waitcnt lgkmcnt(3)
	;;#ASMSTART
	v_dot2_f32_f16 v67, v7, v15, v67
	;;#ASMEND
	;;#ASMSTART
	v_dot2_f32_f16 v67, v8, v16, v67
	;;#ASMEND
	;;#ASMSTART
	v_dot2_f32_f16 v67, v9, v17, v67
	;;#ASMEND
	;;#ASMSTART
	v_dot2_f32_f16 v67, v10, v18, v67
	;;#ASMEND
	;; [unrolled: 13-line block ×3, first 2 shown]
	;;#ASMSTART
	v_dot2_f32_f16 v68, v19, v15, v68
	;;#ASMEND
	;;#ASMSTART
	v_dot2_f32_f16 v68, v20, v16, v68
	;;#ASMEND
	;; [unrolled: 3-line block ×4, first 2 shown]
	s_waitcnt lgkmcnt(1)
	;;#ASMSTART
	v_dot2_f32_f16 v5, v23, v11, v5
	;;#ASMEND
	;;#ASMSTART
	v_dot2_f32_f16 v5, v24, v12, v5
	;;#ASMEND
	;; [unrolled: 3-line block ×8, first 2 shown]
	s_waitcnt lgkmcnt(0)
	;;#ASMSTART
	v_dot2_f32_f16 v6, v27, v11, v6
	;;#ASMEND
	;;#ASMSTART
	v_dot2_f32_f16 v6, v28, v12, v6
	;;#ASMEND
	;; [unrolled: 3-line block ×8, first 2 shown]
	ds_read_b128 v[7:10], v76 offset:32
	ds_read_b128 v[11:14], v75 offset:32
	;; [unrolled: 1-line block ×6, first 2 shown]
	s_waitcnt lgkmcnt(4)
	;;#ASMSTART
	v_dot2_f32_f16 v3, v7, v11, v3
	;;#ASMEND
	;;#ASMSTART
	v_dot2_f32_f16 v3, v8, v12, v3
	;;#ASMEND
	;;#ASMSTART
	v_dot2_f32_f16 v3, v9, v13, v3
	;;#ASMEND
	;;#ASMSTART
	v_dot2_f32_f16 v3, v10, v14, v3
	;;#ASMEND
	s_waitcnt lgkmcnt(3)
	;;#ASMSTART
	v_dot2_f32_f16 v67, v7, v15, v67
	;;#ASMEND
	;;#ASMSTART
	v_dot2_f32_f16 v67, v8, v16, v67
	;;#ASMEND
	;;#ASMSTART
	v_dot2_f32_f16 v67, v9, v17, v67
	;;#ASMEND
	;;#ASMSTART
	v_dot2_f32_f16 v67, v10, v18, v67
	;;#ASMEND
	;; [unrolled: 13-line block ×3, first 2 shown]
	;;#ASMSTART
	v_dot2_f32_f16 v68, v19, v15, v68
	;;#ASMEND
	;;#ASMSTART
	v_dot2_f32_f16 v68, v20, v16, v68
	;;#ASMEND
	;; [unrolled: 3-line block ×4, first 2 shown]
	s_waitcnt lgkmcnt(1)
	;;#ASMSTART
	v_dot2_f32_f16 v5, v23, v11, v5
	;;#ASMEND
	;;#ASMSTART
	v_dot2_f32_f16 v5, v24, v12, v5
	;;#ASMEND
	;; [unrolled: 3-line block ×8, first 2 shown]
	s_waitcnt lgkmcnt(0)
	;;#ASMSTART
	v_dot2_f32_f16 v6, v27, v11, v6
	;;#ASMEND
	;;#ASMSTART
	v_dot2_f32_f16 v6, v28, v12, v6
	;;#ASMEND
	;; [unrolled: 3-line block ×8, first 2 shown]
	ds_read_b128 v[7:10], v76 offset:48
	ds_read_b128 v[11:14], v75 offset:48
	;; [unrolled: 1-line block ×6, first 2 shown]
	s_waitcnt lgkmcnt(4)
	;;#ASMSTART
	v_dot2_f32_f16 v3, v7, v11, v3
	;;#ASMEND
	;;#ASMSTART
	v_dot2_f32_f16 v3, v8, v12, v3
	;;#ASMEND
	;;#ASMSTART
	v_dot2_f32_f16 v3, v9, v13, v3
	;;#ASMEND
	;;#ASMSTART
	v_dot2_f32_f16 v3, v10, v14, v3
	;;#ASMEND
	s_waitcnt lgkmcnt(3)
	;;#ASMSTART
	v_dot2_f32_f16 v67, v7, v15, v67
	;;#ASMEND
	;;#ASMSTART
	v_dot2_f32_f16 v67, v8, v16, v67
	;;#ASMEND
	;;#ASMSTART
	v_dot2_f32_f16 v67, v9, v17, v67
	;;#ASMEND
	;;#ASMSTART
	v_dot2_f32_f16 v67, v10, v18, v67
	;;#ASMEND
	;; [unrolled: 13-line block ×3, first 2 shown]
	;;#ASMSTART
	v_dot2_f32_f16 v68, v19, v15, v68
	;;#ASMEND
	;;#ASMSTART
	v_dot2_f32_f16 v68, v20, v16, v68
	;;#ASMEND
	;; [unrolled: 3-line block ×4, first 2 shown]
	s_waitcnt lgkmcnt(1)
	;;#ASMSTART
	v_dot2_f32_f16 v5, v23, v11, v5
	;;#ASMEND
	;;#ASMSTART
	v_dot2_f32_f16 v5, v24, v12, v5
	;;#ASMEND
	;;#ASMSTART
	v_dot2_f32_f16 v5, v25, v13, v5
	;;#ASMEND
	;;#ASMSTART
	v_dot2_f32_f16 v5, v26, v14, v5
	;;#ASMEND
	;;#ASMSTART
	v_dot2_f32_f16 v108, v23, v15, v108
	;;#ASMEND
	;;#ASMSTART
	v_dot2_f32_f16 v108, v24, v16, v108
	;;#ASMEND
	;;#ASMSTART
	v_dot2_f32_f16 v108, v25, v17, v108
	;;#ASMEND
	;;#ASMSTART
	v_dot2_f32_f16 v108, v26, v18, v108
	;;#ASMEND
	s_waitcnt lgkmcnt(0)
	;;#ASMSTART
	v_dot2_f32_f16 v6, v27, v11, v6
	;;#ASMEND
	;;#ASMSTART
	v_dot2_f32_f16 v6, v28, v12, v6
	;;#ASMEND
	;; [unrolled: 3-line block ×8, first 2 shown]
	ds_read_b128 v[7:10], v76 offset:64
	ds_read_b128 v[11:14], v75 offset:64
	;; [unrolled: 1-line block ×6, first 2 shown]
	s_waitcnt lgkmcnt(4)
	;;#ASMSTART
	v_dot2_f32_f16 v3, v7, v11, v3
	;;#ASMEND
	;;#ASMSTART
	v_dot2_f32_f16 v3, v8, v12, v3
	;;#ASMEND
	;;#ASMSTART
	v_dot2_f32_f16 v3, v9, v13, v3
	;;#ASMEND
	;;#ASMSTART
	v_dot2_f32_f16 v3, v10, v14, v3
	;;#ASMEND
	s_waitcnt lgkmcnt(3)
	;;#ASMSTART
	v_dot2_f32_f16 v67, v7, v15, v67
	;;#ASMEND
	;;#ASMSTART
	v_dot2_f32_f16 v67, v8, v16, v67
	;;#ASMEND
	;;#ASMSTART
	v_dot2_f32_f16 v67, v9, v17, v67
	;;#ASMEND
	;;#ASMSTART
	v_dot2_f32_f16 v67, v10, v18, v67
	;;#ASMEND
	;; [unrolled: 13-line block ×3, first 2 shown]
	;;#ASMSTART
	v_dot2_f32_f16 v68, v19, v15, v68
	;;#ASMEND
	;;#ASMSTART
	v_dot2_f32_f16 v68, v20, v16, v68
	;;#ASMEND
	;; [unrolled: 3-line block ×4, first 2 shown]
	s_waitcnt lgkmcnt(1)
	;;#ASMSTART
	v_dot2_f32_f16 v5, v23, v11, v5
	;;#ASMEND
	;;#ASMSTART
	v_dot2_f32_f16 v5, v24, v12, v5
	;;#ASMEND
	;; [unrolled: 3-line block ×8, first 2 shown]
	s_waitcnt lgkmcnt(0)
	;;#ASMSTART
	v_dot2_f32_f16 v6, v27, v11, v6
	;;#ASMEND
	;;#ASMSTART
	v_dot2_f32_f16 v6, v28, v12, v6
	;;#ASMEND
	;; [unrolled: 3-line block ×8, first 2 shown]
	ds_read_b128 v[7:10], v76 offset:80
	ds_read_b128 v[11:14], v75 offset:80
	;; [unrolled: 1-line block ×6, first 2 shown]
	s_waitcnt lgkmcnt(4)
	;;#ASMSTART
	v_dot2_f32_f16 v3, v7, v11, v3
	;;#ASMEND
	;;#ASMSTART
	v_dot2_f32_f16 v3, v8, v12, v3
	;;#ASMEND
	;;#ASMSTART
	v_dot2_f32_f16 v3, v9, v13, v3
	;;#ASMEND
	;;#ASMSTART
	v_dot2_f32_f16 v3, v10, v14, v3
	;;#ASMEND
	s_waitcnt lgkmcnt(3)
	;;#ASMSTART
	v_dot2_f32_f16 v67, v7, v15, v67
	;;#ASMEND
	;;#ASMSTART
	v_dot2_f32_f16 v67, v8, v16, v67
	;;#ASMEND
	;;#ASMSTART
	v_dot2_f32_f16 v67, v9, v17, v67
	;;#ASMEND
	;;#ASMSTART
	v_dot2_f32_f16 v67, v10, v18, v67
	;;#ASMEND
	;; [unrolled: 13-line block ×3, first 2 shown]
	;;#ASMSTART
	v_dot2_f32_f16 v68, v19, v15, v68
	;;#ASMEND
	;;#ASMSTART
	v_dot2_f32_f16 v68, v20, v16, v68
	;;#ASMEND
	;; [unrolled: 3-line block ×4, first 2 shown]
	s_waitcnt lgkmcnt(1)
	;;#ASMSTART
	v_dot2_f32_f16 v5, v23, v11, v5
	;;#ASMEND
	;;#ASMSTART
	v_dot2_f32_f16 v5, v24, v12, v5
	;;#ASMEND
	;; [unrolled: 3-line block ×8, first 2 shown]
	s_waitcnt lgkmcnt(0)
	;;#ASMSTART
	v_dot2_f32_f16 v6, v27, v11, v6
	;;#ASMEND
	;;#ASMSTART
	v_dot2_f32_f16 v6, v28, v12, v6
	;;#ASMEND
	;; [unrolled: 3-line block ×8, first 2 shown]
	ds_read_b128 v[7:10], v76 offset:96
	ds_read_b128 v[11:14], v75 offset:96
	;; [unrolled: 1-line block ×6, first 2 shown]
	s_waitcnt lgkmcnt(4)
	;;#ASMSTART
	v_dot2_f32_f16 v3, v7, v11, v3
	;;#ASMEND
	;;#ASMSTART
	v_dot2_f32_f16 v3, v8, v12, v3
	;;#ASMEND
	;;#ASMSTART
	v_dot2_f32_f16 v3, v9, v13, v3
	;;#ASMEND
	;;#ASMSTART
	v_dot2_f32_f16 v3, v10, v14, v3
	;;#ASMEND
	s_waitcnt lgkmcnt(3)
	;;#ASMSTART
	v_dot2_f32_f16 v67, v7, v15, v67
	;;#ASMEND
	;;#ASMSTART
	v_dot2_f32_f16 v67, v8, v16, v67
	;;#ASMEND
	;;#ASMSTART
	v_dot2_f32_f16 v67, v9, v17, v67
	;;#ASMEND
	;;#ASMSTART
	v_dot2_f32_f16 v67, v10, v18, v67
	;;#ASMEND
	;; [unrolled: 13-line block ×3, first 2 shown]
	;;#ASMSTART
	v_dot2_f32_f16 v68, v19, v15, v68
	;;#ASMEND
	;;#ASMSTART
	v_dot2_f32_f16 v68, v20, v16, v68
	;;#ASMEND
	;; [unrolled: 3-line block ×4, first 2 shown]
	s_waitcnt lgkmcnt(1)
	;;#ASMSTART
	v_dot2_f32_f16 v5, v23, v11, v5
	;;#ASMEND
	;;#ASMSTART
	v_dot2_f32_f16 v5, v24, v12, v5
	;;#ASMEND
	;; [unrolled: 3-line block ×8, first 2 shown]
	s_waitcnt lgkmcnt(0)
	;;#ASMSTART
	v_dot2_f32_f16 v6, v27, v11, v6
	;;#ASMEND
	;;#ASMSTART
	v_dot2_f32_f16 v6, v28, v12, v6
	;;#ASMEND
	;; [unrolled: 3-line block ×8, first 2 shown]
	ds_read_b128 v[7:10], v76 offset:112
	ds_read_b128 v[11:14], v75 offset:112
	;; [unrolled: 1-line block ×6, first 2 shown]
	s_waitcnt lgkmcnt(4)
	;;#ASMSTART
	v_dot2_f32_f16 v3, v7, v11, v3
	;;#ASMEND
	;;#ASMSTART
	v_dot2_f32_f16 v3, v8, v12, v3
	;;#ASMEND
	;;#ASMSTART
	v_dot2_f32_f16 v3, v9, v13, v3
	;;#ASMEND
	;;#ASMSTART
	v_dot2_f32_f16 v3, v10, v14, v3
	;;#ASMEND
	s_waitcnt lgkmcnt(3)
	;;#ASMSTART
	v_dot2_f32_f16 v67, v7, v15, v67
	;;#ASMEND
	;;#ASMSTART
	v_dot2_f32_f16 v67, v8, v16, v67
	;;#ASMEND
	;;#ASMSTART
	v_dot2_f32_f16 v67, v9, v17, v67
	;;#ASMEND
	;;#ASMSTART
	v_dot2_f32_f16 v67, v10, v18, v67
	;;#ASMEND
	;; [unrolled: 13-line block ×3, first 2 shown]
	;;#ASMSTART
	v_dot2_f32_f16 v68, v19, v15, v68
	;;#ASMEND
	;;#ASMSTART
	v_dot2_f32_f16 v68, v20, v16, v68
	;;#ASMEND
	;; [unrolled: 3-line block ×4, first 2 shown]
	s_waitcnt lgkmcnt(1)
	;;#ASMSTART
	v_dot2_f32_f16 v5, v23, v11, v5
	;;#ASMEND
	;;#ASMSTART
	v_dot2_f32_f16 v5, v24, v12, v5
	;;#ASMEND
	;; [unrolled: 3-line block ×8, first 2 shown]
	s_waitcnt lgkmcnt(0)
	;;#ASMSTART
	v_dot2_f32_f16 v6, v27, v11, v6
	;;#ASMEND
	;;#ASMSTART
	v_dot2_f32_f16 v6, v28, v12, v6
	;;#ASMEND
	;; [unrolled: 3-line block ×8, first 2 shown]
	ds_read_b128 v[7:10], v76 offset:128
	ds_read_b128 v[11:14], v75 offset:128
	;; [unrolled: 1-line block ×6, first 2 shown]
	s_waitcnt lgkmcnt(4)
	;;#ASMSTART
	v_dot2_f32_f16 v3, v7, v11, v3
	;;#ASMEND
	;;#ASMSTART
	v_dot2_f32_f16 v3, v8, v12, v3
	;;#ASMEND
	;;#ASMSTART
	v_dot2_f32_f16 v3, v9, v13, v3
	;;#ASMEND
	;;#ASMSTART
	v_dot2_f32_f16 v3, v10, v14, v3
	;;#ASMEND
	s_waitcnt lgkmcnt(3)
	;;#ASMSTART
	v_dot2_f32_f16 v67, v7, v15, v67
	;;#ASMEND
	;;#ASMSTART
	v_dot2_f32_f16 v67, v8, v16, v67
	;;#ASMEND
	;;#ASMSTART
	v_dot2_f32_f16 v67, v9, v17, v67
	;;#ASMEND
	;;#ASMSTART
	v_dot2_f32_f16 v67, v10, v18, v67
	;;#ASMEND
	;; [unrolled: 13-line block ×3, first 2 shown]
	;;#ASMSTART
	v_dot2_f32_f16 v68, v19, v15, v68
	;;#ASMEND
	;;#ASMSTART
	v_dot2_f32_f16 v68, v20, v16, v68
	;;#ASMEND
	;; [unrolled: 3-line block ×4, first 2 shown]
	s_waitcnt lgkmcnt(1)
	;;#ASMSTART
	v_dot2_f32_f16 v5, v23, v11, v5
	;;#ASMEND
	;;#ASMSTART
	v_dot2_f32_f16 v5, v24, v12, v5
	;;#ASMEND
	;; [unrolled: 3-line block ×8, first 2 shown]
	s_waitcnt lgkmcnt(0)
	;;#ASMSTART
	v_dot2_f32_f16 v6, v27, v11, v6
	;;#ASMEND
	;;#ASMSTART
	v_dot2_f32_f16 v6, v28, v12, v6
	;;#ASMEND
	;; [unrolled: 3-line block ×8, first 2 shown]
	ds_read_b128 v[7:10], v76 offset:144
	ds_read_b128 v[11:14], v75 offset:144
	;; [unrolled: 1-line block ×6, first 2 shown]
	s_waitcnt lgkmcnt(4)
	;;#ASMSTART
	v_dot2_f32_f16 v3, v7, v11, v3
	;;#ASMEND
	;;#ASMSTART
	v_dot2_f32_f16 v3, v8, v12, v3
	;;#ASMEND
	;;#ASMSTART
	v_dot2_f32_f16 v3, v9, v13, v3
	;;#ASMEND
	;;#ASMSTART
	v_dot2_f32_f16 v3, v10, v14, v3
	;;#ASMEND
	s_waitcnt lgkmcnt(3)
	;;#ASMSTART
	v_dot2_f32_f16 v67, v7, v15, v67
	;;#ASMEND
	;;#ASMSTART
	v_dot2_f32_f16 v67, v8, v16, v67
	;;#ASMEND
	;;#ASMSTART
	v_dot2_f32_f16 v67, v9, v17, v67
	;;#ASMEND
	;;#ASMSTART
	v_dot2_f32_f16 v67, v10, v18, v67
	;;#ASMEND
	;; [unrolled: 13-line block ×3, first 2 shown]
	;;#ASMSTART
	v_dot2_f32_f16 v68, v19, v15, v68
	;;#ASMEND
	;;#ASMSTART
	v_dot2_f32_f16 v68, v20, v16, v68
	;;#ASMEND
	;; [unrolled: 3-line block ×4, first 2 shown]
	s_waitcnt lgkmcnt(1)
	;;#ASMSTART
	v_dot2_f32_f16 v5, v23, v11, v5
	;;#ASMEND
	;;#ASMSTART
	v_dot2_f32_f16 v5, v24, v12, v5
	;;#ASMEND
	;; [unrolled: 3-line block ×8, first 2 shown]
	s_waitcnt lgkmcnt(0)
	;;#ASMSTART
	v_dot2_f32_f16 v6, v27, v11, v6
	;;#ASMEND
	;;#ASMSTART
	v_dot2_f32_f16 v6, v28, v12, v6
	;;#ASMEND
	;; [unrolled: 3-line block ×8, first 2 shown]
	ds_read_b128 v[7:10], v76 offset:160
	ds_read_b128 v[11:14], v75 offset:160
	;; [unrolled: 1-line block ×6, first 2 shown]
	s_waitcnt lgkmcnt(4)
	;;#ASMSTART
	v_dot2_f32_f16 v3, v7, v11, v3
	;;#ASMEND
	;;#ASMSTART
	v_dot2_f32_f16 v3, v8, v12, v3
	;;#ASMEND
	;;#ASMSTART
	v_dot2_f32_f16 v3, v9, v13, v3
	;;#ASMEND
	;;#ASMSTART
	v_dot2_f32_f16 v3, v10, v14, v3
	;;#ASMEND
	s_waitcnt lgkmcnt(3)
	;;#ASMSTART
	v_dot2_f32_f16 v67, v7, v15, v67
	;;#ASMEND
	;;#ASMSTART
	v_dot2_f32_f16 v67, v8, v16, v67
	;;#ASMEND
	;;#ASMSTART
	v_dot2_f32_f16 v67, v9, v17, v67
	;;#ASMEND
	;;#ASMSTART
	v_dot2_f32_f16 v67, v10, v18, v67
	;;#ASMEND
	;; [unrolled: 13-line block ×3, first 2 shown]
	;;#ASMSTART
	v_dot2_f32_f16 v68, v19, v15, v68
	;;#ASMEND
	;;#ASMSTART
	v_dot2_f32_f16 v68, v20, v16, v68
	;;#ASMEND
	;;#ASMSTART
	v_dot2_f32_f16 v68, v21, v17, v68
	;;#ASMEND
	;;#ASMSTART
	v_dot2_f32_f16 v68, v22, v18, v68
	;;#ASMEND
	s_waitcnt lgkmcnt(1)
	;;#ASMSTART
	v_dot2_f32_f16 v5, v23, v11, v5
	;;#ASMEND
	;;#ASMSTART
	v_dot2_f32_f16 v5, v24, v12, v5
	;;#ASMEND
	;; [unrolled: 3-line block ×8, first 2 shown]
	s_waitcnt lgkmcnt(0)
	;;#ASMSTART
	v_dot2_f32_f16 v6, v27, v11, v6
	;;#ASMEND
	;;#ASMSTART
	v_dot2_f32_f16 v6, v28, v12, v6
	;;#ASMEND
	;; [unrolled: 3-line block ×8, first 2 shown]
	ds_read_b128 v[7:10], v76 offset:176
	ds_read_b128 v[11:14], v75 offset:176
	;; [unrolled: 1-line block ×6, first 2 shown]
	s_waitcnt lgkmcnt(4)
	;;#ASMSTART
	v_dot2_f32_f16 v3, v7, v11, v3
	;;#ASMEND
	;;#ASMSTART
	v_dot2_f32_f16 v3, v8, v12, v3
	;;#ASMEND
	;;#ASMSTART
	v_dot2_f32_f16 v3, v9, v13, v3
	;;#ASMEND
	;;#ASMSTART
	v_dot2_f32_f16 v3, v10, v14, v3
	;;#ASMEND
	s_waitcnt lgkmcnt(3)
	;;#ASMSTART
	v_dot2_f32_f16 v67, v7, v15, v67
	;;#ASMEND
	;;#ASMSTART
	v_dot2_f32_f16 v67, v8, v16, v67
	;;#ASMEND
	;;#ASMSTART
	v_dot2_f32_f16 v67, v9, v17, v67
	;;#ASMEND
	;;#ASMSTART
	v_dot2_f32_f16 v67, v10, v18, v67
	;;#ASMEND
	;; [unrolled: 13-line block ×3, first 2 shown]
	;;#ASMSTART
	v_dot2_f32_f16 v68, v19, v15, v68
	;;#ASMEND
	;;#ASMSTART
	v_dot2_f32_f16 v68, v20, v16, v68
	;;#ASMEND
	;;#ASMSTART
	v_dot2_f32_f16 v68, v21, v17, v68
	;;#ASMEND
	;;#ASMSTART
	v_dot2_f32_f16 v68, v22, v18, v68
	;;#ASMEND
	s_waitcnt lgkmcnt(1)
	;;#ASMSTART
	v_dot2_f32_f16 v5, v23, v11, v5
	;;#ASMEND
	;;#ASMSTART
	v_dot2_f32_f16 v5, v24, v12, v5
	;;#ASMEND
	;; [unrolled: 3-line block ×8, first 2 shown]
	s_waitcnt lgkmcnt(0)
	;;#ASMSTART
	v_dot2_f32_f16 v6, v27, v11, v6
	;;#ASMEND
	;;#ASMSTART
	v_dot2_f32_f16 v6, v28, v12, v6
	;;#ASMEND
	;; [unrolled: 3-line block ×8, first 2 shown]
	ds_read_b128 v[7:10], v76 offset:192
	ds_read_b128 v[11:14], v75 offset:192
	;; [unrolled: 1-line block ×6, first 2 shown]
	s_waitcnt lgkmcnt(4)
	;;#ASMSTART
	v_dot2_f32_f16 v3, v7, v11, v3
	;;#ASMEND
	;;#ASMSTART
	v_dot2_f32_f16 v3, v8, v12, v3
	;;#ASMEND
	;;#ASMSTART
	v_dot2_f32_f16 v3, v9, v13, v3
	;;#ASMEND
	;;#ASMSTART
	v_dot2_f32_f16 v3, v10, v14, v3
	;;#ASMEND
	s_waitcnt lgkmcnt(3)
	;;#ASMSTART
	v_dot2_f32_f16 v67, v7, v15, v67
	;;#ASMEND
	;;#ASMSTART
	v_dot2_f32_f16 v67, v8, v16, v67
	;;#ASMEND
	;;#ASMSTART
	v_dot2_f32_f16 v67, v9, v17, v67
	;;#ASMEND
	;;#ASMSTART
	v_dot2_f32_f16 v67, v10, v18, v67
	;;#ASMEND
	;; [unrolled: 13-line block ×3, first 2 shown]
	;;#ASMSTART
	v_dot2_f32_f16 v68, v19, v15, v68
	;;#ASMEND
	;;#ASMSTART
	v_dot2_f32_f16 v68, v20, v16, v68
	;;#ASMEND
	;; [unrolled: 3-line block ×4, first 2 shown]
	s_waitcnt lgkmcnt(1)
	;;#ASMSTART
	v_dot2_f32_f16 v5, v23, v11, v5
	;;#ASMEND
	;;#ASMSTART
	v_dot2_f32_f16 v5, v24, v12, v5
	;;#ASMEND
	;; [unrolled: 3-line block ×8, first 2 shown]
	s_waitcnt lgkmcnt(0)
	;;#ASMSTART
	v_dot2_f32_f16 v6, v27, v11, v6
	;;#ASMEND
	;;#ASMSTART
	v_dot2_f32_f16 v6, v28, v12, v6
	;;#ASMEND
	;; [unrolled: 3-line block ×8, first 2 shown]
	ds_read_b128 v[7:10], v76 offset:208
	ds_read_b128 v[11:14], v75 offset:208
	;; [unrolled: 1-line block ×6, first 2 shown]
	s_waitcnt lgkmcnt(4)
	;;#ASMSTART
	v_dot2_f32_f16 v3, v7, v11, v3
	;;#ASMEND
	;;#ASMSTART
	v_dot2_f32_f16 v3, v8, v12, v3
	;;#ASMEND
	;;#ASMSTART
	v_dot2_f32_f16 v3, v9, v13, v3
	;;#ASMEND
	;;#ASMSTART
	v_dot2_f32_f16 v3, v10, v14, v3
	;;#ASMEND
	s_waitcnt lgkmcnt(3)
	;;#ASMSTART
	v_dot2_f32_f16 v67, v7, v15, v67
	;;#ASMEND
	;;#ASMSTART
	v_dot2_f32_f16 v67, v8, v16, v67
	;;#ASMEND
	;;#ASMSTART
	v_dot2_f32_f16 v67, v9, v17, v67
	;;#ASMEND
	;;#ASMSTART
	v_dot2_f32_f16 v67, v10, v18, v67
	;;#ASMEND
	;; [unrolled: 13-line block ×3, first 2 shown]
	;;#ASMSTART
	v_dot2_f32_f16 v68, v19, v15, v68
	;;#ASMEND
	;;#ASMSTART
	v_dot2_f32_f16 v68, v20, v16, v68
	;;#ASMEND
	;; [unrolled: 3-line block ×4, first 2 shown]
	s_waitcnt lgkmcnt(1)
	;;#ASMSTART
	v_dot2_f32_f16 v5, v23, v11, v5
	;;#ASMEND
	;;#ASMSTART
	v_dot2_f32_f16 v5, v24, v12, v5
	;;#ASMEND
	;; [unrolled: 3-line block ×8, first 2 shown]
	s_waitcnt lgkmcnt(0)
	;;#ASMSTART
	v_dot2_f32_f16 v6, v27, v11, v6
	;;#ASMEND
	;;#ASMSTART
	v_dot2_f32_f16 v6, v28, v12, v6
	;;#ASMEND
	;;#ASMSTART
	v_dot2_f32_f16 v6, v29, v13, v6
	;;#ASMEND
	;;#ASMSTART
	v_dot2_f32_f16 v6, v30, v14, v6
	;;#ASMEND
	;;#ASMSTART
	v_dot2_f32_f16 v109, v27, v15, v109
	;;#ASMEND
	;;#ASMSTART
	v_dot2_f32_f16 v109, v28, v16, v109
	;;#ASMEND
	;;#ASMSTART
	v_dot2_f32_f16 v109, v29, v17, v109
	;;#ASMEND
	;;#ASMSTART
	v_dot2_f32_f16 v109, v30, v18, v109
	;;#ASMEND
	ds_read_b128 v[7:10], v76 offset:224
	ds_read_b128 v[11:14], v75 offset:224
	;; [unrolled: 1-line block ×6, first 2 shown]
	s_waitcnt lgkmcnt(4)
	;;#ASMSTART
	v_dot2_f32_f16 v3, v7, v11, v3
	;;#ASMEND
	;;#ASMSTART
	v_dot2_f32_f16 v3, v8, v12, v3
	;;#ASMEND
	;;#ASMSTART
	v_dot2_f32_f16 v3, v9, v13, v3
	;;#ASMEND
	;;#ASMSTART
	v_dot2_f32_f16 v3, v10, v14, v3
	;;#ASMEND
	s_waitcnt lgkmcnt(3)
	;;#ASMSTART
	v_dot2_f32_f16 v67, v7, v15, v67
	;;#ASMEND
	;;#ASMSTART
	v_dot2_f32_f16 v67, v8, v16, v67
	;;#ASMEND
	;;#ASMSTART
	v_dot2_f32_f16 v67, v9, v17, v67
	;;#ASMEND
	;;#ASMSTART
	v_dot2_f32_f16 v67, v10, v18, v67
	;;#ASMEND
	;; [unrolled: 13-line block ×3, first 2 shown]
	;;#ASMSTART
	v_dot2_f32_f16 v68, v19, v15, v68
	;;#ASMEND
	;;#ASMSTART
	v_dot2_f32_f16 v68, v20, v16, v68
	;;#ASMEND
	;; [unrolled: 3-line block ×4, first 2 shown]
	s_waitcnt lgkmcnt(1)
	;;#ASMSTART
	v_dot2_f32_f16 v5, v23, v11, v5
	;;#ASMEND
	;;#ASMSTART
	v_dot2_f32_f16 v5, v24, v12, v5
	;;#ASMEND
	;; [unrolled: 3-line block ×8, first 2 shown]
	s_waitcnt lgkmcnt(0)
	;;#ASMSTART
	v_dot2_f32_f16 v6, v27, v11, v6
	;;#ASMEND
	;;#ASMSTART
	v_dot2_f32_f16 v6, v28, v12, v6
	;;#ASMEND
	;; [unrolled: 3-line block ×8, first 2 shown]
	ds_read_b128 v[7:10], v76 offset:240
	ds_read_b128 v[11:14], v75 offset:240
	;; [unrolled: 1-line block ×6, first 2 shown]
	s_waitcnt lgkmcnt(4)
	;;#ASMSTART
	v_dot2_f32_f16 v3, v7, v11, v3
	;;#ASMEND
	;;#ASMSTART
	v_dot2_f32_f16 v3, v8, v12, v3
	;;#ASMEND
	;;#ASMSTART
	v_dot2_f32_f16 v3, v9, v13, v3
	;;#ASMEND
	;;#ASMSTART
	v_dot2_f32_f16 v3, v10, v14, v3
	;;#ASMEND
	s_waitcnt lgkmcnt(3)
	;;#ASMSTART
	v_dot2_f32_f16 v67, v7, v15, v67
	;;#ASMEND
	;;#ASMSTART
	v_dot2_f32_f16 v67, v8, v16, v67
	;;#ASMEND
	;;#ASMSTART
	v_dot2_f32_f16 v67, v9, v17, v67
	;;#ASMEND
	;;#ASMSTART
	v_dot2_f32_f16 v67, v10, v18, v67
	;;#ASMEND
	;; [unrolled: 13-line block ×3, first 2 shown]
	;;#ASMSTART
	v_dot2_f32_f16 v68, v19, v15, v68
	;;#ASMEND
	;;#ASMSTART
	v_dot2_f32_f16 v68, v20, v16, v68
	;;#ASMEND
	;; [unrolled: 3-line block ×4, first 2 shown]
	s_waitcnt lgkmcnt(1)
	;;#ASMSTART
	v_dot2_f32_f16 v5, v23, v11, v5
	;;#ASMEND
	;;#ASMSTART
	v_dot2_f32_f16 v5, v24, v12, v5
	;;#ASMEND
	;; [unrolled: 3-line block ×8, first 2 shown]
	s_waitcnt lgkmcnt(0)
	;;#ASMSTART
	v_dot2_f32_f16 v6, v27, v11, v6
	;;#ASMEND
	v_cmp_ngt_f32_e64 s18, 0x3f200000, |v3|
	;;#ASMSTART
	v_dot2_f32_f16 v6, v28, v12, v6
	;;#ASMEND
	;;#ASMSTART
	v_dot2_f32_f16 v6, v29, v13, v6
	;;#ASMEND
	;; [unrolled: 3-line block ×7, first 2 shown]
                                        ; implicit-def: $vgpr7
	s_and_saveexec_b32 s19, s18
	s_xor_b32 s18, exec_lo, s19
	s_cbranch_execz .LBB73_11
; %bb.10:                               ;   in Loop: Header=BB73_9 Depth=1
	v_add_f32_e64 v1, |v3|, |v3|
	v_mul_f32_e32 v2, 0x3fb8aa3b, v1
	v_cmp_ngt_f32_e32 vcc_lo, 0xc2ce8ed0, v1
	v_rndne_f32_e32 v7, v2
	v_fma_f32 v8, 0x3fb8aa3b, v1, -v2
	v_sub_f32_e32 v2, v2, v7
	v_fmac_f32_e32 v8, 0x32a5705f, v1
	v_cvt_i32_f32_e32 v7, v7
	v_add_f32_e32 v2, v2, v8
	v_exp_f32_e32 v2, v2
	v_ldexp_f32 v2, v2, v7
	v_cndmask_b32_e32 v2, 0, v2, vcc_lo
	v_cmp_nlt_f32_e32 vcc_lo, 0x42b17218, v1
	v_cndmask_b32_e32 v1, 0x7f800000, v2, vcc_lo
	v_add_f32_e32 v1, 1.0, v1
	v_rcp_f32_e32 v1, v1
	v_fma_f32 v7, v1, -2.0, 1.0
.LBB73_11:                              ;   in Loop: Header=BB73_9 Depth=1
	s_andn2_saveexec_b32 s18, s18
	s_cbranch_execz .LBB73_13
; %bb.12:                               ;   in Loop: Header=BB73_9 Depth=1
	v_mul_f32_e32 v1, v3, v3
	v_fmaak_f32 v2, s15, v1, 0x3ca908c9
	v_fmaak_f32 v2, v1, v2, 0xbd5c1c4e
	;; [unrolled: 1-line block ×4, first 2 shown]
	v_mul_f32_e64 v2, |v3|, v2
	v_fma_f32 v7, v1, v2, |v3|
.LBB73_13:                              ;   in Loop: Header=BB73_9 Depth=1
	s_or_b32 exec_lo, exec_lo, s18
	v_add_nc_u32_e32 v1, s6, v34
	v_cmp_ngt_f32_e64 s18, 0x3f200000, |v4|
                                        ; implicit-def: $vgpr8
	v_ashrrev_i32_e32 v2, 31, v1
	v_lshlrev_b64 v[1:2], 1, v[1:2]
	v_add_co_u32 v1, vcc_lo, s34, v1
	v_add_co_ci_u32_e64 v2, null, s35, v2, vcc_lo
	global_load_ushort v116, v[1:2], off
	s_and_saveexec_b32 s19, s18
	s_xor_b32 s18, exec_lo, s19
	s_cbranch_execz .LBB73_15
; %bb.14:                               ;   in Loop: Header=BB73_9 Depth=1
	v_add_f32_e64 v8, |v4|, |v4|
	v_mul_f32_e32 v9, 0x3fb8aa3b, v8
	v_cmp_ngt_f32_e32 vcc_lo, 0xc2ce8ed0, v8
	v_rndne_f32_e32 v10, v9
	v_fma_f32 v11, 0x3fb8aa3b, v8, -v9
	v_sub_f32_e32 v9, v9, v10
	v_fmac_f32_e32 v11, 0x32a5705f, v8
	v_cvt_i32_f32_e32 v10, v10
	v_add_f32_e32 v9, v9, v11
	v_exp_f32_e32 v9, v9
	v_ldexp_f32 v9, v9, v10
	v_cndmask_b32_e32 v9, 0, v9, vcc_lo
	v_cmp_nlt_f32_e32 vcc_lo, 0x42b17218, v8
	v_cndmask_b32_e32 v8, 0x7f800000, v9, vcc_lo
	v_add_f32_e32 v8, 1.0, v8
	v_rcp_f32_e32 v8, v8
	v_fma_f32 v8, v8, -2.0, 1.0
.LBB73_15:                              ;   in Loop: Header=BB73_9 Depth=1
	s_andn2_saveexec_b32 s18, s18
	s_cbranch_execz .LBB73_17
; %bb.16:                               ;   in Loop: Header=BB73_9 Depth=1
	v_mul_f32_e32 v8, v4, v4
	v_fmaak_f32 v9, s15, v8, 0x3ca908c9
	v_fmaak_f32 v9, v8, v9, 0xbd5c1c4e
	;; [unrolled: 1-line block ×4, first 2 shown]
	v_mul_f32_e64 v9, |v4|, v9
	v_fma_f32 v8, v8, v9, |v4|
.LBB73_17:                              ;   in Loop: Header=BB73_9 Depth=1
	s_or_b32 exec_lo, exec_lo, s18
	global_load_ushort v117, v[1:2], off offset:64
	v_cmp_ngt_f32_e64 s18, 0x3f200000, |v5|
                                        ; implicit-def: $vgpr9
	s_and_saveexec_b32 s19, s18
	s_xor_b32 s18, exec_lo, s19
	s_cbranch_execz .LBB73_19
; %bb.18:                               ;   in Loop: Header=BB73_9 Depth=1
	v_add_f32_e64 v9, |v5|, |v5|
	v_mul_f32_e32 v10, 0x3fb8aa3b, v9
	v_cmp_ngt_f32_e32 vcc_lo, 0xc2ce8ed0, v9
	v_rndne_f32_e32 v11, v10
	v_fma_f32 v12, 0x3fb8aa3b, v9, -v10
	v_sub_f32_e32 v10, v10, v11
	v_fmac_f32_e32 v12, 0x32a5705f, v9
	v_cvt_i32_f32_e32 v11, v11
	v_add_f32_e32 v10, v10, v12
	v_exp_f32_e32 v10, v10
	v_ldexp_f32 v10, v10, v11
	v_cndmask_b32_e32 v10, 0, v10, vcc_lo
	v_cmp_nlt_f32_e32 vcc_lo, 0x42b17218, v9
	v_cndmask_b32_e32 v9, 0x7f800000, v10, vcc_lo
	v_add_f32_e32 v9, 1.0, v9
	v_rcp_f32_e32 v9, v9
	v_fma_f32 v9, v9, -2.0, 1.0
.LBB73_19:                              ;   in Loop: Header=BB73_9 Depth=1
	s_andn2_saveexec_b32 s18, s18
	s_cbranch_execz .LBB73_21
; %bb.20:                               ;   in Loop: Header=BB73_9 Depth=1
	v_mul_f32_e32 v9, v5, v5
	v_fmaak_f32 v10, s15, v9, 0x3ca908c9
	v_fmaak_f32 v10, v9, v10, 0xbd5c1c4e
	;; [unrolled: 1-line block ×4, first 2 shown]
	v_mul_f32_e64 v10, |v5|, v10
	v_fma_f32 v9, v9, v10, |v5|
.LBB73_21:                              ;   in Loop: Header=BB73_9 Depth=1
	s_or_b32 exec_lo, exec_lo, s18
	global_load_ushort v118, v[1:2], off offset:128
	v_cmp_ngt_f32_e64 s18, 0x3f200000, |v6|
                                        ; implicit-def: $vgpr10
	s_and_saveexec_b32 s19, s18
	s_xor_b32 s18, exec_lo, s19
	s_cbranch_execz .LBB73_23
; %bb.22:                               ;   in Loop: Header=BB73_9 Depth=1
	v_add_f32_e64 v10, |v6|, |v6|
	v_mul_f32_e32 v11, 0x3fb8aa3b, v10
	v_cmp_ngt_f32_e32 vcc_lo, 0xc2ce8ed0, v10
	v_rndne_f32_e32 v12, v11
	v_fma_f32 v13, 0x3fb8aa3b, v10, -v11
	v_sub_f32_e32 v11, v11, v12
	v_fmac_f32_e32 v13, 0x32a5705f, v10
	v_cvt_i32_f32_e32 v12, v12
	v_add_f32_e32 v11, v11, v13
	v_exp_f32_e32 v11, v11
	v_ldexp_f32 v11, v11, v12
	v_cndmask_b32_e32 v11, 0, v11, vcc_lo
	v_cmp_nlt_f32_e32 vcc_lo, 0x42b17218, v10
	v_cndmask_b32_e32 v10, 0x7f800000, v11, vcc_lo
	v_add_f32_e32 v10, 1.0, v10
	v_rcp_f32_e32 v10, v10
	v_fma_f32 v10, v10, -2.0, 1.0
.LBB73_23:                              ;   in Loop: Header=BB73_9 Depth=1
	s_andn2_saveexec_b32 s18, s18
	s_cbranch_execz .LBB73_25
; %bb.24:                               ;   in Loop: Header=BB73_9 Depth=1
	v_mul_f32_e32 v10, v6, v6
	v_fmaak_f32 v11, s15, v10, 0x3ca908c9
	v_fmaak_f32 v11, v10, v11, 0xbd5c1c4e
	v_fmaak_f32 v11, v10, v11, 0x3e088382
	v_fmaak_f32 v11, v10, v11, 0xbeaaaa99
	v_mul_f32_e64 v11, |v6|, v11
	v_fma_f32 v10, v10, v11, |v6|
.LBB73_25:                              ;   in Loop: Header=BB73_9 Depth=1
	s_or_b32 exec_lo, exec_lo, s18
	global_load_ushort v119, v[1:2], off offset:192
	v_bfi_b32 v1, 0x7fffffff, v7, v3
	v_bfi_b32 v2, 0x7fffffff, v8, v4
	;; [unrolled: 1-line block ×3, first 2 shown]
	v_xor_b32_e32 v107, 16, v72
	v_xor_b32_e32 v103, 8, v72
	s_waitcnt vmcnt(3)
	v_fma_mix_f32 v112, s14, v1, v116 op_sel_hi:[0,0,1]
	s_waitcnt vmcnt(2)
	v_fma_mix_f32 v113, s14, v2, v117 op_sel_hi:[0,0,1]
	v_bfi_b32 v1, 0x7fffffff, v9, v5
	v_cmp_gt_i32_e32 vcc_lo, 32, v107
	v_xor_b32_e32 v104, 4, v72
	v_add_f32_e32 v2, 0x40051340, v112
	v_add_f32_e32 v4, 0x40051340, v113
	s_waitcnt vmcnt(1)
	v_fma_mix_f32 v114, s14, v1, v118 op_sel_hi:[0,0,1]
	v_xor_b32_e32 v105, 2, v72
	v_xor_b32_e32 v106, 1, v72
	v_cmp_ngt_f32_e64 s18, 0x3f200000, |v67|
	v_max3_f32 v1, v102, v2, v4
	v_add_f32_e32 v2, 0x40051340, v114
                                        ; implicit-def: $vgpr125
	s_waitcnt vmcnt(0)
	v_fma_mix_f32 v115, s14, v3, v119 op_sel_hi:[0,0,1]
	v_cndmask_b32_e32 v3, v72, v107, vcc_lo
	v_cmp_gt_i32_e32 vcc_lo, 32, v103
	v_add_f32_e32 v4, 0x40051340, v115
	v_lshlrev_b32_e32 v120, 2, v3
	v_cndmask_b32_e32 v3, v72, v103, vcc_lo
	v_cmp_gt_i32_e32 vcc_lo, 32, v104
	v_max3_f32 v1, v1, v2, v4
	v_lshlrev_b32_e32 v121, 2, v3
	v_cndmask_b32_e32 v3, v72, v104, vcc_lo
	v_cmp_gt_i32_e32 vcc_lo, 32, v105
	ds_bpermute_b32 v2, v120, v1
	v_lshlrev_b32_e32 v122, 2, v3
	v_cndmask_b32_e32 v3, v72, v105, vcc_lo
	v_cmp_gt_i32_e32 vcc_lo, 32, v106
	v_lshlrev_b32_e32 v111, 2, v3
	v_cndmask_b32_e32 v3, v72, v106, vcc_lo
	v_lshlrev_b32_e32 v110, 2, v3
	s_waitcnt lgkmcnt(0)
	v_max_f32_e32 v2, v2, v2
	v_max_f32_e32 v1, v1, v2
	ds_bpermute_b32 v2, v121, v1
	s_waitcnt lgkmcnt(0)
	v_max_f32_e32 v2, v2, v2
	v_max_f32_e32 v1, v1, v2
	ds_bpermute_b32 v2, v122, v1
	;; [unrolled: 4-line block ×4, first 2 shown]
	s_and_saveexec_b32 s19, s18
	s_xor_b32 s18, exec_lo, s19
	s_cbranch_execz .LBB73_27
; %bb.26:                               ;   in Loop: Header=BB73_9 Depth=1
	v_add_f32_e64 v1, |v67|, |v67|
	v_mul_f32_e32 v2, 0x3fb8aa3b, v1
	v_cmp_ngt_f32_e32 vcc_lo, 0xc2ce8ed0, v1
	v_rndne_f32_e32 v3, v2
	v_fma_f32 v4, 0x3fb8aa3b, v1, -v2
	v_sub_f32_e32 v2, v2, v3
	v_fmac_f32_e32 v4, 0x32a5705f, v1
	v_cvt_i32_f32_e32 v3, v3
	v_add_f32_e32 v2, v2, v4
	v_exp_f32_e32 v2, v2
	v_ldexp_f32 v2, v2, v3
	v_cndmask_b32_e32 v2, 0, v2, vcc_lo
	v_cmp_nlt_f32_e32 vcc_lo, 0x42b17218, v1
	v_cndmask_b32_e32 v1, 0x7f800000, v2, vcc_lo
	v_add_f32_e32 v1, 1.0, v1
	v_rcp_f32_e32 v1, v1
	v_fma_f32 v125, v1, -2.0, 1.0
.LBB73_27:                              ;   in Loop: Header=BB73_9 Depth=1
	s_andn2_saveexec_b32 s18, s18
	s_cbranch_execz .LBB73_29
; %bb.28:                               ;   in Loop: Header=BB73_9 Depth=1
	v_mul_f32_e32 v1, v67, v67
	v_fmaak_f32 v2, s15, v1, 0x3ca908c9
	v_fmaak_f32 v2, v1, v2, 0xbd5c1c4e
	;; [unrolled: 1-line block ×4, first 2 shown]
	v_mul_f32_e64 v2, |v67|, v2
	v_fma_f32 v125, v1, v2, |v67|
.LBB73_29:                              ;   in Loop: Header=BB73_9 Depth=1
	s_or_b32 exec_lo, exec_lo, s18
	v_cmp_ngt_f32_e64 s18, 0x3f200000, |v68|
                                        ; implicit-def: $vgpr126
	s_and_saveexec_b32 s19, s18
	s_xor_b32 s18, exec_lo, s19
	s_cbranch_execz .LBB73_31
; %bb.30:                               ;   in Loop: Header=BB73_9 Depth=1
	v_add_f32_e64 v1, |v68|, |v68|
	v_mul_f32_e32 v2, 0x3fb8aa3b, v1
	v_cmp_ngt_f32_e32 vcc_lo, 0xc2ce8ed0, v1
	v_rndne_f32_e32 v3, v2
	v_fma_f32 v4, 0x3fb8aa3b, v1, -v2
	v_sub_f32_e32 v2, v2, v3
	v_fmac_f32_e32 v4, 0x32a5705f, v1
	v_cvt_i32_f32_e32 v3, v3
	v_add_f32_e32 v2, v2, v4
	v_exp_f32_e32 v2, v2
	v_ldexp_f32 v2, v2, v3
	v_cndmask_b32_e32 v2, 0, v2, vcc_lo
	v_cmp_nlt_f32_e32 vcc_lo, 0x42b17218, v1
	v_cndmask_b32_e32 v1, 0x7f800000, v2, vcc_lo
	v_add_f32_e32 v1, 1.0, v1
	v_rcp_f32_e32 v1, v1
	v_fma_f32 v126, v1, -2.0, 1.0
.LBB73_31:                              ;   in Loop: Header=BB73_9 Depth=1
	s_andn2_saveexec_b32 s18, s18
	s_cbranch_execz .LBB73_33
; %bb.32:                               ;   in Loop: Header=BB73_9 Depth=1
	v_mul_f32_e32 v1, v68, v68
	v_fmaak_f32 v2, s15, v1, 0x3ca908c9
	v_fmaak_f32 v2, v1, v2, 0xbd5c1c4e
	;; [unrolled: 1-line block ×4, first 2 shown]
	v_mul_f32_e64 v2, |v68|, v2
	v_fma_f32 v126, v1, v2, |v68|
.LBB73_33:                              ;   in Loop: Header=BB73_9 Depth=1
	s_or_b32 exec_lo, exec_lo, s18
	v_cmp_ngt_f32_e64 s18, 0x3f200000, |v108|
                                        ; implicit-def: $vgpr127
	s_and_saveexec_b32 s19, s18
	s_xor_b32 s18, exec_lo, s19
	s_cbranch_execz .LBB73_35
; %bb.34:                               ;   in Loop: Header=BB73_9 Depth=1
	v_add_f32_e64 v1, |v108|, |v108|
	v_mul_f32_e32 v2, 0x3fb8aa3b, v1
	v_cmp_ngt_f32_e32 vcc_lo, 0xc2ce8ed0, v1
	v_rndne_f32_e32 v3, v2
	v_fma_f32 v4, 0x3fb8aa3b, v1, -v2
	v_sub_f32_e32 v2, v2, v3
	v_fmac_f32_e32 v4, 0x32a5705f, v1
	v_cvt_i32_f32_e32 v3, v3
	v_add_f32_e32 v2, v2, v4
	v_exp_f32_e32 v2, v2
	v_ldexp_f32 v2, v2, v3
	v_cndmask_b32_e32 v2, 0, v2, vcc_lo
	v_cmp_nlt_f32_e32 vcc_lo, 0x42b17218, v1
	v_cndmask_b32_e32 v1, 0x7f800000, v2, vcc_lo
	v_add_f32_e32 v1, 1.0, v1
	v_rcp_f32_e32 v1, v1
	v_fma_f32 v127, v1, -2.0, 1.0
.LBB73_35:                              ;   in Loop: Header=BB73_9 Depth=1
	s_andn2_saveexec_b32 s18, s18
	s_cbranch_execz .LBB73_37
; %bb.36:                               ;   in Loop: Header=BB73_9 Depth=1
	v_mul_f32_e32 v1, v108, v108
	v_fmaak_f32 v2, s15, v1, 0x3ca908c9
	v_fmaak_f32 v2, v1, v2, 0xbd5c1c4e
	;; [unrolled: 1-line block ×4, first 2 shown]
	v_mul_f32_e64 v2, |v108|, v2
	v_fma_f32 v127, v1, v2, |v108|
.LBB73_37:                              ;   in Loop: Header=BB73_9 Depth=1
	s_or_b32 exec_lo, exec_lo, s18
	v_cmp_ngt_f32_e64 s18, 0x3f200000, |v109|
                                        ; implicit-def: $vgpr128
	s_and_saveexec_b32 s19, s18
	s_xor_b32 s18, exec_lo, s19
	s_cbranch_execz .LBB73_39
; %bb.38:                               ;   in Loop: Header=BB73_9 Depth=1
	v_add_f32_e64 v1, |v109|, |v109|
	v_mul_f32_e32 v2, 0x3fb8aa3b, v1
	v_cmp_ngt_f32_e32 vcc_lo, 0xc2ce8ed0, v1
	v_rndne_f32_e32 v3, v2
	v_fma_f32 v4, 0x3fb8aa3b, v1, -v2
	v_sub_f32_e32 v2, v2, v3
	v_fmac_f32_e32 v4, 0x32a5705f, v1
	v_cvt_i32_f32_e32 v3, v3
	v_add_f32_e32 v2, v2, v4
	v_exp_f32_e32 v2, v2
	v_ldexp_f32 v2, v2, v3
	v_cndmask_b32_e32 v2, 0, v2, vcc_lo
	v_cmp_nlt_f32_e32 vcc_lo, 0x42b17218, v1
	v_cndmask_b32_e32 v1, 0x7f800000, v2, vcc_lo
	v_add_f32_e32 v1, 1.0, v1
	v_rcp_f32_e32 v1, v1
	v_fma_f32 v128, v1, -2.0, 1.0
.LBB73_39:                              ;   in Loop: Header=BB73_9 Depth=1
	s_andn2_saveexec_b32 s18, s18
	s_cbranch_execz .LBB73_41
; %bb.40:                               ;   in Loop: Header=BB73_9 Depth=1
	v_mul_f32_e32 v1, v109, v109
	v_fmaak_f32 v2, s15, v1, 0x3ca908c9
	v_fmaak_f32 v2, v1, v2, 0xbd5c1c4e
	;; [unrolled: 1-line block ×4, first 2 shown]
	v_mul_f32_e64 v2, |v109|, v2
	v_fma_f32 v128, v1, v2, |v109|
.LBB73_41:                              ;   in Loop: Header=BB73_9 Depth=1
	s_or_b32 exec_lo, exec_lo, s18
	s_mul_hi_i32 s19, s6, s8
	s_mul_i32 s18, s6, s8
	s_waitcnt lgkmcnt(0)
	s_lshl_b64 s[18:19], s[18:19], 2
	s_barrier
	s_add_u32 s18, s12, s18
	s_addc_u32 s19, s13, s19
	v_add_co_u32 v1, vcc_lo, s18, v51
	v_add_co_ci_u32_e64 v2, null, s19, v52, vcc_lo
	v_add_co_u32 v3, vcc_lo, s18, v53
	v_add_co_ci_u32_e64 v4, null, s19, v54, vcc_lo
	;; [unrolled: 2-line block ×16, first 2 shown]
	buffer_gl0_inv
	s_clause 0x7
	global_load_dwordx4 v[1:4], v[1:2], off
	global_load_dwordx4 v[5:8], v[5:6], off
	;; [unrolled: 1-line block ×8, first 2 shown]
	v_cvt_f32_f16_e32 v116, v116
	v_bfi_b32 v67, 0x7fffffff, v125, v67
	v_cvt_f32_f16_e32 v125, v117
	v_bfi_b32 v68, 0x7fffffff, v126, v68
	v_cvt_f32_f16_e32 v129, v118
	v_cvt_f32_f16_e32 v126, v119
	v_fmac_f32_e32 v116, s14, v67
	v_bfi_b32 v67, 0x7fffffff, v127, v108
	v_bfi_b32 v108, 0x7fffffff, v128, v109
	v_fmac_f32_e32 v125, s14, v68
	v_add_nc_u32_e32 v117, v85, v70
	v_add_f32_e32 v68, 0x40051340, v116
	v_fmac_f32_e32 v129, s14, v67
	v_fmac_f32_e32 v126, s14, v108
	v_add_f32_e32 v67, 0x40051340, v125
	v_add_nc_u32_e32 v182, 0x1800, v71
	v_add_nc_u32_e32 v118, 0x800, v71
	v_add_f32_e32 v108, 0x40051340, v129
	v_add_f32_e32 v109, 0x40051340, v126
	v_max3_f32 v67, v101, v68, v67
	v_max3_f32 v67, v67, v108, v109
	v_max_f32_e32 v108, v124, v124
	ds_bpermute_b32 v68, v120, v67
	v_add_nc_u32_e32 v120, 0x2000, v71
	s_waitcnt lgkmcnt(0)
	v_max_f32_e32 v68, v68, v68
	v_max_f32_e32 v67, v67, v68
	ds_bpermute_b32 v68, v121, v67
	v_add_nc_u32_e32 v121, 0x1000, v71
	s_waitcnt lgkmcnt(0)
	v_max_f32_e32 v68, v68, v68
	v_max_f32_e32 v68, v67, v68
	;; [unrolled: 1-line block ×3, first 2 shown]
	ds_bpermute_b32 v109, v122, v68
	v_max_f32_e32 v67, v67, v108
	v_sub_f32_e32 v108, v112, v67
	v_sub_f32_e32 v112, v113, v67
	;; [unrolled: 1-line block ×5, first 2 shown]
	v_mul_f32_e32 v115, 0x3fb8aa3b, v108
	v_mul_f32_e32 v119, 0x3fb8aa3b, v112
	;; [unrolled: 1-line block ×5, first 2 shown]
	v_fma_f32 v127, 0x3fb8aa3b, v108, -v115
	v_rndne_f32_e32 v128, v115
	v_fma_f32 v130, 0x3fb8aa3b, v112, -v119
	v_rndne_f32_e32 v131, v119
	s_waitcnt lgkmcnt(0)
	v_max_f32_e32 v109, v109, v109
	v_fmac_f32_e32 v127, 0x32a5705f, v108
	v_sub_f32_e32 v115, v115, v128
	v_fma_f32 v132, 0x3fb8aa3b, v113, -v122
	v_rndne_f32_e32 v133, v122
	v_max_f32_e32 v68, v68, v109
	v_fma_f32 v109, 0x3fb8aa3b, v102, -v124
	v_rndne_f32_e32 v136, v124
	v_fmac_f32_e32 v130, 0x32a5705f, v112
	v_sub_f32_e32 v119, v119, v131
	ds_bpermute_b32 v111, v111, v68
	v_add_f32_e32 v115, v115, v127
	v_fma_f32 v134, 0x3fb8aa3b, v114, -v123
	v_rndne_f32_e32 v135, v123
	v_fmac_f32_e32 v132, 0x32a5705f, v113
	v_sub_f32_e32 v122, v122, v133
	v_fmac_f32_e32 v109, 0x32a5705f, v102
	v_sub_f32_e32 v124, v124, v136
	v_add_f32_e32 v119, v119, v130
	v_exp_f32_e32 v115, v115
	v_fmac_f32_e32 v134, 0x32a5705f, v114
	v_sub_f32_e32 v123, v123, v135
	v_cvt_i32_f32_e32 v128, v128
	v_add_f32_e32 v109, v124, v109
	v_add_f32_e32 v122, v122, v132
	v_exp_f32_e32 v119, v119
	v_cvt_i32_f32_e32 v131, v131
	v_add_f32_e32 v123, v123, v134
	v_exp_f32_e32 v109, v109
	v_exp_f32_e32 v122, v122
	s_waitcnt lgkmcnt(0)
	v_max_f32_e32 v111, v111, v111
	v_cmp_ngt_f32_e32 vcc_lo, 0xc2ce8ed0, v108
	v_exp_f32_e32 v123, v123
	v_cvt_i32_f32_e32 v124, v136
	v_cvt_i32_f32_e32 v127, v133
	v_max_f32_e32 v68, v68, v111
	v_ldexp_f32 v111, v115, v128
	v_ldexp_f32 v115, v119, v131
	v_cvt_i32_f32_e32 v130, v135
	v_ldexp_f32 v109, v109, v124
	v_ldexp_f32 v119, v122, v127
	v_cndmask_b32_e32 v111, 0, v111, vcc_lo
	v_cmp_ngt_f32_e32 vcc_lo, 0xc2ce8ed0, v112
	ds_bpermute_b32 v122, v110, v68
	v_ldexp_f32 v110, v123, v130
	v_cndmask_b32_e32 v115, 0, v115, vcc_lo
	v_cmp_ngt_f32_e32 vcc_lo, 0xc2ce8ed0, v102
	v_cndmask_b32_e32 v123, 0, v109, vcc_lo
	v_cmp_ngt_f32_e32 vcc_lo, 0xc2ce8ed0, v113
	;; [unrolled: 2-line block ×3, first 2 shown]
	v_cndmask_b32_e32 v124, 0, v110, vcc_lo
	v_cmp_nlt_f32_e32 vcc_lo, 0x42b17218, v108
	v_cndmask_b32_e32 v109, 0x7f800000, v111, vcc_lo
	v_cmp_nlt_f32_e32 vcc_lo, 0x42b17218, v112
	s_waitcnt lgkmcnt(0)
	v_max_f32_e32 v112, v122, v122
	v_cvt_f16_f32_e32 v122, v109
	v_cndmask_b32_e32 v111, 0x7f800000, v115, vcc_lo
	v_cmp_nlt_f32_e32 vcc_lo, 0x42b17218, v102
	v_max_f32_e32 v68, v68, v112
	v_cndmask_b32_e32 v102, 0x7f800000, v123, vcc_lo
	v_sub_f32_e32 v101, v101, v68
	v_cmp_nlt_f32_e32 vcc_lo, 0x42b17218, v113
	v_sub_f32_e32 v112, v116, v68
	v_sub_f32_e32 v116, v129, v68
	v_cvt_f16_f32_e32 v113, v102
	v_mul_f32_e32 v129, 0x3fb8aa3b, v101
	v_cndmask_b32_e32 v110, 0x7f800000, v119, vcc_lo
	v_cmp_nlt_f32_e32 vcc_lo, 0x42b17218, v114
	v_mul_f32_e32 v114, 0x3fb8aa3b, v112
	v_mul_u32_u24_sdwa v119, v113, v94 dst_sel:DWORD dst_unused:UNUSED_PAD src0_sel:WORD_0 src1_sel:DWORD
	v_sub_f32_e32 v113, v125, v68
	v_fma_f32 v138, 0x3fb8aa3b, v101, -v129
	v_rndne_f32_e32 v139, v129
	v_fma_f32 v130, 0x3fb8aa3b, v112, -v114
	v_rndne_f32_e32 v131, v114
	v_mul_f32_e32 v115, 0x3fb8aa3b, v113
	v_fmac_f32_e32 v138, 0x32a5705f, v101
	v_sub_f32_e32 v129, v129, v139
	v_sub_f32_e32 v125, v126, v68
	v_mul_f32_e32 v126, 0x3fb8aa3b, v116
	v_fma_f32 v132, 0x3fb8aa3b, v113, -v115
	v_rndne_f32_e32 v133, v115
	v_fmac_f32_e32 v130, 0x32a5705f, v112
	v_sub_f32_e32 v114, v114, v131
	v_add_f32_e32 v129, v129, v138
	v_mul_f32_e32 v128, 0x3fb8aa3b, v125
	v_fma_f32 v134, 0x3fb8aa3b, v116, -v126
	v_rndne_f32_e32 v135, v126
	v_fmac_f32_e32 v132, 0x32a5705f, v113
	v_sub_f32_e32 v115, v115, v133
	v_add_f32_e32 v114, v114, v130
	v_exp_f32_e32 v129, v129
	v_fma_f32 v136, 0x3fb8aa3b, v125, -v128
	v_rndne_f32_e32 v137, v128
	v_fmac_f32_e32 v134, 0x32a5705f, v116
	v_sub_f32_e32 v126, v126, v135
	v_add_f32_e32 v115, v115, v132
	v_exp_f32_e32 v114, v114
	v_cvt_i32_f32_e32 v130, v139
	v_cndmask_b32_e32 v108, 0x7f800000, v124, vcc_lo
	v_fmac_f32_e32 v136, 0x32a5705f, v125
	v_sub_f32_e32 v128, v128, v137
	v_add_f32_e32 v126, v126, v134
	v_exp_f32_e32 v115, v115
	v_cvt_i32_f32_e32 v131, v131
	v_ldexp_f32 v129, v129, v130
	v_cmp_ngt_f32_e32 vcc_lo, 0xc2ce8ed0, v101
	v_add_f32_e32 v128, v128, v136
	v_exp_f32_e32 v126, v126
	v_cvt_i32_f32_e32 v132, v133
	v_ldexp_f32 v114, v114, v131
	v_cndmask_b32_e32 v129, 0, v129, vcc_lo
	v_cmp_ngt_f32_e32 vcc_lo, 0xc2ce8ed0, v112
	v_exp_f32_e32 v128, v128
	v_cvt_i32_f32_e32 v133, v135
	v_ldexp_f32 v115, v115, v132
	v_cvt_i32_f32_e32 v134, v137
	v_cndmask_b32_e32 v114, 0, v114, vcc_lo
	v_cmp_ngt_f32_e32 vcc_lo, 0xc2ce8ed0, v113
	v_ldexp_f32 v126, v126, v133
	v_cvt_f16_f32_e32 v123, v111
	v_cvt_f16_f32_e32 v124, v110
	;; [unrolled: 1-line block ×3, first 2 shown]
	v_cndmask_b32_e32 v115, 0, v115, vcc_lo
	v_cmp_ngt_f32_e32 vcc_lo, 0xc2ce8ed0, v116
	v_ldexp_f32 v128, v128, v134
	v_pk_mul_f16 v100, v100, v119
	v_cndmask_b32_e32 v126, 0, v126, vcc_lo
	v_cmp_ngt_f32_e32 vcc_lo, 0xc2ce8ed0, v125
	v_cndmask_b32_e32 v128, 0, v128, vcc_lo
	v_cmp_nlt_f32_e32 vcc_lo, 0x42b17218, v101
	v_cndmask_b32_e32 v101, 0x7f800000, v129, vcc_lo
	v_cmp_nlt_f32_e32 vcc_lo, 0x42b17218, v112
	;; [unrolled: 2-line block ×4, first 2 shown]
	v_cvt_f16_f32_e32 v116, v101
	v_cndmask_b32_e32 v113, 0x7f800000, v126, vcc_lo
	v_cmp_nlt_f32_e32 vcc_lo, 0x42b17218, v125
	v_cvt_f16_f32_e32 v125, v114
	v_cvt_f16_f32_e32 v126, v115
	v_mul_u32_u24_sdwa v218, v116, v94 dst_sel:DWORD dst_unused:UNUSED_PAD src0_sel:WORD_0 src1_sel:DWORD
	v_add_nc_u32_e32 v116, 0x2800, v71
	v_cndmask_b32_e32 v112, 0x7f800000, v128, vcc_lo
	v_cvt_f16_f32_e32 v128, v113
	v_pack_b32_f16 v122, v122, v125
	v_pack_b32_f16 v123, v123, v126
	v_pk_mul_f16 v99, v99, v218
	v_cvt_f16_f32_e32 v129, v112
	v_pack_b32_f16 v124, v124, v128
	v_pack_b32_f16 v125, v127, v129
	ds_write2_b32 v117, v122, v123 offset1:32
	ds_write2_b32 v117, v124, v125 offset0:64 offset1:96
	s_waitcnt vmcnt(7)
	ds_write_b128 v84, v[1:4]
	s_waitcnt vmcnt(6)
	ds_write_b128 v86, v[5:8]
	;; [unrolled: 2-line block ×8, first 2 shown]
	s_waitcnt lgkmcnt(0)
	s_barrier
	buffer_gl0_inv
	ds_read2_b64 v[1:4], v71 offset1:32
	ds_read2_b64 v[5:8], v71 offset0:64 offset1:96
	ds_read2_b64 v[9:12], v71 offset0:128 offset1:160
	ds_read_b128 v[13:16], v85
	ds_read_b128 v[17:20], v85 offset:16
	ds_read2_b64 v[21:24], v71 offset0:192 offset1:224
	ds_read2_b64 v[25:28], v118 offset1:32
	ds_read2_b64 v[29:32], v118 offset0:64 offset1:96
	ds_read2_b64 v[122:125], v118 offset0:128 offset1:160
	ds_read_b128 v[126:129], v85 offset:32
	ds_read_b128 v[130:133], v85 offset:48
	ds_read2_b64 v[134:137], v118 offset0:192 offset1:224
	ds_read2_b64 v[138:141], v121 offset1:32
	ds_read2_b64 v[142:145], v121 offset0:64 offset1:96
	ds_read2_b64 v[146:149], v121 offset0:128 offset1:160
	ds_read_b128 v[150:153], v85 offset:64
	ds_read_b128 v[154:157], v85 offset:80
	ds_read2_b64 v[158:161], v121 offset0:192 offset1:224
	ds_read2_b64 v[162:165], v182 offset1:32
	ds_read2_b64 v[166:169], v182 offset0:64 offset1:96
	ds_read2_b64 v[170:173], v182 offset0:128 offset1:160
	ds_read_b128 v[174:177], v85 offset:96
	ds_read_b128 v[178:181], v85 offset:112
	ds_read2_b64 v[182:185], v182 offset0:192 offset1:224
	ds_read2_b64 v[186:189], v120 offset1:32
	ds_read2_b64 v[190:193], v120 offset0:64 offset1:96
	ds_read2_b64 v[194:197], v120 offset0:128 offset1:160
	ds_read_b128 v[198:201], v85 offset:128
	ds_read_b128 v[202:205], v85 offset:144
	ds_read2_b64 v[206:209], v120 offset0:192 offset1:224
	ds_read_b128 v[210:213], v85 offset:160
	ds_read2_b64 v[214:217], v116 offset1:32
	s_waitcnt lgkmcnt(28)
	v_mul_u32_u24_sdwa v117, v13, v94 dst_sel:DWORD dst_unused:UNUSED_PAD src0_sel:WORD_0 src1_sel:DWORD
	v_mul_u32_u24_sdwa v13, v13, v94 dst_sel:DWORD dst_unused:UNUSED_PAD src0_sel:WORD_1 src1_sel:DWORD
	v_mul_u32_u24_sdwa v118, v14, v94 dst_sel:DWORD dst_unused:UNUSED_PAD src0_sel:WORD_0 src1_sel:DWORD
	v_mul_u32_u24_sdwa v14, v14, v94 dst_sel:DWORD dst_unused:UNUSED_PAD src0_sel:WORD_1 src1_sel:DWORD
	v_mul_u32_u24_sdwa v120, v15, v94 dst_sel:DWORD dst_unused:UNUSED_PAD src0_sel:WORD_0 src1_sel:DWORD
	v_pk_mul_f16 v234, v1, v117
	v_pk_mul_f16 v1, v1, v13
	v_mul_u32_u24_sdwa v15, v15, v94 dst_sel:DWORD dst_unused:UNUSED_PAD src0_sel:WORD_1 src1_sel:DWORD
	v_pk_fma_f16 v100, v2, v117, v100
	v_pk_fma_f16 v2, v2, v13, v99
	;; [unrolled: 1-line block ×4, first 2 shown]
	v_mul_u32_u24_sdwa v121, v16, v94 dst_sel:DWORD dst_unused:UNUSED_PAD src0_sel:WORD_0 src1_sel:DWORD
	v_mul_u32_u24_sdwa v16, v16, v94 dst_sel:DWORD dst_unused:UNUSED_PAD src0_sel:WORD_1 src1_sel:DWORD
	v_pk_fma_f16 v97, v4, v118, v100
	v_pk_fma_f16 v98, v3, v118, v98
	;; [unrolled: 1-line block ×4, first 2 shown]
	s_waitcnt lgkmcnt(27)
	v_mul_u32_u24_sdwa v219, v17, v94 dst_sel:DWORD dst_unused:UNUSED_PAD src0_sel:WORD_0 src1_sel:DWORD
	v_mul_u32_u24_sdwa v17, v17, v94 dst_sel:DWORD dst_unused:UNUSED_PAD src0_sel:WORD_1 src1_sel:DWORD
	v_pk_fma_f16 v14, v5, v120, v98
	v_pk_fma_f16 v1, v5, v15, v1
	;; [unrolled: 1-line block ×4, first 2 shown]
	v_mul_u32_u24_sdwa v220, v18, v94 dst_sel:DWORD dst_unused:UNUSED_PAD src0_sel:WORD_0 src1_sel:DWORD
	v_pk_fma_f16 v6, v7, v121, v14
	v_pk_fma_f16 v1, v7, v16, v1
	v_mul_u32_u24_sdwa v18, v18, v94 dst_sel:DWORD dst_unused:UNUSED_PAD src0_sel:WORD_1 src1_sel:DWORD
	v_pk_fma_f16 v4, v8, v121, v4
	v_pk_fma_f16 v2, v8, v16, v2
	v_pk_fma_f16 v6, v9, v219, v6
	v_pk_fma_f16 v1, v9, v17, v1
	v_mul_u32_u24_sdwa v221, v19, v94 dst_sel:DWORD dst_unused:UNUSED_PAD src0_sel:WORD_0 src1_sel:DWORD
	v_mul_u32_u24_sdwa v19, v19, v94 dst_sel:DWORD dst_unused:UNUSED_PAD src0_sel:WORD_1 src1_sel:DWORD
	v_pk_fma_f16 v4, v10, v219, v4
	v_pk_fma_f16 v2, v10, v17, v2
	v_pk_fma_f16 v6, v11, v220, v6
	v_pk_fma_f16 v1, v11, v18, v1
	v_mul_u32_u24_sdwa v222, v20, v94 dst_sel:DWORD dst_unused:UNUSED_PAD src0_sel:WORD_0 src1_sel:DWORD
	v_mul_u32_u24_sdwa v20, v20, v94 dst_sel:DWORD dst_unused:UNUSED_PAD src0_sel:WORD_1 src1_sel:DWORD
	v_pk_fma_f16 v4, v12, v220, v4
	v_pk_fma_f16 v2, v12, v18, v2
	s_waitcnt lgkmcnt(26)
	v_pk_fma_f16 v6, v21, v221, v6
	v_pk_fma_f16 v1, v21, v19, v1
	s_waitcnt lgkmcnt(22)
	v_mul_u32_u24_sdwa v223, v126, v94 dst_sel:DWORD dst_unused:UNUSED_PAD src0_sel:WORD_0 src1_sel:DWORD
	v_mul_u32_u24_sdwa v126, v126, v94 dst_sel:DWORD dst_unused:UNUSED_PAD src0_sel:WORD_1 src1_sel:DWORD
	v_pk_fma_f16 v4, v22, v221, v4
	v_pk_fma_f16 v2, v22, v19, v2
	v_pk_fma_f16 v6, v23, v222, v6
	v_pk_fma_f16 v1, v23, v20, v1
	v_mul_u32_u24_sdwa v224, v127, v94 dst_sel:DWORD dst_unused:UNUSED_PAD src0_sel:WORD_0 src1_sel:DWORD
	v_mul_u32_u24_sdwa v127, v127, v94 dst_sel:DWORD dst_unused:UNUSED_PAD src0_sel:WORD_1 src1_sel:DWORD
	v_pk_fma_f16 v4, v24, v222, v4
	v_pk_fma_f16 v2, v24, v20, v2
	v_pk_fma_f16 v6, v25, v223, v6
	v_pk_fma_f16 v1, v25, v126, v1
	v_mul_u32_u24_sdwa v225, v128, v94 dst_sel:DWORD dst_unused:UNUSED_PAD src0_sel:WORD_0 src1_sel:DWORD
	v_mul_u32_u24_sdwa v128, v128, v94 dst_sel:DWORD dst_unused:UNUSED_PAD src0_sel:WORD_1 src1_sel:DWORD
	v_pk_fma_f16 v4, v26, v223, v4
	v_pk_fma_f16 v2, v26, v126, v2
	v_pk_fma_f16 v6, v27, v224, v6
	v_pk_fma_f16 v1, v27, v127, v1
	v_mul_u32_u24_sdwa v226, v129, v94 dst_sel:DWORD dst_unused:UNUSED_PAD src0_sel:WORD_0 src1_sel:DWORD
	v_mul_u32_u24_sdwa v129, v129, v94 dst_sel:DWORD dst_unused:UNUSED_PAD src0_sel:WORD_1 src1_sel:DWORD
	v_pk_fma_f16 v4, v28, v224, v4
	v_pk_fma_f16 v2, v28, v127, v2
	v_pk_fma_f16 v6, v29, v225, v6
	v_pk_fma_f16 v1, v29, v128, v1
	s_waitcnt lgkmcnt(21)
	v_mul_u32_u24_sdwa v227, v130, v94 dst_sel:DWORD dst_unused:UNUSED_PAD src0_sel:WORD_0 src1_sel:DWORD
	v_mul_u32_u24_sdwa v130, v130, v94 dst_sel:DWORD dst_unused:UNUSED_PAD src0_sel:WORD_1 src1_sel:DWORD
	v_pk_fma_f16 v4, v30, v225, v4
	v_pk_fma_f16 v2, v30, v128, v2
	v_pk_fma_f16 v6, v31, v226, v6
	v_pk_fma_f16 v1, v31, v129, v1
	v_mul_u32_u24_sdwa v228, v131, v94 dst_sel:DWORD dst_unused:UNUSED_PAD src0_sel:WORD_0 src1_sel:DWORD
	v_mul_u32_u24_sdwa v131, v131, v94 dst_sel:DWORD dst_unused:UNUSED_PAD src0_sel:WORD_1 src1_sel:DWORD
	v_pk_fma_f16 v4, v32, v226, v4
	v_pk_fma_f16 v2, v32, v129, v2
	v_pk_fma_f16 v6, v122, v227, v6
	v_pk_fma_f16 v1, v122, v130, v1
	v_mul_u32_u24_sdwa v229, v132, v94 dst_sel:DWORD dst_unused:UNUSED_PAD src0_sel:WORD_0 src1_sel:DWORD
	v_mul_u32_u24_sdwa v132, v132, v94 dst_sel:DWORD dst_unused:UNUSED_PAD src0_sel:WORD_1 src1_sel:DWORD
	v_pk_fma_f16 v4, v123, v227, v4
	v_pk_fma_f16 v2, v123, v130, v2
	v_pk_fma_f16 v6, v124, v228, v6
	v_pk_fma_f16 v1, v124, v131, v1
	v_mul_u32_u24_sdwa v230, v133, v94 dst_sel:DWORD dst_unused:UNUSED_PAD src0_sel:WORD_0 src1_sel:DWORD
	v_mul_u32_u24_sdwa v133, v133, v94 dst_sel:DWORD dst_unused:UNUSED_PAD src0_sel:WORD_1 src1_sel:DWORD
	v_pk_fma_f16 v4, v125, v228, v4
	v_pk_fma_f16 v2, v125, v131, v2
	s_waitcnt lgkmcnt(20)
	v_pk_fma_f16 v6, v134, v229, v6
	v_pk_fma_f16 v1, v134, v132, v1
	s_waitcnt lgkmcnt(16)
	v_mul_u32_u24_sdwa v231, v150, v94 dst_sel:DWORD dst_unused:UNUSED_PAD src0_sel:WORD_0 src1_sel:DWORD
	v_mul_u32_u24_sdwa v150, v150, v94 dst_sel:DWORD dst_unused:UNUSED_PAD src0_sel:WORD_1 src1_sel:DWORD
	v_pk_fma_f16 v4, v135, v229, v4
	v_pk_fma_f16 v2, v135, v132, v2
	v_pk_fma_f16 v6, v136, v230, v6
	v_pk_fma_f16 v1, v136, v133, v1
	v_mul_u32_u24_sdwa v232, v151, v94 dst_sel:DWORD dst_unused:UNUSED_PAD src0_sel:WORD_0 src1_sel:DWORD
	v_mul_u32_u24_sdwa v151, v151, v94 dst_sel:DWORD dst_unused:UNUSED_PAD src0_sel:WORD_1 src1_sel:DWORD
	v_pk_fma_f16 v4, v137, v230, v4
	v_pk_fma_f16 v2, v137, v133, v2
	v_pk_fma_f16 v6, v138, v231, v6
	v_pk_fma_f16 v1, v138, v150, v1
	v_mul_u32_u24_sdwa v233, v152, v94 dst_sel:DWORD dst_unused:UNUSED_PAD src0_sel:WORD_0 src1_sel:DWORD
	v_mul_u32_u24_sdwa v152, v152, v94 dst_sel:DWORD dst_unused:UNUSED_PAD src0_sel:WORD_1 src1_sel:DWORD
	v_pk_fma_f16 v4, v139, v231, v4
	v_pk_fma_f16 v2, v139, v150, v2
	v_pk_fma_f16 v6, v140, v232, v6
	v_pk_fma_f16 v1, v140, v151, v1
	v_mul_u32_u24_sdwa v235, v153, v94 dst_sel:DWORD dst_unused:UNUSED_PAD src0_sel:WORD_0 src1_sel:DWORD
	v_mul_u32_u24_sdwa v13, v153, v94 dst_sel:DWORD dst_unused:UNUSED_PAD src0_sel:WORD_1 src1_sel:DWORD
	v_pk_fma_f16 v4, v141, v232, v4
	v_pk_fma_f16 v2, v141, v151, v2
	v_pk_fma_f16 v6, v142, v233, v6
	v_pk_fma_f16 v1, v142, v152, v1
	s_waitcnt lgkmcnt(15)
	v_mul_u32_u24_sdwa v3, v154, v94 dst_sel:DWORD dst_unused:UNUSED_PAD src0_sel:WORD_0 src1_sel:DWORD
	v_mul_u32_u24_sdwa v5, v154, v94 dst_sel:DWORD dst_unused:UNUSED_PAD src0_sel:WORD_1 src1_sel:DWORD
	v_pk_fma_f16 v4, v143, v233, v4
	v_pk_fma_f16 v2, v143, v152, v2
	v_pk_fma_f16 v6, v144, v235, v6
	v_pk_fma_f16 v1, v144, v13, v1
	v_mul_u32_u24_sdwa v7, v155, v94 dst_sel:DWORD dst_unused:UNUSED_PAD src0_sel:WORD_0 src1_sel:DWORD
	;; [unrolled: 51-line block ×4, first 2 shown]
	v_mul_u32_u24_sdwa v7, v203, v94 dst_sel:DWORD dst_unused:UNUSED_PAD src0_sel:WORD_1 src1_sel:DWORD
	v_pk_fma_f16 v3, v193, v14, v3
	v_pk_fma_f16 v2, v193, v15, v2
	;; [unrolled: 1-line block ×4, first 2 shown]
	v_mul_u32_u24_sdwa v8, v204, v94 dst_sel:DWORD dst_unused:UNUSED_PAD src0_sel:WORD_0 src1_sel:DWORD
	v_mul_u32_u24_sdwa v9, v204, v94 dst_sel:DWORD dst_unused:UNUSED_PAD src0_sel:WORD_1 src1_sel:DWORD
	v_pk_fma_f16 v3, v195, v13, v3
	v_pk_fma_f16 v2, v195, v5, v2
	;; [unrolled: 1-line block ×4, first 2 shown]
	v_mul_u32_u24_sdwa v10, v205, v94 dst_sel:DWORD dst_unused:UNUSED_PAD src0_sel:WORD_0 src1_sel:DWORD
	v_pk_fma_f16 v3, v197, v6, v3
	v_pk_fma_f16 v2, v197, v7, v2
	s_waitcnt lgkmcnt(2)
	v_pk_fma_f16 v4, v206, v8, v4
	v_mul_u32_u24_sdwa v11, v205, v94 dst_sel:DWORD dst_unused:UNUSED_PAD src0_sel:WORD_1 src1_sel:DWORD
	v_pk_fma_f16 v1, v206, v9, v1
	v_pk_fma_f16 v12, v207, v8, v3
	;; [unrolled: 1-line block ×4, first 2 shown]
	s_waitcnt lgkmcnt(1)
	v_mul_u32_u24_sdwa v15, v210, v94 dst_sel:DWORD dst_unused:UNUSED_PAD src0_sel:WORD_0 src1_sel:DWORD
	v_pk_fma_f16 v14, v208, v11, v1
	ds_read2_b64 v[5:8], v116 offset0:64 offset1:96
	v_mul_u32_u24_sdwa v16, v210, v94 dst_sel:DWORD dst_unused:UNUSED_PAD src0_sel:WORD_1 src1_sel:DWORD
	ds_read_b128 v[1:4], v85 offset:176
	v_pk_fma_f16 v10, v209, v10, v12
	v_pk_fma_f16 v9, v209, v11, v9
	s_waitcnt lgkmcnt(2)
	v_pk_fma_f16 v11, v214, v15, v13
	v_pk_fma_f16 v12, v214, v16, v14
	v_mul_u32_u24_sdwa v13, v211, v94 dst_sel:DWORD dst_unused:UNUSED_PAD src0_sel:WORD_0 src1_sel:DWORD
	v_mul_u32_u24_sdwa v14, v211, v94 dst_sel:DWORD dst_unused:UNUSED_PAD src0_sel:WORD_1 src1_sel:DWORD
	v_pk_fma_f16 v15, v215, v15, v10
	v_pk_fma_f16 v16, v215, v16, v9
	v_mul_u32_u24_sdwa v19, v212, v94 dst_sel:DWORD dst_unused:UNUSED_PAD src0_sel:WORD_0 src1_sel:DWORD
	v_pk_fma_f16 v17, v216, v13, v11
	v_pk_fma_f16 v18, v216, v14, v12
	ds_read2_b64 v[9:12], v116 offset0:128 offset1:160
	v_mul_u32_u24_sdwa v20, v212, v94 dst_sel:DWORD dst_unused:UNUSED_PAD src0_sel:WORD_1 src1_sel:DWORD
	v_pk_fma_f16 v13, v217, v13, v15
	v_pk_fma_f16 v14, v217, v14, v16
	v_add_nc_u32_e32 v23, 0x3000, v71
	s_waitcnt lgkmcnt(2)
	v_pk_fma_f16 v15, v5, v19, v17
	v_pk_fma_f16 v5, v5, v20, v18
	v_mul_u32_u24_sdwa v17, v213, v94 dst_sel:DWORD dst_unused:UNUSED_PAD src0_sel:WORD_0 src1_sel:DWORD
	v_mul_u32_u24_sdwa v18, v213, v94 dst_sel:DWORD dst_unused:UNUSED_PAD src0_sel:WORD_1 src1_sel:DWORD
	v_pk_fma_f16 v19, v6, v19, v13
	v_pk_fma_f16 v6, v6, v20, v14
	s_waitcnt lgkmcnt(1)
	v_mul_u32_u24_sdwa v22, v2, v94 dst_sel:DWORD dst_unused:UNUSED_PAD src0_sel:WORD_0 src1_sel:DWORD
	v_pk_fma_f16 v20, v7, v17, v15
	v_pk_fma_f16 v5, v7, v18, v5
	v_mul_u32_u24_sdwa v7, v1, v94 dst_sel:DWORD dst_unused:UNUSED_PAD src0_sel:WORD_0 src1_sel:DWORD
	v_mul_u32_u24_sdwa v1, v1, v94 dst_sel:DWORD dst_unused:UNUSED_PAD src0_sel:WORD_1 src1_sel:DWORD
	ds_read2_b64 v[13:16], v116 offset0:192 offset1:224
	v_pk_fma_f16 v17, v8, v17, v19
	v_pk_fma_f16 v18, v8, v18, v6
	s_waitcnt lgkmcnt(1)
	v_pk_fma_f16 v19, v9, v7, v20
	v_pk_fma_f16 v9, v9, v1, v5
	v_mul_u32_u24_sdwa v2, v2, v94 dst_sel:DWORD dst_unused:UNUSED_PAD src0_sel:WORD_1 src1_sel:DWORD
	v_pk_fma_f16 v21, v10, v7, v17
	ds_read_b128 v[5:8], v85 offset:192
	v_pk_fma_f16 v1, v10, v1, v18
	v_pk_fma_f16 v10, v11, v22, v19
	ds_read2_b64 v[17:20], v23 offset1:32
	v_pk_fma_f16 v9, v11, v2, v9
	v_mul_u32_u24_sdwa v11, v3, v94 dst_sel:DWORD dst_unused:UNUSED_PAD src0_sel:WORD_0 src1_sel:DWORD
	v_mul_u32_u24_sdwa v3, v3, v94 dst_sel:DWORD dst_unused:UNUSED_PAD src0_sel:WORD_1 src1_sel:DWORD
	v_pk_fma_f16 v21, v12, v22, v21
	v_pk_fma_f16 v1, v12, v2, v1
	v_mul_u32_u24_sdwa v22, v4, v94 dst_sel:DWORD dst_unused:UNUSED_PAD src0_sel:WORD_1 src1_sel:DWORD
	s_waitcnt lgkmcnt(2)
	v_pk_fma_f16 v2, v13, v11, v10
	v_pk_fma_f16 v9, v13, v3, v9
	v_mul_u32_u24_sdwa v13, v4, v94 dst_sel:DWORD dst_unused:UNUSED_PAD src0_sel:WORD_0 src1_sel:DWORD
	v_pk_fma_f16 v21, v14, v11, v21
	v_pk_fma_f16 v14, v14, v3, v1
	;; [unrolled: 1-line block ×4, first 2 shown]
	ds_read_b128 v[1:4], v85 offset:208
	s_waitcnt lgkmcnt(2)
	v_mul_u32_u24_sdwa v25, v5, v94 dst_sel:DWORD dst_unused:UNUSED_PAD src0_sel:WORD_0 src1_sel:DWORD
	ds_read2_b64 v[9:12], v23 offset0:64 offset1:96
	v_mul_u32_u24_sdwa v5, v5, v94 dst_sel:DWORD dst_unused:UNUSED_PAD src0_sel:WORD_1 src1_sel:DWORD
	v_pk_fma_f16 v13, v16, v13, v21
	v_pk_fma_f16 v14, v16, v22, v14
	s_waitcnt lgkmcnt(2)
	v_pk_fma_f16 v16, v17, v25, v24
	v_mul_u32_u24_sdwa v22, v7, v94 dst_sel:DWORD dst_unused:UNUSED_PAD src0_sel:WORD_0 src1_sel:DWORD
	v_pk_fma_f16 v15, v17, v5, v15
	v_mul_u32_u24_sdwa v17, v6, v94 dst_sel:DWORD dst_unused:UNUSED_PAD src0_sel:WORD_0 src1_sel:DWORD
	v_mul_u32_u24_sdwa v6, v6, v94 dst_sel:DWORD dst_unused:UNUSED_PAD src0_sel:WORD_1 src1_sel:DWORD
	v_pk_fma_f16 v21, v18, v25, v13
	v_pk_fma_f16 v5, v18, v5, v14
	v_mul_u32_u24_sdwa v7, v7, v94 dst_sel:DWORD dst_unused:UNUSED_PAD src0_sel:WORD_1 src1_sel:DWORD
	v_pk_fma_f16 v18, v19, v17, v16
	v_pk_fma_f16 v19, v19, v6, v15
	ds_read2_b64 v[13:16], v23 offset0:128 offset1:160
	v_pk_fma_f16 v17, v20, v17, v21
	v_pk_fma_f16 v5, v20, v6, v5
	s_waitcnt lgkmcnt(2)
	v_mul_u32_u24_sdwa v24, v4, v94 dst_sel:DWORD dst_unused:UNUSED_PAD src0_sel:WORD_1 src1_sel:DWORD
	s_waitcnt lgkmcnt(1)
	v_pk_fma_f16 v6, v9, v22, v18
	v_pk_fma_f16 v9, v9, v7, v19
	v_mul_u32_u24_sdwa v18, v8, v94 dst_sel:DWORD dst_unused:UNUSED_PAD src0_sel:WORD_0 src1_sel:DWORD
	v_mul_u32_u24_sdwa v19, v8, v94 dst_sel:DWORD dst_unused:UNUSED_PAD src0_sel:WORD_1 src1_sel:DWORD
	v_pk_fma_f16 v17, v10, v22, v17
	v_pk_fma_f16 v10, v10, v7, v5
	v_mul_u32_u24_sdwa v22, v2, v94 dst_sel:DWORD dst_unused:UNUSED_PAD src0_sel:WORD_0 src1_sel:DWORD
	v_pk_fma_f16 v20, v11, v18, v6
	v_pk_fma_f16 v9, v11, v19, v9
	v_mul_u32_u24_sdwa v11, v1, v94 dst_sel:DWORD dst_unused:UNUSED_PAD src0_sel:WORD_0 src1_sel:DWORD
	v_mul_u32_u24_sdwa v1, v1, v94 dst_sel:DWORD dst_unused:UNUSED_PAD src0_sel:WORD_1 src1_sel:DWORD
	ds_read2_b64 v[5:8], v23 offset0:192 offset1:224
	v_pk_fma_f16 v17, v12, v18, v17
	v_pk_fma_f16 v18, v12, v19, v10
	s_waitcnt lgkmcnt(1)
	v_pk_fma_f16 v19, v13, v11, v20
	v_pk_fma_f16 v13, v13, v1, v9
	v_add_nc_u32_e32 v23, 0x3800, v71
	v_pk_fma_f16 v21, v14, v11, v17
	ds_read_b128 v[9:12], v85 offset:224
	v_mul_u32_u24_sdwa v2, v2, v94 dst_sel:DWORD dst_unused:UNUSED_PAD src0_sel:WORD_1 src1_sel:DWORD
	v_pk_fma_f16 v1, v14, v1, v18
	v_pk_fma_f16 v14, v15, v22, v19
	ds_read2_b64 v[17:20], v23 offset1:32
	v_pk_fma_f16 v21, v16, v22, v21
	v_pk_fma_f16 v13, v15, v2, v13
	v_mul_u32_u24_sdwa v15, v3, v94 dst_sel:DWORD dst_unused:UNUSED_PAD src0_sel:WORD_0 src1_sel:DWORD
	v_mul_u32_u24_sdwa v3, v3, v94 dst_sel:DWORD dst_unused:UNUSED_PAD src0_sel:WORD_1 src1_sel:DWORD
	v_pk_fma_f16 v1, v16, v2, v1
	v_mul_u32_u24_sdwa v22, v4, v94 dst_sel:DWORD dst_unused:UNUSED_PAD src0_sel:WORD_0 src1_sel:DWORD
	s_waitcnt lgkmcnt(2)
	v_pk_fma_f16 v2, v5, v15, v14
	v_pk_fma_f16 v5, v5, v3, v13
	;; [unrolled: 1-line block ×4, first 2 shown]
	ds_read2_b64 v[13:16], v23 offset0:64 offset1:96
	v_pk_fma_f16 v25, v7, v22, v2
	v_pk_fma_f16 v5, v7, v24, v5
	ds_read_b128 v[1:4], v85 offset:240
	s_waitcnt lgkmcnt(3)
	v_mul_u32_u24_sdwa v7, v9, v94 dst_sel:DWORD dst_unused:UNUSED_PAD src0_sel:WORD_0 src1_sel:DWORD
	v_mul_u32_u24_sdwa v9, v9, v94 dst_sel:DWORD dst_unused:UNUSED_PAD src0_sel:WORD_1 src1_sel:DWORD
	v_pk_fma_f16 v21, v8, v22, v21
	v_pk_fma_f16 v6, v8, v24, v6
	v_mul_u32_u24_sdwa v22, v11, v94 dst_sel:DWORD dst_unused:UNUSED_PAD src0_sel:WORD_0 src1_sel:DWORD
	s_waitcnt lgkmcnt(2)
	v_pk_fma_f16 v8, v17, v7, v25
	v_pk_fma_f16 v5, v17, v9, v5
	v_mul_u32_u24_sdwa v17, v10, v94 dst_sel:DWORD dst_unused:UNUSED_PAD src0_sel:WORD_0 src1_sel:DWORD
	v_mul_u32_u24_sdwa v10, v10, v94 dst_sel:DWORD dst_unused:UNUSED_PAD src0_sel:WORD_1 src1_sel:DWORD
	v_pk_fma_f16 v21, v18, v7, v21
	v_pk_fma_f16 v9, v18, v9, v6
	v_mul_u32_u24_sdwa v11, v11, v94 dst_sel:DWORD dst_unused:UNUSED_PAD src0_sel:WORD_1 src1_sel:DWORD
	v_pk_fma_f16 v18, v19, v17, v8
	v_pk_fma_f16 v19, v19, v10, v5
	ds_read2_b64 v[5:8], v23 offset0:128 offset1:160
	v_pk_fma_f16 v17, v20, v17, v21
	v_pk_fma_f16 v9, v20, v10, v9
	s_waitcnt lgkmcnt(2)
	v_pk_fma_f16 v10, v13, v22, v18
	v_pk_fma_f16 v13, v13, v11, v19
	v_mul_u32_u24_sdwa v18, v12, v94 dst_sel:DWORD dst_unused:UNUSED_PAD src0_sel:WORD_0 src1_sel:DWORD
	v_mul_u32_u24_sdwa v19, v12, v94 dst_sel:DWORD dst_unused:UNUSED_PAD src0_sel:WORD_1 src1_sel:DWORD
	v_pk_fma_f16 v17, v14, v22, v17
	v_pk_fma_f16 v14, v14, v11, v9
	s_waitcnt lgkmcnt(1)
	v_mul_u32_u24_sdwa v22, v2, v94 dst_sel:DWORD dst_unused:UNUSED_PAD src0_sel:WORD_0 src1_sel:DWORD
	v_pk_fma_f16 v20, v15, v18, v10
	v_pk_fma_f16 v13, v15, v19, v13
	v_mul_u32_u24_sdwa v15, v1, v94 dst_sel:DWORD dst_unused:UNUSED_PAD src0_sel:WORD_0 src1_sel:DWORD
	v_mul_u32_u24_sdwa v1, v1, v94 dst_sel:DWORD dst_unused:UNUSED_PAD src0_sel:WORD_1 src1_sel:DWORD
	ds_read2_b64 v[9:12], v23 offset0:192 offset1:224
	v_pk_fma_f16 v17, v16, v18, v17
	v_pk_fma_f16 v18, v16, v19, v14
	v_add_nc_u32_e32 v23, 0x4000, v71
	v_mul_u32_u24_sdwa v2, v2, v94 dst_sel:DWORD dst_unused:UNUSED_PAD src0_sel:WORD_1 src1_sel:DWORD
	s_waitcnt lgkmcnt(1)
	v_pk_fma_f16 v19, v5, v15, v20
	v_pk_fma_f16 v5, v5, v1, v13
	;; [unrolled: 1-line block ×3, first 2 shown]
	ds_read_b128 v[13:16], v85 offset:256
	v_pk_fma_f16 v1, v6, v1, v18
	v_pk_fma_f16 v6, v7, v22, v19
	ds_read2_b64 v[17:20], v23 offset1:32
	v_pk_fma_f16 v5, v7, v2, v5
	v_mul_u32_u24_sdwa v7, v3, v94 dst_sel:DWORD dst_unused:UNUSED_PAD src0_sel:WORD_0 src1_sel:DWORD
	v_mul_u32_u24_sdwa v3, v3, v94 dst_sel:DWORD dst_unused:UNUSED_PAD src0_sel:WORD_1 src1_sel:DWORD
	v_pk_fma_f16 v21, v8, v22, v21
	v_pk_fma_f16 v1, v8, v2, v1
	v_mul_u32_u24_sdwa v22, v4, v94 dst_sel:DWORD dst_unused:UNUSED_PAD src0_sel:WORD_1 src1_sel:DWORD
	s_waitcnt lgkmcnt(2)
	v_pk_fma_f16 v2, v9, v7, v6
	v_pk_fma_f16 v5, v9, v3, v5
	v_mul_u32_u24_sdwa v9, v4, v94 dst_sel:DWORD dst_unused:UNUSED_PAD src0_sel:WORD_0 src1_sel:DWORD
	v_pk_fma_f16 v21, v10, v7, v21
	v_pk_fma_f16 v10, v10, v3, v1
	;; [unrolled: 1-line block ×4, first 2 shown]
	ds_read_b128 v[1:4], v85 offset:272
	s_waitcnt lgkmcnt(2)
	v_mul_u32_u24_sdwa v25, v13, v94 dst_sel:DWORD dst_unused:UNUSED_PAD src0_sel:WORD_0 src1_sel:DWORD
	ds_read2_b64 v[5:8], v23 offset0:64 offset1:96
	v_mul_u32_u24_sdwa v13, v13, v94 dst_sel:DWORD dst_unused:UNUSED_PAD src0_sel:WORD_1 src1_sel:DWORD
	v_pk_fma_f16 v9, v12, v9, v21
	v_pk_fma_f16 v10, v12, v22, v10
	s_waitcnt lgkmcnt(2)
	v_pk_fma_f16 v12, v17, v25, v24
	v_mul_u32_u24_sdwa v22, v15, v94 dst_sel:DWORD dst_unused:UNUSED_PAD src0_sel:WORD_0 src1_sel:DWORD
	v_pk_fma_f16 v11, v17, v13, v11
	v_mul_u32_u24_sdwa v17, v14, v94 dst_sel:DWORD dst_unused:UNUSED_PAD src0_sel:WORD_0 src1_sel:DWORD
	v_mul_u32_u24_sdwa v14, v14, v94 dst_sel:DWORD dst_unused:UNUSED_PAD src0_sel:WORD_1 src1_sel:DWORD
	v_pk_fma_f16 v21, v18, v25, v9
	v_pk_fma_f16 v13, v18, v13, v10
	v_mul_u32_u24_sdwa v15, v15, v94 dst_sel:DWORD dst_unused:UNUSED_PAD src0_sel:WORD_1 src1_sel:DWORD
	v_pk_fma_f16 v18, v19, v17, v12
	v_pk_fma_f16 v19, v19, v14, v11
	ds_read2_b64 v[9:12], v23 offset0:128 offset1:160
	v_pk_fma_f16 v17, v20, v17, v21
	v_pk_fma_f16 v13, v20, v14, v13
	s_waitcnt lgkmcnt(1)
	v_pk_fma_f16 v14, v5, v22, v18
	v_pk_fma_f16 v5, v5, v15, v19
	v_mul_u32_u24_sdwa v18, v16, v94 dst_sel:DWORD dst_unused:UNUSED_PAD src0_sel:WORD_0 src1_sel:DWORD
	v_mul_u32_u24_sdwa v19, v16, v94 dst_sel:DWORD dst_unused:UNUSED_PAD src0_sel:WORD_1 src1_sel:DWORD
	v_pk_fma_f16 v17, v6, v22, v17
	v_pk_fma_f16 v6, v6, v15, v13
	v_mul_u32_u24_sdwa v22, v2, v94 dst_sel:DWORD dst_unused:UNUSED_PAD src0_sel:WORD_0 src1_sel:DWORD
	v_pk_fma_f16 v20, v7, v18, v14
	v_pk_fma_f16 v5, v7, v19, v5
	v_mul_u32_u24_sdwa v7, v1, v94 dst_sel:DWORD dst_unused:UNUSED_PAD src0_sel:WORD_0 src1_sel:DWORD
	v_mul_u32_u24_sdwa v1, v1, v94 dst_sel:DWORD dst_unused:UNUSED_PAD src0_sel:WORD_1 src1_sel:DWORD
	ds_read2_b64 v[13:16], v23 offset0:192 offset1:224
	v_pk_fma_f16 v17, v8, v18, v17
	v_pk_fma_f16 v18, v8, v19, v6
	s_waitcnt lgkmcnt(1)
	v_pk_fma_f16 v19, v9, v7, v20
	v_pk_fma_f16 v9, v9, v1, v5
	v_add_nc_u32_e32 v23, 0x4800, v71
	v_pk_fma_f16 v21, v10, v7, v17
	ds_read_b128 v[5:8], v85 offset:288
	v_mul_u32_u24_sdwa v2, v2, v94 dst_sel:DWORD dst_unused:UNUSED_PAD src0_sel:WORD_1 src1_sel:DWORD
	v_pk_fma_f16 v1, v10, v1, v18
	v_pk_fma_f16 v10, v11, v22, v19
	ds_read2_b64 v[17:20], v23 offset1:32
	v_pk_fma_f16 v21, v12, v22, v21
	v_pk_fma_f16 v9, v11, v2, v9
	v_mul_u32_u24_sdwa v11, v3, v94 dst_sel:DWORD dst_unused:UNUSED_PAD src0_sel:WORD_0 src1_sel:DWORD
	v_mul_u32_u24_sdwa v3, v3, v94 dst_sel:DWORD dst_unused:UNUSED_PAD src0_sel:WORD_1 src1_sel:DWORD
	v_pk_fma_f16 v1, v12, v2, v1
	v_mul_u32_u24_sdwa v22, v4, v94 dst_sel:DWORD dst_unused:UNUSED_PAD src0_sel:WORD_1 src1_sel:DWORD
	s_waitcnt lgkmcnt(2)
	v_pk_fma_f16 v2, v13, v11, v10
	v_pk_fma_f16 v9, v13, v3, v9
	v_mul_u32_u24_sdwa v13, v4, v94 dst_sel:DWORD dst_unused:UNUSED_PAD src0_sel:WORD_0 src1_sel:DWORD
	v_pk_fma_f16 v21, v14, v11, v21
	v_pk_fma_f16 v14, v14, v3, v1
	;; [unrolled: 1-line block ×4, first 2 shown]
	ds_read_b128 v[1:4], v85 offset:304
	s_waitcnt lgkmcnt(2)
	v_mul_u32_u24_sdwa v25, v5, v94 dst_sel:DWORD dst_unused:UNUSED_PAD src0_sel:WORD_0 src1_sel:DWORD
	ds_read2_b64 v[9:12], v23 offset0:64 offset1:96
	v_mul_u32_u24_sdwa v5, v5, v94 dst_sel:DWORD dst_unused:UNUSED_PAD src0_sel:WORD_1 src1_sel:DWORD
	v_pk_fma_f16 v13, v16, v13, v21
	v_pk_fma_f16 v14, v16, v22, v14
	s_waitcnt lgkmcnt(2)
	v_pk_fma_f16 v16, v17, v25, v24
	v_mul_u32_u24_sdwa v22, v7, v94 dst_sel:DWORD dst_unused:UNUSED_PAD src0_sel:WORD_0 src1_sel:DWORD
	v_pk_fma_f16 v15, v17, v5, v15
	v_mul_u32_u24_sdwa v17, v6, v94 dst_sel:DWORD dst_unused:UNUSED_PAD src0_sel:WORD_0 src1_sel:DWORD
	v_mul_u32_u24_sdwa v6, v6, v94 dst_sel:DWORD dst_unused:UNUSED_PAD src0_sel:WORD_1 src1_sel:DWORD
	v_pk_fma_f16 v21, v18, v25, v13
	v_pk_fma_f16 v5, v18, v5, v14
	v_mul_u32_u24_sdwa v7, v7, v94 dst_sel:DWORD dst_unused:UNUSED_PAD src0_sel:WORD_1 src1_sel:DWORD
	v_pk_fma_f16 v18, v19, v17, v16
	v_pk_fma_f16 v19, v19, v6, v15
	ds_read2_b64 v[13:16], v23 offset0:128 offset1:160
	v_pk_fma_f16 v17, v20, v17, v21
	v_pk_fma_f16 v5, v20, v6, v5
	s_waitcnt lgkmcnt(2)
	v_mul_u32_u24_sdwa v24, v4, v94 dst_sel:DWORD dst_unused:UNUSED_PAD src0_sel:WORD_1 src1_sel:DWORD
	s_waitcnt lgkmcnt(1)
	v_pk_fma_f16 v6, v9, v22, v18
	v_pk_fma_f16 v9, v9, v7, v19
	v_mul_u32_u24_sdwa v18, v8, v94 dst_sel:DWORD dst_unused:UNUSED_PAD src0_sel:WORD_0 src1_sel:DWORD
	v_mul_u32_u24_sdwa v19, v8, v94 dst_sel:DWORD dst_unused:UNUSED_PAD src0_sel:WORD_1 src1_sel:DWORD
	v_pk_fma_f16 v17, v10, v22, v17
	v_pk_fma_f16 v10, v10, v7, v5
	v_mul_u32_u24_sdwa v22, v2, v94 dst_sel:DWORD dst_unused:UNUSED_PAD src0_sel:WORD_0 src1_sel:DWORD
	v_pk_fma_f16 v20, v11, v18, v6
	v_pk_fma_f16 v9, v11, v19, v9
	v_mul_u32_u24_sdwa v11, v1, v94 dst_sel:DWORD dst_unused:UNUSED_PAD src0_sel:WORD_0 src1_sel:DWORD
	v_mul_u32_u24_sdwa v1, v1, v94 dst_sel:DWORD dst_unused:UNUSED_PAD src0_sel:WORD_1 src1_sel:DWORD
	ds_read2_b64 v[5:8], v23 offset0:192 offset1:224
	v_pk_fma_f16 v17, v12, v18, v17
	v_pk_fma_f16 v18, v12, v19, v10
	s_waitcnt lgkmcnt(1)
	v_pk_fma_f16 v19, v13, v11, v20
	v_pk_fma_f16 v13, v13, v1, v9
	v_add_nc_u32_e32 v23, 0x5000, v71
	v_pk_fma_f16 v21, v14, v11, v17
	ds_read_b128 v[9:12], v85 offset:320
	v_mul_u32_u24_sdwa v2, v2, v94 dst_sel:DWORD dst_unused:UNUSED_PAD src0_sel:WORD_1 src1_sel:DWORD
	v_pk_fma_f16 v1, v14, v1, v18
	v_pk_fma_f16 v14, v15, v22, v19
	ds_read2_b64 v[17:20], v23 offset1:32
	v_pk_fma_f16 v21, v16, v22, v21
	v_pk_fma_f16 v13, v15, v2, v13
	v_mul_u32_u24_sdwa v15, v3, v94 dst_sel:DWORD dst_unused:UNUSED_PAD src0_sel:WORD_0 src1_sel:DWORD
	v_mul_u32_u24_sdwa v3, v3, v94 dst_sel:DWORD dst_unused:UNUSED_PAD src0_sel:WORD_1 src1_sel:DWORD
	v_pk_fma_f16 v1, v16, v2, v1
	v_mul_u32_u24_sdwa v22, v4, v94 dst_sel:DWORD dst_unused:UNUSED_PAD src0_sel:WORD_0 src1_sel:DWORD
	s_waitcnt lgkmcnt(2)
	v_pk_fma_f16 v2, v5, v15, v14
	v_pk_fma_f16 v5, v5, v3, v13
	;; [unrolled: 1-line block ×4, first 2 shown]
	ds_read2_b64 v[13:16], v23 offset0:64 offset1:96
	v_pk_fma_f16 v25, v7, v22, v2
	v_pk_fma_f16 v5, v7, v24, v5
	ds_read_b128 v[1:4], v85 offset:336
	s_waitcnt lgkmcnt(3)
	v_mul_u32_u24_sdwa v7, v9, v94 dst_sel:DWORD dst_unused:UNUSED_PAD src0_sel:WORD_0 src1_sel:DWORD
	v_mul_u32_u24_sdwa v9, v9, v94 dst_sel:DWORD dst_unused:UNUSED_PAD src0_sel:WORD_1 src1_sel:DWORD
	v_pk_fma_f16 v21, v8, v22, v21
	v_pk_fma_f16 v6, v8, v24, v6
	v_mul_u32_u24_sdwa v22, v11, v94 dst_sel:DWORD dst_unused:UNUSED_PAD src0_sel:WORD_0 src1_sel:DWORD
	s_waitcnt lgkmcnt(2)
	v_pk_fma_f16 v8, v17, v7, v25
	v_pk_fma_f16 v5, v17, v9, v5
	v_mul_u32_u24_sdwa v17, v10, v94 dst_sel:DWORD dst_unused:UNUSED_PAD src0_sel:WORD_0 src1_sel:DWORD
	v_mul_u32_u24_sdwa v10, v10, v94 dst_sel:DWORD dst_unused:UNUSED_PAD src0_sel:WORD_1 src1_sel:DWORD
	v_pk_fma_f16 v21, v18, v7, v21
	v_pk_fma_f16 v9, v18, v9, v6
	v_mul_u32_u24_sdwa v11, v11, v94 dst_sel:DWORD dst_unused:UNUSED_PAD src0_sel:WORD_1 src1_sel:DWORD
	v_pk_fma_f16 v18, v19, v17, v8
	v_pk_fma_f16 v19, v19, v10, v5
	ds_read2_b64 v[5:8], v23 offset0:128 offset1:160
	v_pk_fma_f16 v17, v20, v17, v21
	v_pk_fma_f16 v9, v20, v10, v9
	s_waitcnt lgkmcnt(2)
	v_pk_fma_f16 v10, v13, v22, v18
	v_pk_fma_f16 v13, v13, v11, v19
	v_mul_u32_u24_sdwa v18, v12, v94 dst_sel:DWORD dst_unused:UNUSED_PAD src0_sel:WORD_0 src1_sel:DWORD
	v_mul_u32_u24_sdwa v19, v12, v94 dst_sel:DWORD dst_unused:UNUSED_PAD src0_sel:WORD_1 src1_sel:DWORD
	v_pk_fma_f16 v17, v14, v22, v17
	v_pk_fma_f16 v14, v14, v11, v9
	s_waitcnt lgkmcnt(1)
	v_mul_u32_u24_sdwa v22, v2, v94 dst_sel:DWORD dst_unused:UNUSED_PAD src0_sel:WORD_0 src1_sel:DWORD
	v_pk_fma_f16 v20, v15, v18, v10
	v_pk_fma_f16 v13, v15, v19, v13
	v_mul_u32_u24_sdwa v15, v1, v94 dst_sel:DWORD dst_unused:UNUSED_PAD src0_sel:WORD_0 src1_sel:DWORD
	v_mul_u32_u24_sdwa v1, v1, v94 dst_sel:DWORD dst_unused:UNUSED_PAD src0_sel:WORD_1 src1_sel:DWORD
	ds_read2_b64 v[9:12], v23 offset0:192 offset1:224
	v_pk_fma_f16 v17, v16, v18, v17
	v_pk_fma_f16 v18, v16, v19, v14
	v_add_nc_u32_e32 v23, 0x5800, v71
	v_mul_u32_u24_sdwa v2, v2, v94 dst_sel:DWORD dst_unused:UNUSED_PAD src0_sel:WORD_1 src1_sel:DWORD
	s_waitcnt lgkmcnt(1)
	v_pk_fma_f16 v19, v5, v15, v20
	v_pk_fma_f16 v5, v5, v1, v13
	;; [unrolled: 1-line block ×3, first 2 shown]
	ds_read_b128 v[13:16], v85 offset:352
	v_pk_fma_f16 v1, v6, v1, v18
	v_pk_fma_f16 v6, v7, v22, v19
	ds_read2_b64 v[17:20], v23 offset1:32
	v_pk_fma_f16 v5, v7, v2, v5
	v_mul_u32_u24_sdwa v7, v3, v94 dst_sel:DWORD dst_unused:UNUSED_PAD src0_sel:WORD_0 src1_sel:DWORD
	v_mul_u32_u24_sdwa v3, v3, v94 dst_sel:DWORD dst_unused:UNUSED_PAD src0_sel:WORD_1 src1_sel:DWORD
	v_pk_fma_f16 v21, v8, v22, v21
	v_pk_fma_f16 v1, v8, v2, v1
	v_mul_u32_u24_sdwa v22, v4, v94 dst_sel:DWORD dst_unused:UNUSED_PAD src0_sel:WORD_1 src1_sel:DWORD
	s_waitcnt lgkmcnt(2)
	v_pk_fma_f16 v2, v9, v7, v6
	v_pk_fma_f16 v5, v9, v3, v5
	v_mul_u32_u24_sdwa v9, v4, v94 dst_sel:DWORD dst_unused:UNUSED_PAD src0_sel:WORD_0 src1_sel:DWORD
	v_pk_fma_f16 v21, v10, v7, v21
	v_pk_fma_f16 v10, v10, v3, v1
	;; [unrolled: 1-line block ×4, first 2 shown]
	ds_read_b128 v[1:4], v85 offset:368
	s_waitcnt lgkmcnt(2)
	v_mul_u32_u24_sdwa v25, v13, v94 dst_sel:DWORD dst_unused:UNUSED_PAD src0_sel:WORD_0 src1_sel:DWORD
	ds_read2_b64 v[5:8], v23 offset0:64 offset1:96
	v_mul_u32_u24_sdwa v13, v13, v94 dst_sel:DWORD dst_unused:UNUSED_PAD src0_sel:WORD_1 src1_sel:DWORD
	v_pk_fma_f16 v9, v12, v9, v21
	v_pk_fma_f16 v10, v12, v22, v10
	s_waitcnt lgkmcnt(2)
	v_pk_fma_f16 v12, v17, v25, v24
	v_mul_u32_u24_sdwa v22, v15, v94 dst_sel:DWORD dst_unused:UNUSED_PAD src0_sel:WORD_0 src1_sel:DWORD
	v_pk_fma_f16 v11, v17, v13, v11
	v_mul_u32_u24_sdwa v17, v14, v94 dst_sel:DWORD dst_unused:UNUSED_PAD src0_sel:WORD_0 src1_sel:DWORD
	v_mul_u32_u24_sdwa v14, v14, v94 dst_sel:DWORD dst_unused:UNUSED_PAD src0_sel:WORD_1 src1_sel:DWORD
	v_pk_fma_f16 v21, v18, v25, v9
	v_pk_fma_f16 v13, v18, v13, v10
	v_mul_u32_u24_sdwa v15, v15, v94 dst_sel:DWORD dst_unused:UNUSED_PAD src0_sel:WORD_1 src1_sel:DWORD
	v_pk_fma_f16 v18, v19, v17, v12
	v_pk_fma_f16 v19, v19, v14, v11
	ds_read2_b64 v[9:12], v23 offset0:128 offset1:160
	v_pk_fma_f16 v17, v20, v17, v21
	v_pk_fma_f16 v13, v20, v14, v13
	s_waitcnt lgkmcnt(1)
	v_pk_fma_f16 v14, v5, v22, v18
	v_pk_fma_f16 v5, v5, v15, v19
	v_mul_u32_u24_sdwa v18, v16, v94 dst_sel:DWORD dst_unused:UNUSED_PAD src0_sel:WORD_0 src1_sel:DWORD
	v_mul_u32_u24_sdwa v19, v16, v94 dst_sel:DWORD dst_unused:UNUSED_PAD src0_sel:WORD_1 src1_sel:DWORD
	v_pk_fma_f16 v17, v6, v22, v17
	v_pk_fma_f16 v6, v6, v15, v13
	v_mul_u32_u24_sdwa v22, v2, v94 dst_sel:DWORD dst_unused:UNUSED_PAD src0_sel:WORD_0 src1_sel:DWORD
	v_pk_fma_f16 v20, v7, v18, v14
	v_pk_fma_f16 v5, v7, v19, v5
	v_mul_u32_u24_sdwa v7, v1, v94 dst_sel:DWORD dst_unused:UNUSED_PAD src0_sel:WORD_0 src1_sel:DWORD
	v_mul_u32_u24_sdwa v1, v1, v94 dst_sel:DWORD dst_unused:UNUSED_PAD src0_sel:WORD_1 src1_sel:DWORD
	ds_read2_b64 v[13:16], v23 offset0:192 offset1:224
	v_pk_fma_f16 v17, v8, v18, v17
	v_pk_fma_f16 v18, v8, v19, v6
	s_waitcnt lgkmcnt(1)
	v_pk_fma_f16 v19, v9, v7, v20
	v_pk_fma_f16 v9, v9, v1, v5
	v_add_nc_u32_e32 v23, 0x6000, v71
	v_pk_fma_f16 v21, v10, v7, v17
	ds_read_b128 v[5:8], v85 offset:384
	v_mul_u32_u24_sdwa v2, v2, v94 dst_sel:DWORD dst_unused:UNUSED_PAD src0_sel:WORD_1 src1_sel:DWORD
	v_pk_fma_f16 v1, v10, v1, v18
	v_pk_fma_f16 v10, v11, v22, v19
	ds_read2_b64 v[17:20], v23 offset1:32
	v_pk_fma_f16 v21, v12, v22, v21
	v_pk_fma_f16 v9, v11, v2, v9
	v_mul_u32_u24_sdwa v11, v3, v94 dst_sel:DWORD dst_unused:UNUSED_PAD src0_sel:WORD_0 src1_sel:DWORD
	v_mul_u32_u24_sdwa v3, v3, v94 dst_sel:DWORD dst_unused:UNUSED_PAD src0_sel:WORD_1 src1_sel:DWORD
	v_pk_fma_f16 v1, v12, v2, v1
	v_mul_u32_u24_sdwa v22, v4, v94 dst_sel:DWORD dst_unused:UNUSED_PAD src0_sel:WORD_1 src1_sel:DWORD
	s_waitcnt lgkmcnt(2)
	v_pk_fma_f16 v2, v13, v11, v10
	v_pk_fma_f16 v9, v13, v3, v9
	v_mul_u32_u24_sdwa v13, v4, v94 dst_sel:DWORD dst_unused:UNUSED_PAD src0_sel:WORD_0 src1_sel:DWORD
	v_pk_fma_f16 v21, v14, v11, v21
	v_pk_fma_f16 v14, v14, v3, v1
	;; [unrolled: 1-line block ×4, first 2 shown]
	ds_read_b128 v[1:4], v85 offset:400
	s_waitcnt lgkmcnt(2)
	v_mul_u32_u24_sdwa v25, v5, v94 dst_sel:DWORD dst_unused:UNUSED_PAD src0_sel:WORD_0 src1_sel:DWORD
	ds_read2_b64 v[9:12], v23 offset0:64 offset1:96
	v_mul_u32_u24_sdwa v5, v5, v94 dst_sel:DWORD dst_unused:UNUSED_PAD src0_sel:WORD_1 src1_sel:DWORD
	v_pk_fma_f16 v13, v16, v13, v21
	v_pk_fma_f16 v14, v16, v22, v14
	s_waitcnt lgkmcnt(2)
	v_pk_fma_f16 v16, v17, v25, v24
	v_mul_u32_u24_sdwa v22, v7, v94 dst_sel:DWORD dst_unused:UNUSED_PAD src0_sel:WORD_0 src1_sel:DWORD
	v_pk_fma_f16 v15, v17, v5, v15
	v_mul_u32_u24_sdwa v17, v6, v94 dst_sel:DWORD dst_unused:UNUSED_PAD src0_sel:WORD_0 src1_sel:DWORD
	v_mul_u32_u24_sdwa v6, v6, v94 dst_sel:DWORD dst_unused:UNUSED_PAD src0_sel:WORD_1 src1_sel:DWORD
	v_pk_fma_f16 v21, v18, v25, v13
	v_pk_fma_f16 v5, v18, v5, v14
	v_mul_u32_u24_sdwa v7, v7, v94 dst_sel:DWORD dst_unused:UNUSED_PAD src0_sel:WORD_1 src1_sel:DWORD
	v_pk_fma_f16 v18, v19, v17, v16
	v_pk_fma_f16 v19, v19, v6, v15
	ds_read2_b64 v[13:16], v23 offset0:128 offset1:160
	v_pk_fma_f16 v17, v20, v17, v21
	v_pk_fma_f16 v5, v20, v6, v5
	s_waitcnt lgkmcnt(2)
	v_mul_u32_u24_sdwa v24, v4, v94 dst_sel:DWORD dst_unused:UNUSED_PAD src0_sel:WORD_1 src1_sel:DWORD
	s_waitcnt lgkmcnt(1)
	v_pk_fma_f16 v6, v9, v22, v18
	v_pk_fma_f16 v9, v9, v7, v19
	v_mul_u32_u24_sdwa v18, v8, v94 dst_sel:DWORD dst_unused:UNUSED_PAD src0_sel:WORD_0 src1_sel:DWORD
	v_mul_u32_u24_sdwa v19, v8, v94 dst_sel:DWORD dst_unused:UNUSED_PAD src0_sel:WORD_1 src1_sel:DWORD
	v_pk_fma_f16 v17, v10, v22, v17
	v_pk_fma_f16 v10, v10, v7, v5
	v_mul_u32_u24_sdwa v22, v2, v94 dst_sel:DWORD dst_unused:UNUSED_PAD src0_sel:WORD_0 src1_sel:DWORD
	v_pk_fma_f16 v20, v11, v18, v6
	v_pk_fma_f16 v9, v11, v19, v9
	v_mul_u32_u24_sdwa v11, v1, v94 dst_sel:DWORD dst_unused:UNUSED_PAD src0_sel:WORD_0 src1_sel:DWORD
	v_mul_u32_u24_sdwa v1, v1, v94 dst_sel:DWORD dst_unused:UNUSED_PAD src0_sel:WORD_1 src1_sel:DWORD
	ds_read2_b64 v[5:8], v23 offset0:192 offset1:224
	v_pk_fma_f16 v17, v12, v18, v17
	v_pk_fma_f16 v18, v12, v19, v10
	s_waitcnt lgkmcnt(1)
	v_pk_fma_f16 v19, v13, v11, v20
	v_pk_fma_f16 v13, v13, v1, v9
	v_add_nc_u32_e32 v23, 0x6800, v71
	v_pk_fma_f16 v21, v14, v11, v17
	ds_read_b128 v[9:12], v85 offset:416
	v_mul_u32_u24_sdwa v2, v2, v94 dst_sel:DWORD dst_unused:UNUSED_PAD src0_sel:WORD_1 src1_sel:DWORD
	v_pk_fma_f16 v1, v14, v1, v18
	v_pk_fma_f16 v14, v15, v22, v19
	ds_read2_b64 v[17:20], v23 offset1:32
	v_pk_fma_f16 v21, v16, v22, v21
	v_pk_fma_f16 v13, v15, v2, v13
	v_mul_u32_u24_sdwa v15, v3, v94 dst_sel:DWORD dst_unused:UNUSED_PAD src0_sel:WORD_0 src1_sel:DWORD
	v_mul_u32_u24_sdwa v3, v3, v94 dst_sel:DWORD dst_unused:UNUSED_PAD src0_sel:WORD_1 src1_sel:DWORD
	v_pk_fma_f16 v1, v16, v2, v1
	v_mul_u32_u24_sdwa v22, v4, v94 dst_sel:DWORD dst_unused:UNUSED_PAD src0_sel:WORD_0 src1_sel:DWORD
	s_waitcnt lgkmcnt(2)
	v_pk_fma_f16 v2, v5, v15, v14
	v_pk_fma_f16 v5, v5, v3, v13
	;; [unrolled: 1-line block ×4, first 2 shown]
	ds_read2_b64 v[13:16], v23 offset0:64 offset1:96
	v_pk_fma_f16 v25, v7, v22, v2
	v_pk_fma_f16 v5, v7, v24, v5
	ds_read_b128 v[1:4], v85 offset:432
	s_waitcnt lgkmcnt(3)
	v_mul_u32_u24_sdwa v7, v9, v94 dst_sel:DWORD dst_unused:UNUSED_PAD src0_sel:WORD_0 src1_sel:DWORD
	v_mul_u32_u24_sdwa v9, v9, v94 dst_sel:DWORD dst_unused:UNUSED_PAD src0_sel:WORD_1 src1_sel:DWORD
	v_pk_fma_f16 v21, v8, v22, v21
	v_pk_fma_f16 v6, v8, v24, v6
	v_mul_u32_u24_sdwa v22, v11, v94 dst_sel:DWORD dst_unused:UNUSED_PAD src0_sel:WORD_0 src1_sel:DWORD
	s_waitcnt lgkmcnt(2)
	v_pk_fma_f16 v8, v17, v7, v25
	v_pk_fma_f16 v5, v17, v9, v5
	v_mul_u32_u24_sdwa v17, v10, v94 dst_sel:DWORD dst_unused:UNUSED_PAD src0_sel:WORD_0 src1_sel:DWORD
	v_mul_u32_u24_sdwa v10, v10, v94 dst_sel:DWORD dst_unused:UNUSED_PAD src0_sel:WORD_1 src1_sel:DWORD
	v_pk_fma_f16 v21, v18, v7, v21
	v_pk_fma_f16 v9, v18, v9, v6
	v_mul_u32_u24_sdwa v11, v11, v94 dst_sel:DWORD dst_unused:UNUSED_PAD src0_sel:WORD_1 src1_sel:DWORD
	v_pk_fma_f16 v18, v19, v17, v8
	v_pk_fma_f16 v19, v19, v10, v5
	ds_read2_b64 v[5:8], v23 offset0:128 offset1:160
	v_pk_fma_f16 v17, v20, v17, v21
	v_pk_fma_f16 v9, v20, v10, v9
	s_waitcnt lgkmcnt(2)
	v_pk_fma_f16 v10, v13, v22, v18
	v_pk_fma_f16 v13, v13, v11, v19
	v_mul_u32_u24_sdwa v18, v12, v94 dst_sel:DWORD dst_unused:UNUSED_PAD src0_sel:WORD_0 src1_sel:DWORD
	v_mul_u32_u24_sdwa v19, v12, v94 dst_sel:DWORD dst_unused:UNUSED_PAD src0_sel:WORD_1 src1_sel:DWORD
	v_pk_fma_f16 v17, v14, v22, v17
	v_pk_fma_f16 v14, v14, v11, v9
	s_waitcnt lgkmcnt(1)
	v_mul_u32_u24_sdwa v22, v2, v94 dst_sel:DWORD dst_unused:UNUSED_PAD src0_sel:WORD_0 src1_sel:DWORD
	v_pk_fma_f16 v20, v15, v18, v10
	v_pk_fma_f16 v13, v15, v19, v13
	v_mul_u32_u24_sdwa v15, v1, v94 dst_sel:DWORD dst_unused:UNUSED_PAD src0_sel:WORD_0 src1_sel:DWORD
	v_mul_u32_u24_sdwa v1, v1, v94 dst_sel:DWORD dst_unused:UNUSED_PAD src0_sel:WORD_1 src1_sel:DWORD
	ds_read2_b64 v[9:12], v23 offset0:192 offset1:224
	v_pk_fma_f16 v17, v16, v18, v17
	v_pk_fma_f16 v18, v16, v19, v14
	v_add_nc_u32_e32 v23, 0x7000, v71
	v_mul_u32_u24_sdwa v2, v2, v94 dst_sel:DWORD dst_unused:UNUSED_PAD src0_sel:WORD_1 src1_sel:DWORD
	s_waitcnt lgkmcnt(1)
	v_pk_fma_f16 v19, v5, v15, v20
	v_pk_fma_f16 v5, v5, v1, v13
	;; [unrolled: 1-line block ×3, first 2 shown]
	ds_read_b128 v[13:16], v85 offset:448
	v_pk_fma_f16 v1, v6, v1, v18
	v_pk_fma_f16 v6, v7, v22, v19
	ds_read2_b64 v[17:20], v23 offset1:32
	v_pk_fma_f16 v5, v7, v2, v5
	v_mul_u32_u24_sdwa v7, v3, v94 dst_sel:DWORD dst_unused:UNUSED_PAD src0_sel:WORD_0 src1_sel:DWORD
	v_mul_u32_u24_sdwa v3, v3, v94 dst_sel:DWORD dst_unused:UNUSED_PAD src0_sel:WORD_1 src1_sel:DWORD
	v_pk_fma_f16 v21, v8, v22, v21
	v_pk_fma_f16 v1, v8, v2, v1
	v_mul_u32_u24_sdwa v22, v4, v94 dst_sel:DWORD dst_unused:UNUSED_PAD src0_sel:WORD_1 src1_sel:DWORD
	s_waitcnt lgkmcnt(2)
	v_pk_fma_f16 v2, v9, v7, v6
	v_pk_fma_f16 v5, v9, v3, v5
	v_mul_u32_u24_sdwa v9, v4, v94 dst_sel:DWORD dst_unused:UNUSED_PAD src0_sel:WORD_0 src1_sel:DWORD
	v_pk_fma_f16 v21, v10, v7, v21
	v_pk_fma_f16 v10, v10, v3, v1
	v_pk_fma_f16 v24, v11, v9, v2
	v_pk_fma_f16 v11, v11, v22, v5
	ds_read_b128 v[1:4], v85 offset:464
	s_waitcnt lgkmcnt(2)
	v_mul_u32_u24_sdwa v25, v13, v94 dst_sel:DWORD dst_unused:UNUSED_PAD src0_sel:WORD_0 src1_sel:DWORD
	ds_read2_b64 v[5:8], v23 offset0:64 offset1:96
	v_mul_u32_u24_sdwa v13, v13, v94 dst_sel:DWORD dst_unused:UNUSED_PAD src0_sel:WORD_1 src1_sel:DWORD
	v_pk_fma_f16 v9, v12, v9, v21
	v_pk_fma_f16 v10, v12, v22, v10
	s_waitcnt lgkmcnt(2)
	v_pk_fma_f16 v12, v17, v25, v24
	v_mul_u32_u24_sdwa v22, v15, v94 dst_sel:DWORD dst_unused:UNUSED_PAD src0_sel:WORD_0 src1_sel:DWORD
	v_pk_fma_f16 v11, v17, v13, v11
	v_mul_u32_u24_sdwa v17, v14, v94 dst_sel:DWORD dst_unused:UNUSED_PAD src0_sel:WORD_0 src1_sel:DWORD
	v_mul_u32_u24_sdwa v14, v14, v94 dst_sel:DWORD dst_unused:UNUSED_PAD src0_sel:WORD_1 src1_sel:DWORD
	v_pk_fma_f16 v21, v18, v25, v9
	v_pk_fma_f16 v13, v18, v13, v10
	v_mul_u32_u24_sdwa v15, v15, v94 dst_sel:DWORD dst_unused:UNUSED_PAD src0_sel:WORD_1 src1_sel:DWORD
	v_pk_fma_f16 v18, v19, v17, v12
	v_pk_fma_f16 v19, v19, v14, v11
	ds_read2_b64 v[9:12], v23 offset0:128 offset1:160
	v_pk_fma_f16 v17, v20, v17, v21
	v_pk_fma_f16 v13, v20, v14, v13
	v_add_nc_u32_e32 v25, 0x7800, v71
	s_waitcnt lgkmcnt(1)
	v_pk_fma_f16 v14, v5, v22, v18
	v_pk_fma_f16 v5, v5, v15, v19
	v_mul_u32_u24_sdwa v18, v16, v94 dst_sel:DWORD dst_unused:UNUSED_PAD src0_sel:WORD_0 src1_sel:DWORD
	v_mul_u32_u24_sdwa v19, v16, v94 dst_sel:DWORD dst_unused:UNUSED_PAD src0_sel:WORD_1 src1_sel:DWORD
	v_pk_fma_f16 v17, v6, v22, v17
	v_pk_fma_f16 v6, v6, v15, v13
	v_mul_u32_u24_sdwa v22, v2, v94 dst_sel:DWORD dst_unused:UNUSED_PAD src0_sel:WORD_0 src1_sel:DWORD
	v_pk_fma_f16 v20, v7, v18, v14
	v_pk_fma_f16 v5, v7, v19, v5
	v_mul_u32_u24_sdwa v7, v1, v94 dst_sel:DWORD dst_unused:UNUSED_PAD src0_sel:WORD_0 src1_sel:DWORD
	v_mul_u32_u24_sdwa v1, v1, v94 dst_sel:DWORD dst_unused:UNUSED_PAD src0_sel:WORD_1 src1_sel:DWORD
	ds_read2_b64 v[13:16], v23 offset0:192 offset1:224
	v_pk_fma_f16 v17, v8, v18, v17
	v_pk_fma_f16 v6, v8, v19, v6
	s_waitcnt lgkmcnt(1)
	v_pk_fma_f16 v18, v9, v7, v20
	v_pk_fma_f16 v9, v9, v1, v5
	v_mul_u32_u24_sdwa v2, v2, v94 dst_sel:DWORD dst_unused:UNUSED_PAD src0_sel:WORD_1 src1_sel:DWORD
	v_pk_fma_f16 v21, v10, v7, v17
	v_pk_fma_f16 v1, v10, v1, v6
	ds_read_b128 v[5:8], v85 offset:480
	v_pk_fma_f16 v10, v11, v22, v18
	ds_read2_b64 v[17:20], v25 offset1:32
	v_pk_fma_f16 v9, v11, v2, v9
	v_mul_u32_u24_sdwa v11, v3, v94 dst_sel:DWORD dst_unused:UNUSED_PAD src0_sel:WORD_0 src1_sel:DWORD
	v_mul_u32_u24_sdwa v3, v3, v94 dst_sel:DWORD dst_unused:UNUSED_PAD src0_sel:WORD_1 src1_sel:DWORD
	v_add_f32_e32 v23, v109, v111
	v_pk_fma_f16 v21, v12, v22, v21
	v_pk_fma_f16 v1, v12, v2, v1
	v_add_f32_e32 v26, v110, v23
	s_waitcnt lgkmcnt(2)
	v_pk_fma_f16 v2, v13, v11, v10
	v_pk_fma_f16 v9, v13, v3, v9
	v_mul_u32_u24_sdwa v13, v4, v94 dst_sel:DWORD dst_unused:UNUSED_PAD src0_sel:WORD_0 src1_sel:DWORD
	v_mul_u32_u24_sdwa v4, v4, v94 dst_sel:DWORD dst_unused:UNUSED_PAD src0_sel:WORD_1 src1_sel:DWORD
	v_pk_fma_f16 v27, v14, v11, v21
	v_pk_fma_f16 v3, v14, v3, v1
	ds_read2_b64 v[21:24], v25 offset0:64 offset1:96
	v_pk_fma_f16 v2, v15, v13, v2
	v_pk_fma_f16 v14, v15, v4, v9
	ds_read_b128 v[9:12], v85 offset:496
	s_waitcnt lgkmcnt(3)
	v_mul_u32_u24_sdwa v15, v5, v94 dst_sel:DWORD dst_unused:UNUSED_PAD src0_sel:WORD_0 src1_sel:DWORD
	v_mul_u32_u24_sdwa v5, v5, v94 dst_sel:DWORD dst_unused:UNUSED_PAD src0_sel:WORD_1 src1_sel:DWORD
	v_pk_fma_f16 v13, v16, v13, v27
	v_pk_fma_f16 v3, v16, v4, v3
	v_add_f32_e32 v1, v108, v26
	s_waitcnt lgkmcnt(2)
	v_pk_fma_f16 v2, v17, v15, v2
	v_pk_fma_f16 v4, v17, v5, v14
	v_mul_u32_u24_sdwa v14, v6, v94 dst_sel:DWORD dst_unused:UNUSED_PAD src0_sel:WORD_0 src1_sel:DWORD
	v_mul_u32_u24_sdwa v6, v6, v94 dst_sel:DWORD dst_unused:UNUSED_PAD src0_sel:WORD_1 src1_sel:DWORD
	v_pk_fma_f16 v13, v18, v15, v13
	v_pk_fma_f16 v15, v18, v5, v3
	v_mul_u32_u24_sdwa v18, v7, v94 dst_sel:DWORD dst_unused:UNUSED_PAD src0_sel:WORD_0 src1_sel:DWORD
	v_pk_fma_f16 v16, v19, v14, v2
	v_pk_fma_f16 v17, v19, v6, v4
	ds_read2_b64 v[2:5], v25 offset0:128 offset1:160
	v_mul_u32_u24_sdwa v7, v7, v94 dst_sel:DWORD dst_unused:UNUSED_PAD src0_sel:WORD_1 src1_sel:DWORD
	v_pk_fma_f16 v13, v20, v14, v13
	v_pk_fma_f16 v6, v20, v6, v15
	s_waitcnt lgkmcnt(2)
	v_pk_fma_f16 v14, v21, v18, v16
	v_mul_u32_u24_sdwa v16, v8, v94 dst_sel:DWORD dst_unused:UNUSED_PAD src0_sel:WORD_0 src1_sel:DWORD
	v_pk_fma_f16 v15, v21, v7, v17
	v_mul_u32_u24_sdwa v17, v8, v94 dst_sel:DWORD dst_unused:UNUSED_PAD src0_sel:WORD_1 src1_sel:DWORD
	v_pk_fma_f16 v13, v22, v18, v13
	v_pk_fma_f16 v18, v22, v7, v6
	s_waitcnt lgkmcnt(1)
	v_mul_u32_u24_sdwa v20, v9, v94 dst_sel:DWORD dst_unused:UNUSED_PAD src0_sel:WORD_0 src1_sel:DWORD
	v_mul_u32_u24_sdwa v21, v9, v94 dst_sel:DWORD dst_unused:UNUSED_PAD src0_sel:WORD_1 src1_sel:DWORD
	ds_read2_b64 v[6:9], v25 offset0:192 offset1:224
	s_waitcnt lgkmcnt(0)
	s_barrier
	buffer_gl0_inv
	s_load_dword s18, s[0:1], 0x4
	v_pk_fma_f16 v14, v23, v16, v14
	v_pk_fma_f16 v15, v23, v17, v15
	;; [unrolled: 1-line block ×4, first 2 shown]
	v_add_f32_e32 v19, v114, v115
	v_pk_fma_f16 v14, v2, v20, v14
	v_pk_fma_f16 v2, v2, v21, v15
	v_mul_u32_u24_sdwa v15, v10, v94 dst_sel:DWORD dst_unused:UNUSED_PAD src0_sel:WORD_0 src1_sel:DWORD
	v_mul_u32_u24_sdwa v10, v10, v94 dst_sel:DWORD dst_unused:UNUSED_PAD src0_sel:WORD_1 src1_sel:DWORD
	v_pk_fma_f16 v13, v3, v20, v13
	v_pk_fma_f16 v3, v3, v21, v16
	v_add_f32_e32 v19, v113, v19
	v_pk_fma_f16 v14, v4, v15, v14
	v_pk_fma_f16 v4, v4, v10, v2
	v_mul_u32_u24_sdwa v16, v11, v94 dst_sel:DWORD dst_unused:UNUSED_PAD src0_sel:WORD_0 src1_sel:DWORD
	v_mul_u32_u24_sdwa v11, v11, v94 dst_sel:DWORD dst_unused:UNUSED_PAD src0_sel:WORD_1 src1_sel:DWORD
	v_pk_fma_f16 v13, v5, v15, v13
	v_pk_fma_f16 v3, v5, v10, v3
	;; [unrolled: 7-line block ×3, first 2 shown]
	s_waitcnt lgkmcnt(0)
	s_lshl_b32 s18, s18, 7
	v_fmac_f32_e32 v1, v96, v102
	v_fmac_f32_e32 v2, v95, v101
	v_pk_fma_f16 v98, v8, v6, v5
	v_pk_fma_f16 v97, v8, v10, v4
	;; [unrolled: 1-line block ×4, first 2 shown]
	s_add_i32 s6, s18, s6
	s_cmp_ge_i32 s6, s30
	s_cbranch_scc1 .LBB73_43
; %bb.42:                               ;   in Loop: Header=BB73_9 Depth=1
	v_mov_b32_e32 v102, v67
	v_mov_b32_e32 v101, v68
	;; [unrolled: 1-line block ×4, first 2 shown]
	s_branch .LBB73_9
.LBB73_43:
	v_mov_b32_e32 v4, v72
.LBB73_44:
	v_cmp_lt_i32_e32 vcc_lo, v107, v73
	s_cmp_lg_u64 s[16:17], 0
	s_cselect_b32 s0, -1, 0
	s_cmp_eq_u32 s28, 0
	v_cndmask_b32_e32 v3, v4, v107, vcc_lo
	v_cmp_lt_i32_e32 vcc_lo, v103, v73
	s_cselect_b32 s1, -1, 0
	s_and_b32 s0, s1, s0
	v_lshlrev_b32_e32 v3, 2, v3
	v_cndmask_b32_e32 v6, v4, v103, vcc_lo
	v_cmp_lt_i32_e32 vcc_lo, v104, v73
	ds_bpermute_b32 v5, v3, v1
	ds_bpermute_b32 v3, v3, v2
	v_lshlrev_b32_e32 v6, 2, v6
	s_waitcnt lgkmcnt(1)
	v_add_f32_e32 v1, v1, v5
	s_waitcnt lgkmcnt(0)
	v_add_f32_e32 v2, v2, v3
	ds_bpermute_b32 v3, v6, v1
	ds_bpermute_b32 v5, v6, v2
	v_cndmask_b32_e32 v6, v4, v104, vcc_lo
	v_cmp_lt_i32_e32 vcc_lo, v105, v73
	v_lshlrev_b32_e32 v6, 2, v6
	s_waitcnt lgkmcnt(1)
	v_add_f32_e32 v1, v1, v3
	s_waitcnt lgkmcnt(0)
	v_add_f32_e32 v2, v2, v5
	ds_bpermute_b32 v3, v6, v1
	ds_bpermute_b32 v5, v6, v2
	v_cndmask_b32_e32 v6, v4, v105, vcc_lo
	v_cmp_lt_i32_e32 vcc_lo, v106, v73
	v_lshlrev_b32_e32 v6, 2, v6
	v_cndmask_b32_e32 v4, v4, v106, vcc_lo
	s_and_b32 vcc_lo, exec_lo, s0
	v_lshlrev_b32_e32 v4, 2, v4
	s_waitcnt lgkmcnt(1)
	v_add_f32_e32 v1, v1, v3
	s_waitcnt lgkmcnt(0)
	v_add_f32_e32 v2, v2, v5
	ds_bpermute_b32 v3, v6, v1
	ds_bpermute_b32 v5, v6, v2
	s_waitcnt lgkmcnt(1)
	v_add_f32_e32 v1, v1, v3
	s_waitcnt lgkmcnt(0)
	v_add_f32_e32 v2, v2, v5
	ds_bpermute_b32 v3, v4, v1
	ds_bpermute_b32 v4, v4, v2
	s_waitcnt lgkmcnt(1)
	v_add_f32_e32 v1, v1, v3
	s_waitcnt lgkmcnt(0)
	v_add_f32_e32 v2, v2, v4
	s_cbranch_vccz .LBB73_47
; %bb.45:
	v_add_nc_u32_e32 v3, s29, v69
	v_max_f32_e32 v5, v67, v67
	v_max_f32_e32 v7, v68, v68
	v_ashrrev_i32_e32 v4, 31, v3
	v_lshlrev_b64 v[3:4], 2, v[3:4]
	v_add_co_u32 v3, vcc_lo, s16, v3
	v_add_co_ci_u32_e64 v4, null, s17, v4, vcc_lo
	global_load_dwordx2 v[3:4], v[3:4], off
	s_waitcnt vmcnt(0)
	v_max_f32_e32 v6, v3, v3
	v_max_f32_e32 v8, v4, v4
	;; [unrolled: 1-line block ×4, first 2 shown]
	v_sub_f32_e32 v7, v67, v5
	v_sub_f32_e32 v8, v68, v6
	;; [unrolled: 1-line block ×4, first 2 shown]
	v_mov_b32_e32 v68, v6
	v_mul_f32_e32 v9, 0x3fb8aa3b, v7
	v_mul_f32_e32 v11, 0x3fb8aa3b, v8
	v_mul_f32_e32 v10, 0x3fb8aa3b, v3
	v_mul_f32_e32 v12, 0x3fb8aa3b, v4
	v_cmp_ngt_f32_e32 vcc_lo, 0xc2ce8ed0, v7
	v_fma_f32 v13, 0x3fb8aa3b, v7, -v9
	v_rndne_f32_e32 v14, v9
	v_fma_f32 v17, 0x3fb8aa3b, v8, -v11
	v_rndne_f32_e32 v18, v11
	v_fma_f32 v15, 0x3fb8aa3b, v3, -v10
	v_fmac_f32_e32 v13, 0x32a5705f, v7
	v_sub_f32_e32 v9, v9, v14
	v_rndne_f32_e32 v16, v10
	v_fmac_f32_e32 v17, 0x32a5705f, v8
	v_sub_f32_e32 v11, v11, v18
	v_fmac_f32_e32 v15, 0x32a5705f, v3
	v_add_f32_e32 v9, v9, v13
	v_sub_f32_e32 v10, v10, v16
	v_cvt_i32_f32_e32 v13, v14
	v_add_f32_e32 v11, v11, v17
	v_fma_f32 v19, 0x3fb8aa3b, v4, -v12
	v_exp_f32_e32 v9, v9
	v_add_f32_e32 v10, v10, v15
	v_rndne_f32_e32 v20, v12
	v_exp_f32_e32 v11, v11
	v_cvt_i32_f32_e32 v15, v18
	v_fmac_f32_e32 v19, 0x32a5705f, v4
	v_exp_f32_e32 v10, v10
	v_sub_f32_e32 v12, v12, v20
	v_cvt_i32_f32_e32 v14, v16
	v_cvt_i32_f32_e32 v16, v20
	v_ldexp_f32 v9, v9, v13
	v_mov_b32_e32 v17, 0x10001
	v_add_f32_e32 v12, v12, v19
	v_ldexp_f32 v11, v11, v15
	v_mov_b32_e32 v67, v5
	v_cndmask_b32_e32 v9, 0, v9, vcc_lo
	v_cmp_ngt_f32_e32 vcc_lo, 0xc2ce8ed0, v8
	v_ldexp_f32 v10, v10, v14
	v_exp_f32_e32 v12, v12
	v_cndmask_b32_e32 v11, 0, v11, vcc_lo
	v_cmp_ngt_f32_e32 vcc_lo, 0xc2ce8ed0, v3
	v_cndmask_b32_e32 v10, 0, v10, vcc_lo
	v_cmp_nlt_f32_e32 vcc_lo, 0x42b17218, v7
	v_ldexp_f32 v12, v12, v16
	v_cndmask_b32_e32 v7, 0x7f800000, v9, vcc_lo
	v_cmp_nlt_f32_e32 vcc_lo, 0x42b17218, v8
	v_cndmask_b32_e32 v8, 0x7f800000, v11, vcc_lo
	v_cmp_ngt_f32_e32 vcc_lo, 0xc2ce8ed0, v4
	v_cvt_f16_f32_e32 v11, v8
	v_cndmask_b32_e32 v9, 0, v12, vcc_lo
	v_cmp_nlt_f32_e32 vcc_lo, 0x42b17218, v3
	v_mul_u32_u24_sdwa v5, v11, v17 dst_sel:DWORD dst_unused:UNUSED_PAD src0_sel:WORD_0 src1_sel:DWORD
	v_cndmask_b32_e32 v3, 0x7f800000, v10, vcc_lo
	v_cmp_nlt_f32_e32 vcc_lo, 0x42b17218, v4
	v_cvt_f16_f32_e32 v10, v7
	v_pk_mul_f16 v97, v97, v5
	v_pk_mul_f16 v99, v99, v5
	v_fmac_f32_e32 v3, v1, v7
	v_cndmask_b32_e32 v4, 0x7f800000, v9, vcc_lo
	v_mul_u32_u24_sdwa v7, v10, v17 dst_sel:DWORD dst_unused:UNUSED_PAD src0_sel:WORD_0 src1_sel:DWORD
	v_mov_b32_e32 v1, v3
	v_fmac_f32_e32 v4, v2, v8
	v_pk_mul_f16 v98, v98, v7
	v_pk_mul_f16 v100, v100, v7
	v_mov_b32_e32 v2, v4
	s_mov_b32 s0, exec_lo
	v_cmpx_gt_i32_e64 s2, v33
	s_cbranch_execnz .LBB73_48
.LBB73_46:
	s_endpgm
.LBB73_47:
	v_mov_b32_e32 v4, v2
	v_mov_b32_e32 v3, v1
	s_mov_b32 s0, exec_lo
	v_cmpx_gt_i32_e64 s2, v33
	s_cbranch_execz .LBB73_46
.LBB73_48:
	s_load_dword s1, s[4:5], 0xd4
	v_mov_b32_e32 v7, 1.0
	s_waitcnt lgkmcnt(0)
	s_cmp_lg_u32 s1, 1
	s_cselect_b32 s5, -1, 0
	s_cmp_eq_u32 s1, 1
	s_cselect_b32 s4, -1, 0
	s_and_b32 vcc_lo, exec_lo, s5
	s_cbranch_vccnz .LBB73_50
; %bb.49:
	v_div_scale_f32 v5, null, v1, v1, 1.0
	v_rcp_f32_e32 v6, v5
	v_fma_f32 v7, -v5, v6, 1.0
	v_fmac_f32_e32 v6, v7, v6
	v_div_scale_f32 v7, vcc_lo, 1.0, v1, 1.0
	v_mul_f32_e32 v8, v7, v6
	v_fma_f32 v9, -v5, v8, v7
	v_fmac_f32_e32 v8, v9, v6
	v_fma_f32 v5, -v5, v8, v7
	v_div_fmas_f32 v5, v5, v6, v8
	v_div_fixup_f32 v7, v5, v1, 1.0
.LBB73_50:
	v_mad_u64_u32 v[5:6], null, s7, s2, v[33:34]
	v_cmp_eq_u32_e32 vcc_lo, 0, v0
	v_cvt_f32_f16_sdwa v9, v98 dst_sel:DWORD dst_unused:UNUSED_PAD src0_sel:WORD_1
	v_cvt_f32_f16_e32 v10, v100
	v_cvt_f32_f16_sdwa v11, v100 dst_sel:DWORD dst_unused:UNUSED_PAD src0_sel:WORD_1
	v_mul_f32_e32 v9, v7, v9
	v_mul_lo_u32 v1, v5, s3
	v_mul_f32_e32 v10, v7, v10
	v_mul_f32_e32 v11, v7, v11
	v_add3_u32 v1, s29, v69, v1
	v_mad_u64_u32 v[5:6], null, s1, v1, s[28:29]
	v_mov_b32_e32 v1, 0
	v_cvt_f32_f16_e32 v6, v98
	v_mul_f32_e32 v8, v7, v6
	v_lshl_add_u32 v0, v5, 7, v70
	v_lshlrev_b64 v[0:1], 2, v[0:1]
	v_add_co_u32 v0, s0, s20, v0
	v_add_co_ci_u32_e64 v1, null, s21, v1, s0
	s_and_b32 s0, vcc_lo, s5
	global_store_dwordx4 v[0:1], v[8:11], off
	s_and_saveexec_b32 s2, s0
	s_cbranch_execz .LBB73_52
; %bb.51:
	v_ashrrev_i32_e32 v6, 31, v5
	v_mov_b32_e32 v7, v3
	v_lshlrev_b64 v[0:1], 3, v[5:6]
	v_mov_b32_e32 v6, v67
	v_add_co_u32 v0, vcc_lo, s22, v0
	v_add_co_ci_u32_e64 v1, null, s23, v1, vcc_lo
	global_store_dwordx2 v[0:1], v[6:7], off
.LBB73_52:
	s_or_b32 exec_lo, exec_lo, s2
	v_mov_b32_e32 v1, 1.0
	s_andn2_b32 vcc_lo, exec_lo, s4
	s_cbranch_vccnz .LBB73_54
; %bb.53:
	v_div_scale_f32 v0, null, v2, v2, 1.0
	v_rcp_f32_e32 v1, v0
	v_fma_f32 v3, -v0, v1, 1.0
	v_fmac_f32_e32 v1, v3, v1
	v_div_scale_f32 v3, vcc_lo, 1.0, v2, 1.0
	v_mul_f32_e32 v6, v3, v1
	v_fma_f32 v7, -v0, v6, v3
	v_fmac_f32_e32 v6, v7, v1
	v_fma_f32 v0, -v0, v6, v3
	v_div_fmas_f32 v0, v0, v1, v6
	v_div_fixup_f32 v1, v0, v2, 1.0
.LBB73_54:
	v_add_nc_u32_e32 v0, s1, v5
	v_mov_b32_e32 v3, 0
	v_cvt_f32_f16_e32 v5, v97
	v_cvt_f32_f16_sdwa v6, v97 dst_sel:DWORD dst_unused:UNUSED_PAD src0_sel:WORD_1
	v_cvt_f32_f16_e32 v7, v99
	v_lshl_add_u32 v2, v0, 7, v70
	v_cvt_f32_f16_sdwa v8, v99 dst_sel:DWORD dst_unused:UNUSED_PAD src0_sel:WORD_1
	v_mul_f32_e32 v5, v1, v5
	v_mul_f32_e32 v6, v1, v6
	;; [unrolled: 1-line block ×3, first 2 shown]
	v_lshlrev_b64 v[2:3], 2, v[2:3]
	v_mul_f32_e32 v8, v1, v8
	v_add_co_u32 v1, vcc_lo, s20, v2
	v_add_co_ci_u32_e64 v2, null, s21, v3, vcc_lo
	global_store_dwordx4 v[1:2], v[5:8], off
	s_and_b32 exec_lo, exec_lo, s0
	s_cbranch_execz .LBB73_46
; %bb.55:
	v_ashrrev_i32_e32 v1, 31, v0
	v_mov_b32_e32 v3, v68
	v_lshlrev_b64 v[0:1], 3, v[0:1]
	v_add_co_u32 v0, vcc_lo, s22, v0
	v_add_co_ci_u32_e64 v1, null, s23, v1, vcc_lo
	global_store_dwordx2 v[0:1], v[3:4], off
	s_endpgm
	.section	.rodata,"a",@progbits
	.p2align	6, 0x0
	.amdhsa_kernel _ZL15flash_attn_tileILi128ELi128ELi2ELi8ELb1EEvPKcS1_S1_S1_S1_PKiPfP15HIP_vector_typeIfLj2EEffffjfiS5_IjLj3EEiiiiiiiiiiiliiliiiiil
		.amdhsa_group_segment_fixed_size 43008
		.amdhsa_private_segment_fixed_size 0
		.amdhsa_kernarg_size 464
		.amdhsa_user_sgpr_count 6
		.amdhsa_user_sgpr_private_segment_buffer 1
		.amdhsa_user_sgpr_dispatch_ptr 0
		.amdhsa_user_sgpr_queue_ptr 0
		.amdhsa_user_sgpr_kernarg_segment_ptr 1
		.amdhsa_user_sgpr_dispatch_id 0
		.amdhsa_user_sgpr_flat_scratch_init 0
		.amdhsa_user_sgpr_private_segment_size 0
		.amdhsa_wavefront_size32 1
		.amdhsa_uses_dynamic_stack 0
		.amdhsa_system_sgpr_private_segment_wavefront_offset 0
		.amdhsa_system_sgpr_workgroup_id_x 1
		.amdhsa_system_sgpr_workgroup_id_y 1
		.amdhsa_system_sgpr_workgroup_id_z 1
		.amdhsa_system_sgpr_workgroup_info 0
		.amdhsa_system_vgpr_workitem_id 1
		.amdhsa_next_free_vgpr 236
		.amdhsa_next_free_sgpr 40
		.amdhsa_reserve_vcc 1
		.amdhsa_reserve_flat_scratch 0
		.amdhsa_float_round_mode_32 0
		.amdhsa_float_round_mode_16_64 0
		.amdhsa_float_denorm_mode_32 3
		.amdhsa_float_denorm_mode_16_64 3
		.amdhsa_dx10_clamp 1
		.amdhsa_ieee_mode 1
		.amdhsa_fp16_overflow 0
		.amdhsa_workgroup_processor_mode 1
		.amdhsa_memory_ordered 1
		.amdhsa_forward_progress 1
		.amdhsa_shared_vgpr_count 0
		.amdhsa_exception_fp_ieee_invalid_op 0
		.amdhsa_exception_fp_denorm_src 0
		.amdhsa_exception_fp_ieee_div_zero 0
		.amdhsa_exception_fp_ieee_overflow 0
		.amdhsa_exception_fp_ieee_underflow 0
		.amdhsa_exception_fp_ieee_inexact 0
		.amdhsa_exception_int_div_zero 0
	.end_amdhsa_kernel
	.section	.text._ZL15flash_attn_tileILi128ELi128ELi2ELi8ELb1EEvPKcS1_S1_S1_S1_PKiPfP15HIP_vector_typeIfLj2EEffffjfiS5_IjLj3EEiiiiiiiiiiiliiliiiiil,"axG",@progbits,_ZL15flash_attn_tileILi128ELi128ELi2ELi8ELb1EEvPKcS1_S1_S1_S1_PKiPfP15HIP_vector_typeIfLj2EEffffjfiS5_IjLj3EEiiiiiiiiiiiliiliiiiil,comdat
.Lfunc_end73:
	.size	_ZL15flash_attn_tileILi128ELi128ELi2ELi8ELb1EEvPKcS1_S1_S1_S1_PKiPfP15HIP_vector_typeIfLj2EEffffjfiS5_IjLj3EEiiiiiiiiiiiliiliiiiil, .Lfunc_end73-_ZL15flash_attn_tileILi128ELi128ELi2ELi8ELb1EEvPKcS1_S1_S1_S1_PKiPfP15HIP_vector_typeIfLj2EEffffjfiS5_IjLj3EEiiiiiiiiiiiliiliiiiil
                                        ; -- End function
	.set _ZL15flash_attn_tileILi128ELi128ELi2ELi8ELb1EEvPKcS1_S1_S1_S1_PKiPfP15HIP_vector_typeIfLj2EEffffjfiS5_IjLj3EEiiiiiiiiiiiliiliiiiil.num_vgpr, 236
	.set _ZL15flash_attn_tileILi128ELi128ELi2ELi8ELb1EEvPKcS1_S1_S1_S1_PKiPfP15HIP_vector_typeIfLj2EEffffjfiS5_IjLj3EEiiiiiiiiiiiliiliiiiil.num_agpr, 0
	.set _ZL15flash_attn_tileILi128ELi128ELi2ELi8ELb1EEvPKcS1_S1_S1_S1_PKiPfP15HIP_vector_typeIfLj2EEffffjfiS5_IjLj3EEiiiiiiiiiiiliiliiiiil.numbered_sgpr, 40
	.set _ZL15flash_attn_tileILi128ELi128ELi2ELi8ELb1EEvPKcS1_S1_S1_S1_PKiPfP15HIP_vector_typeIfLj2EEffffjfiS5_IjLj3EEiiiiiiiiiiiliiliiiiil.num_named_barrier, 0
	.set _ZL15flash_attn_tileILi128ELi128ELi2ELi8ELb1EEvPKcS1_S1_S1_S1_PKiPfP15HIP_vector_typeIfLj2EEffffjfiS5_IjLj3EEiiiiiiiiiiiliiliiiiil.private_seg_size, 0
	.set _ZL15flash_attn_tileILi128ELi128ELi2ELi8ELb1EEvPKcS1_S1_S1_S1_PKiPfP15HIP_vector_typeIfLj2EEffffjfiS5_IjLj3EEiiiiiiiiiiiliiliiiiil.uses_vcc, 1
	.set _ZL15flash_attn_tileILi128ELi128ELi2ELi8ELb1EEvPKcS1_S1_S1_S1_PKiPfP15HIP_vector_typeIfLj2EEffffjfiS5_IjLj3EEiiiiiiiiiiiliiliiiiil.uses_flat_scratch, 0
	.set _ZL15flash_attn_tileILi128ELi128ELi2ELi8ELb1EEvPKcS1_S1_S1_S1_PKiPfP15HIP_vector_typeIfLj2EEffffjfiS5_IjLj3EEiiiiiiiiiiiliiliiiiil.has_dyn_sized_stack, 0
	.set _ZL15flash_attn_tileILi128ELi128ELi2ELi8ELb1EEvPKcS1_S1_S1_S1_PKiPfP15HIP_vector_typeIfLj2EEffffjfiS5_IjLj3EEiiiiiiiiiiiliiliiiiil.has_recursion, 0
	.set _ZL15flash_attn_tileILi128ELi128ELi2ELi8ELb1EEvPKcS1_S1_S1_S1_PKiPfP15HIP_vector_typeIfLj2EEffffjfiS5_IjLj3EEiiiiiiiiiiiliiliiiiil.has_indirect_call, 0
	.section	.AMDGPU.csdata,"",@progbits
; Kernel info:
; codeLenInByte = 26160
; TotalNumSgprs: 42
; NumVgprs: 236
; ScratchSize: 0
; MemoryBound: 0
; FloatMode: 240
; IeeeMode: 1
; LDSByteSize: 43008 bytes/workgroup (compile time only)
; SGPRBlocks: 0
; VGPRBlocks: 29
; NumSGPRsForWavesPerEU: 42
; NumVGPRsForWavesPerEU: 236
; Occupancy: 4
; WaveLimiterHint : 1
; COMPUTE_PGM_RSRC2:SCRATCH_EN: 0
; COMPUTE_PGM_RSRC2:USER_SGPR: 6
; COMPUTE_PGM_RSRC2:TRAP_HANDLER: 0
; COMPUTE_PGM_RSRC2:TGID_X_EN: 1
; COMPUTE_PGM_RSRC2:TGID_Y_EN: 1
; COMPUTE_PGM_RSRC2:TGID_Z_EN: 1
; COMPUTE_PGM_RSRC2:TIDIG_COMP_CNT: 1
	.section	.text._ZL15flash_attn_tileILi128ELi128ELi1ELi8ELb1EEvPKcS1_S1_S1_S1_PKiPfP15HIP_vector_typeIfLj2EEffffjfiS5_IjLj3EEiiiiiiiiiiiliiliiiiil,"axG",@progbits,_ZL15flash_attn_tileILi128ELi128ELi1ELi8ELb1EEvPKcS1_S1_S1_S1_PKiPfP15HIP_vector_typeIfLj2EEffffjfiS5_IjLj3EEiiiiiiiiiiiliiliiiiil,comdat
	.globl	_ZL15flash_attn_tileILi128ELi128ELi1ELi8ELb1EEvPKcS1_S1_S1_S1_PKiPfP15HIP_vector_typeIfLj2EEffffjfiS5_IjLj3EEiiiiiiiiiiiliiliiiiil ; -- Begin function _ZL15flash_attn_tileILi128ELi128ELi1ELi8ELb1EEvPKcS1_S1_S1_S1_PKiPfP15HIP_vector_typeIfLj2EEffffjfiS5_IjLj3EEiiiiiiiiiiiliiliiiiil
	.p2align	8
	.type	_ZL15flash_attn_tileILi128ELi128ELi1ELi8ELb1EEvPKcS1_S1_S1_S1_PKiPfP15HIP_vector_typeIfLj2EEffffjfiS5_IjLj3EEiiiiiiiiiiiliiliiiiil,@function
_ZL15flash_attn_tileILi128ELi128ELi1ELi8ELb1EEvPKcS1_S1_S1_S1_PKiPfP15HIP_vector_typeIfLj2EEffffjfiS5_IjLj3EEiiiiiiiiiiiliiliiiiil: ; @_ZL15flash_attn_tileILi128ELi128ELi1ELi8ELb1EEvPKcS1_S1_S1_S1_PKiPfP15HIP_vector_typeIfLj2EEffffjfiS5_IjLj3EEiiiiiiiiiiiliiliiiiil
; %bb.0:
	s_clause 0x1
	s_load_dwordx4 s[0:3], s[4:5], 0x5c
	s_load_dwordx2 s[30:31], s[4:5], 0x80
	s_mov_b32 s28, s7
	s_mov_b64 s[34:35], 0
	s_waitcnt lgkmcnt(0)
	s_ashr_i32 s7, s3, 31
	s_lshr_b32 s7, s7, 29
	s_add_i32 s7, s3, s7
	s_ashr_i32 s7, s7, 3
	v_cvt_f32_u32_e32 v2, s7
	s_sub_i32 s10, 0, s7
	v_rcp_iflag_f32_e32 v2, v2
	v_mul_f32_e32 v2, 0x4f7ffffe, v2
	v_cvt_u32_f32_e32 v2, v2
	v_readfirstlane_b32 s9, v2
	s_mul_i32 s10, s10, s9
	s_mul_hi_u32 s10, s9, s10
	s_add_i32 s9, s9, s10
	s_mul_hi_u32 s9, s8, s9
	s_mul_i32 s10, s9, s7
	s_add_i32 s11, s9, 1
	s_sub_i32 s10, s8, s10
	s_sub_i32 s12, s10, s7
	s_cmp_ge_u32 s10, s7
	s_cselect_b32 s9, s11, s9
	s_cselect_b32 s10, s12, s10
	s_add_i32 s11, s9, 1
	s_cmp_ge_u32 s10, s7
	s_cselect_b32 s29, s11, s9
	s_abs_i32 s7, s31
	s_lshl_b32 s8, s8, 3
	v_cvt_f32_u32_e32 v2, s7
	s_sub_i32 s10, 0, s7
	s_mul_i32 s11, s29, s3
	s_abs_i32 s12, s3
	s_sub_i32 s33, s8, s11
	v_rcp_iflag_f32_e32 v2, v2
	v_mul_f32_e32 v2, 0x4f7ffffe, v2
	v_cvt_u32_f32_e32 v2, v2
	v_readfirstlane_b32 s9, v2
	s_mul_i32 s10, s10, s9
	s_mul_hi_u32 s10, s9, s10
	s_add_i32 s9, s9, s10
	s_mul_hi_u32 s8, s12, s9
	s_xor_b32 s9, s3, s31
	s_mul_i32 s10, s8, s7
	s_ashr_i32 s9, s9, 31
	s_sub_i32 s10, s12, s10
	s_add_i32 s11, s8, 1
	s_sub_i32 s12, s10, s7
	s_cmp_ge_u32 s10, s7
	s_cselect_b32 s8, s11, s8
	s_cselect_b32 s10, s12, s10
	s_add_i32 s11, s8, 1
	s_cmp_ge_u32 s10, s7
	s_cselect_b32 s7, s11, s8
	s_xor_b32 s7, s7, s9
	s_sub_i32 s31, s7, s9
	s_clause 0x1
	s_load_dwordx16 s[8:23], s[4:5], 0x0
	s_load_dwordx2 s[36:37], s[4:5], 0xb8
	s_abs_i32 s7, s31
	v_cvt_f32_u32_e32 v2, s7
	v_rcp_iflag_f32_e32 v2, v2
	v_mul_f32_e32 v2, 0x4f7ffffe, v2
	s_waitcnt lgkmcnt(0)
	s_cmp_eq_u64 s[14:15], 0
	v_cvt_u32_f32_e32 v2, v2
	v_readfirstlane_b32 s38, v2
	s_cbranch_scc1 .LBB74_2
; %bb.1:
	s_abs_i32 s26, s36
	s_abs_i32 s27, s29
	v_cvt_f32_u32_e32 v2, s26
	s_sub_i32 s25, 0, s26
	v_rcp_iflag_f32_e32 v2, v2
	v_mul_f32_e32 v2, 0x4f7ffffe, v2
	v_cvt_u32_f32_e32 v2, v2
	v_readfirstlane_b32 s24, v2
	s_mul_i32 s25, s25, s24
	s_mul_hi_u32 s25, s24, s25
	s_add_i32 s24, s24, s25
	s_mul_hi_u32 s34, s27, s24
	s_load_dwordx2 s[24:25], s[4:5], 0xc8
	s_mul_i32 s34, s34, s26
	s_sub_i32 s27, s27, s34
	s_ashr_i32 s34, s29, 31
	s_sub_i32 s35, s27, s26
	s_cmp_ge_u32 s27, s26
	s_cselect_b32 s27, s35, s27
	s_sub_i32 s35, s27, s26
	s_cmp_ge_u32 s27, s26
	s_cselect_b32 s26, s35, s27
	s_xor_b32 s26, s26, s34
	s_sub_i32 s26, s26, s34
	s_ashr_i32 s27, s26, 31
	s_waitcnt lgkmcnt(0)
	s_mul_hi_u32 s34, s24, s26
	s_mul_i32 s27, s24, s27
	s_mul_i32 s25, s25, s26
	s_add_i32 s27, s34, s27
	s_mul_i32 s24, s24, s26
	s_add_i32 s27, s27, s25
	s_add_u32 s34, s14, s24
	s_addc_u32 s35, s15, s27
.LBB74_2:
	v_lshrrev_b32_e32 v2, 2, v1
	s_load_dwordx4 s[24:27], s[4:5], 0x70
	v_lshlrev_b32_e32 v3, 1, v1
	v_lshlrev_b32_e32 v35, 3, v0
	v_add_nc_u32_e32 v13, s6, v2
	v_and_b32_e32 v34, 6, v3
	v_or_b32_e32 v14, 1, v3
	v_mul_hi_u32 v2, s0, v13
	v_and_b32_e32 v15, 7, v14
	v_add_nc_u32_e32 v2, v13, v2
	s_waitcnt lgkmcnt(0)
	s_mul_i32 s14, s33, s25
	s_mov_b32 s0, s25
	v_lshrrev_b32_e32 v2, s1, v2
	s_mul_i32 s1, s29, s26
	s_ashr_i32 s15, s1, 31
	s_add_u32 s1, s8, s1
	v_mul_lo_u32 v2, v2, s2
	s_addc_u32 s8, s9, s15
	s_ashr_i32 s9, s14, 31
	s_add_u32 s14, s1, s14
	s_addc_u32 s15, s8, s9
	s_ashr_i32 s1, s25, 31
	s_ashr_i32 s25, s24, 31
	s_lshr_b64 s[8:9], s[24:25], 2
	v_sub_nc_u32_e32 v2, v13, v2
	v_mad_u64_u32 v[4:5], null, s8, v2, 0
	s_lshr_b64 s[8:9], s[0:1], 2
	s_lshr_b32 s0, s25, 2
	v_mad_u64_u32 v[6:7], null, s8, v34, 0
	v_mad_u64_u32 v[8:9], null, s8, v15, 0
	;; [unrolled: 1-line block ×3, first 2 shown]
	v_mov_b32_e32 v5, v7
	s_lshr_b32 s0, s1, 2
	v_mov_b32_e32 v7, v9
	s_cmp_eq_u64 s[18:19], 0
	v_mad_u64_u32 v[11:12], null, s0, v34, v[5:6]
	v_mov_b32_e32 v5, v10
	v_mad_u64_u32 v[9:10], null, s0, v15, v[7:8]
	v_lshlrev_b32_e32 v10, 4, v0
	s_load_dword s0, s[4:5], 0x40
	v_lshlrev_b64 v[4:5], 2, v[4:5]
	v_mov_b32_e32 v7, v11
	v_or_b32_e32 v15, 0x2400, v35
	v_add_co_u32 v11, vcc_lo, s14, v4
	v_add_co_ci_u32_e64 v12, null, s15, v5, vcc_lo
	v_lshlrev_b64 v[4:5], 2, v[6:7]
	v_add_co_u32 v10, vcc_lo, v11, v10
	v_lshlrev_b64 v[6:7], 2, v[8:9]
	v_add_co_ci_u32_e64 v11, null, 0, v12, vcc_lo
	v_add_co_u32 v4, vcc_lo, v10, v4
	v_add_co_ci_u32_e64 v5, null, v11, v5, vcc_lo
	v_add_co_u32 v9, vcc_lo, v10, v6
	v_add_co_ci_u32_e64 v10, null, v11, v7, vcc_lo
	s_clause 0x1
	global_load_dwordx4 v[5:8], v[4:5], off
	global_load_dwordx4 v[9:12], v[9:10], off
	v_lshlrev_b32_e32 v4, 9, v1
	v_add_nc_u32_e32 v16, v15, v4
	s_waitcnt vmcnt(1) lgkmcnt(0)
	v_fma_mixlo_f16 v5, s0, v5, 0
	v_fma_mixlo_f16 v6, s0, v6, 0
	s_waitcnt vmcnt(0)
	v_fma_mixlo_f16 v9, s0, v9, 0
	v_fma_mixlo_f16 v10, s0, v10, 0
	;; [unrolled: 1-line block ×4, first 2 shown]
	v_lshlrev_b32_e32 v6, 16, v6
	v_and_b32_e32 v5, 0xffff, v5
	v_fma_mixlo_f16 v11, s0, v11, 0
	v_fma_mixlo_f16 v12, s0, v12, 0
	v_lshlrev_b32_e32 v10, 16, v10
	v_and_b32_e32 v9, 0xffff, v9
	v_lshlrev_b32_e32 v8, 16, v8
	v_and_b32_e32 v7, 0xffff, v7
	v_or_b32_e32 v5, v6, v5
	v_lshlrev_b32_e32 v12, 16, v12
	v_and_b32_e32 v11, 0xffff, v11
	v_or_b32_e32 v9, v10, v9
	v_or3_b32 v6, v8, v7, 0
	v_or3_b32 v5, 0, 0, v5
	v_lshl_add_u32 v10, v14, 8, v15
	v_or3_b32 v8, v12, v11, 0
	v_or3_b32 v7, 0, 0, v9
	ds_write_b64 v16, v[5:6]
	ds_write_b64 v10, v[7:8]
	s_waitcnt lgkmcnt(0)
	s_barrier
	buffer_gl0_inv
	s_cbranch_scc1 .LBB74_4
; %bb.3:
	s_load_dword s0, s[4:5], 0xd0
	s_mov_b32 s1, 0
	s_waitcnt lgkmcnt(0)
	s_mul_i32 s0, s0, s29
	s_add_i32 s0, s0, s6
	s_lshl_b64 s[0:1], s[0:1], 2
	s_add_u32 s0, s18, s0
	s_addc_u32 s1, s19, s1
	s_load_dword s30, s[0:1], 0x0
.LBB74_4:
	v_mbcnt_lo_u32_b32 v36, -1, 0
	s_lshl_b32 s8, s28, 6
	s_waitcnt lgkmcnt(0)
	s_cmp_lt_i32 s8, s30
	s_cbranch_scc1 .LBB74_7
; %bb.5:
	v_mbcnt_lo_u32_b32 v5, -1, 0
	v_mov_b32_e32 v37, 32
	v_xor_b32_e32 v62, 16, v5
	v_xor_b32_e32 v58, 8, v5
	v_xor_b32_e32 v59, 4, v5
	v_xor_b32_e32 v60, 2, v5
	v_xor_b32_e32 v61, 1, v5
	v_lshlrev_b32_e32 v33, 2, v0
	s_cbranch_execz .LBB74_8
; %bb.6:
	v_mov_b32_e32 v56, 0
	v_mov_b32_e32 v1, 0
	;; [unrolled: 1-line block ×8, first 2 shown]
	s_branch .LBB74_28
.LBB74_7:
                                        ; implicit-def: $vgpr5
                                        ; implicit-def: $vgpr37
                                        ; implicit-def: $vgpr62
                                        ; implicit-def: $vgpr58
                                        ; implicit-def: $vgpr59
                                        ; implicit-def: $vgpr60
                                        ; implicit-def: $vgpr61
	v_lshlrev_b32_e32 v33, 2, v0
.LBB74_8:
	s_clause 0x1
	s_load_dwordx4 s[24:27], s[4:5], 0x98
	s_load_dwordx2 s[0:1], s[4:5], 0x8c
	s_sub_i32 s6, 0, s7
	s_abs_i32 s15, s33
	s_mul_i32 s6, s6, s38
	s_ashr_i32 s36, s33, 31
	s_mul_hi_u32 s6, s38, s6
	s_ashr_i32 s31, s31, 31
	s_add_i32 s38, s38, s6
	s_ashr_i32 s37, s37, 1
	s_mul_hi_u32 s6, s15, s38
	s_ashr_i32 s38, s29, 31
	s_load_dwordx2 s[18:19], s[4:5], 0xa8
	s_mul_i32 s39, s6, s7
	v_lshrrev_b32_e32 v5, 3, v0
	v_and_b32_e32 v12, 28, v33
	v_lshrrev_b32_e32 v8, 4, v0
	v_and_b32_e32 v29, 60, v33
	v_lshl_add_u32 v45, v1, 8, 0x2c00
	v_lshl_add_u32 v6, v1, 2, v5
	s_waitcnt lgkmcnt(0)
	s_ashr_i32 s9, s26, 2
	s_ashr_i32 s14, s0, 2
	s_mul_hi_u32 s0, s24, s29
	s_mul_i32 s26, s24, s38
	s_mul_i32 s25, s25, s29
	s_add_i32 s0, s0, s26
	s_mul_i32 s24, s24, s29
	s_add_i32 s0, s0, s25
	s_add_u32 s24, s10, s24
	s_addc_u32 s0, s11, s0
	s_sub_i32 s10, s15, s39
	s_xor_b32 s11, s36, s31
	s_add_i32 s15, s6, 1
	s_sub_i32 s25, s10, s7
	s_cmp_ge_u32 s10, s7
	v_mul_lo_u32 v5, s14, v6
	s_cselect_b32 s6, s15, s6
	s_cselect_b32 s10, s25, s10
	s_add_i32 s15, s6, 1
	s_cmp_ge_u32 s10, s7
	s_load_dword s10, s[4:5], 0x54
	s_cselect_b32 s6, s15, s6
	s_mul_hi_u32 s7, s18, s29
	s_xor_b32 s6, s6, s11
	s_mul_i32 s25, s18, s38
	s_sub_i32 s6, s6, s11
	s_mul_i32 s19, s19, s29
	s_mul_i32 s1, s6, s1
	;; [unrolled: 1-line block ×3, first 2 shown]
	s_ashr_i32 s15, s1, 31
	s_add_u32 s11, s24, s1
	s_addc_u32 s15, s0, s15
	s_add_i32 s0, s7, s25
	s_mul_i32 s1, s18, s29
	s_add_i32 s0, s0, s19
	s_add_u32 s1, s12, s1
	v_lshlrev_b32_e32 v7, 2, v12
	s_addc_u32 s0, s13, s0
	s_ashr_i32 s7, s6, 31
	s_add_u32 s12, s1, s6
	s_addc_u32 s13, s0, s7
	s_lshl_b32 s0, s14, 4
	v_add_nc_u32_e32 v9, v8, v3
	v_mad_u32_u24 v38, 0x90, v6, v7
	v_add_nc_u32_e32 v7, s0, v5
	v_lshlrev_b32_e32 v14, 2, v29
	v_ashrrev_i32_e32 v6, 31, v5
	v_mul_lo_u32 v3, s9, v9
	v_add_nc_u32_e32 v42, 0x2400, v4
	v_add_nc_u32_e32 v10, s0, v7
	v_lshl_or_b32 v44, v9, 8, v14
	v_mad_u64_u32 v[14:15], null, v2, s37, v[0:1]
	v_ashrrev_i32_e32 v8, 31, v7
	v_add_nc_u32_e32 v21, s0, v10
	s_lshl_b32 s0, s9, 3
	v_ashrrev_i32_e32 v11, 31, v10
	v_add_nc_u32_e32 v25, s0, v3
	v_ashrrev_i32_e32 v4, 31, v3
	v_ashrrev_i32_e32 v22, 31, v21
	v_lshlrev_b64 v[15:16], 2, v[5:6]
	v_lshlrev_b64 v[17:18], 2, v[7:8]
	v_add_nc_u32_e32 v27, s0, v25
	v_ashrrev_i32_e32 v26, 31, v25
	v_lshlrev_b64 v[19:20], 2, v[10:11]
	v_lshlrev_b64 v[21:22], 2, v[21:22]
	;; [unrolled: 1-line block ×3, first 2 shown]
	v_add_nc_u32_e32 v1, s0, v27
	v_ashrrev_i32_e32 v28, 31, v27
	v_lshlrev_b32_e32 v50, 2, v29
	v_lshlrev_b64 v[25:26], 2, v[25:26]
	v_mov_b32_e32 v54, 0
	v_ashrrev_i32_e32 v2, 31, v1
	v_lshlrev_b64 v[27:28], 2, v[27:28]
	v_add_nc_u32_e32 v39, 0x900, v38
	v_add_nc_u32_e32 v40, 0x1200, v38
	;; [unrolled: 1-line block ×3, first 2 shown]
	v_lshlrev_b64 v[29:30], 2, v[1:2]
	v_mul_u32_u24_e32 v43, 0x90, v0
	v_add_nc_u32_e32 v46, 0x800, v44
	v_add_nc_u32_e32 v47, 0x1000, v44
	;; [unrolled: 1-line block ×3, first 2 shown]
	v_mov_b32_e32 v9, 0xfeffffff
	v_lshlrev_b32_e32 v49, 2, v12
	v_mov_b32_e32 v37, 32
	v_mov_b32_e32 v51, 0x10001
	;; [unrolled: 1-line block ×8, first 2 shown]
	s_add_u32 s6, s4, 0xd0
	s_addc_u32 s7, s5, 0
	s_mov_b32 s18, 0xbbbac73d
.LBB74_9:                               ; =>This Inner Loop Header: Depth=1
	s_mul_hi_i32 s1, s8, s14
	s_mul_i32 s0, s8, s14
	v_mov_b32_e32 v31, 0
	s_lshl_b64 s[0:1], s[0:1], 2
	v_mov_b32_e32 v11, 0
	s_add_u32 s0, s11, s0
	s_addc_u32 s1, s15, s1
	v_add_co_u32 v1, vcc_lo, s0, v15
	v_add_co_ci_u32_e64 v2, null, s1, v16, vcc_lo
	v_add_co_u32 v3, vcc_lo, s0, v17
	v_add_co_ci_u32_e64 v4, null, s1, v18, vcc_lo
	;; [unrolled: 2-line block ×8, first 2 shown]
	s_clause 0x3
	global_load_dwordx4 v[58:61], v[1:2], off
	global_load_dwordx4 v[62:65], v[3:4], off
	;; [unrolled: 1-line block ×4, first 2 shown]
	v_mov_b32_e32 v32, 0
	v_mov_b32_e32 v12, 0
	s_waitcnt vmcnt(3)
	ds_write_b128 v38, v[58:61]
	s_waitcnt vmcnt(2)
	ds_write_b128 v39, v[62:65]
	;; [unrolled: 2-line block ×4, first 2 shown]
	s_waitcnt lgkmcnt(0)
	s_barrier
	buffer_gl0_inv
	ds_read_b128 v[58:61], v43
	ds_read_b128 v[62:65], v42
	ds_read_b128 v[66:69], v42 offset:256
	ds_read_b128 v[70:73], v43 offset:4608
	s_waitcnt lgkmcnt(2)
	;;#ASMSTART
	v_dot2_f32_f16 v31, v58, v62, v31
	;;#ASMEND
	;;#ASMSTART
	v_dot2_f32_f16 v31, v59, v63, v31
	;;#ASMEND
	;;#ASMSTART
	v_dot2_f32_f16 v31, v60, v64, v31
	;;#ASMEND
	;;#ASMSTART
	v_dot2_f32_f16 v31, v61, v65, v31
	;;#ASMEND
	s_waitcnt lgkmcnt(1)
	;;#ASMSTART
	v_dot2_f32_f16 v11, v58, v66, v11
	;;#ASMEND
	;;#ASMSTART
	v_dot2_f32_f16 v11, v59, v67, v11
	;;#ASMEND
	;;#ASMSTART
	v_dot2_f32_f16 v11, v60, v68, v11
	;;#ASMEND
	;;#ASMSTART
	v_dot2_f32_f16 v11, v61, v69, v11
	;;#ASMEND
	s_waitcnt lgkmcnt(0)
	;;#ASMSTART
	v_dot2_f32_f16 v32, v70, v62, v32
	;;#ASMEND
	;;#ASMSTART
	v_dot2_f32_f16 v32, v71, v63, v32
	;;#ASMEND
	;;#ASMSTART
	v_dot2_f32_f16 v32, v72, v64, v32
	;;#ASMEND
	;;#ASMSTART
	v_dot2_f32_f16 v32, v73, v65, v32
	;;#ASMEND
	;;#ASMSTART
	v_dot2_f32_f16 v12, v70, v66, v12
	;;#ASMEND
	;;#ASMSTART
	v_dot2_f32_f16 v12, v71, v67, v12
	;;#ASMEND
	;;#ASMSTART
	v_dot2_f32_f16 v12, v72, v68, v12
	;;#ASMEND
	;;#ASMSTART
	v_dot2_f32_f16 v12, v73, v69, v12
	;;#ASMEND
	ds_read_b128 v[58:61], v43 offset:16
	ds_read_b128 v[62:65], v42 offset:16
	ds_read_b128 v[66:69], v42 offset:272
	ds_read_b128 v[70:73], v43 offset:4624
	s_waitcnt lgkmcnt(2)
	;;#ASMSTART
	v_dot2_f32_f16 v31, v58, v62, v31
	;;#ASMEND
	;;#ASMSTART
	v_dot2_f32_f16 v31, v59, v63, v31
	;;#ASMEND
	;;#ASMSTART
	v_dot2_f32_f16 v31, v60, v64, v31
	;;#ASMEND
	;;#ASMSTART
	v_dot2_f32_f16 v31, v61, v65, v31
	;;#ASMEND
	s_waitcnt lgkmcnt(1)
	;;#ASMSTART
	v_dot2_f32_f16 v11, v58, v66, v11
	;;#ASMEND
	;;#ASMSTART
	v_dot2_f32_f16 v11, v59, v67, v11
	;;#ASMEND
	;;#ASMSTART
	v_dot2_f32_f16 v11, v60, v68, v11
	;;#ASMEND
	;;#ASMSTART
	v_dot2_f32_f16 v11, v61, v69, v11
	;;#ASMEND
	s_waitcnt lgkmcnt(0)
	;;#ASMSTART
	v_dot2_f32_f16 v32, v70, v62, v32
	;;#ASMEND
	;;#ASMSTART
	v_dot2_f32_f16 v32, v71, v63, v32
	;;#ASMEND
	;;#ASMSTART
	v_dot2_f32_f16 v32, v72, v64, v32
	;;#ASMEND
	;;#ASMSTART
	v_dot2_f32_f16 v32, v73, v65, v32
	;;#ASMEND
	;;#ASMSTART
	v_dot2_f32_f16 v12, v70, v66, v12
	;;#ASMEND
	;;#ASMSTART
	v_dot2_f32_f16 v12, v71, v67, v12
	;;#ASMEND
	;;#ASMSTART
	v_dot2_f32_f16 v12, v72, v68, v12
	;;#ASMEND
	;;#ASMSTART
	v_dot2_f32_f16 v12, v73, v69, v12
	;;#ASMEND
	ds_read_b128 v[58:61], v43 offset:32
	ds_read_b128 v[62:65], v42 offset:32
	;; [unrolled: 55-line block ×7, first 2 shown]
	ds_read_b128 v[66:69], v42 offset:368
	ds_read_b128 v[70:73], v43 offset:4720
	s_waitcnt lgkmcnt(2)
	;;#ASMSTART
	v_dot2_f32_f16 v31, v58, v62, v31
	;;#ASMEND
	;;#ASMSTART
	v_dot2_f32_f16 v31, v59, v63, v31
	;;#ASMEND
	;;#ASMSTART
	v_dot2_f32_f16 v31, v60, v64, v31
	;;#ASMEND
	;;#ASMSTART
	v_dot2_f32_f16 v31, v61, v65, v31
	;;#ASMEND
	s_waitcnt lgkmcnt(1)
	;;#ASMSTART
	v_dot2_f32_f16 v11, v58, v66, v11
	;;#ASMEND
	;;#ASMSTART
	v_dot2_f32_f16 v11, v59, v67, v11
	;;#ASMEND
	;;#ASMSTART
	v_dot2_f32_f16 v11, v60, v68, v11
	;;#ASMEND
	;;#ASMSTART
	v_dot2_f32_f16 v11, v61, v69, v11
	;;#ASMEND
	;; [unrolled: 13-line block ×3, first 2 shown]
	;;#ASMSTART
	v_dot2_f32_f16 v12, v70, v66, v12
	;;#ASMEND
	;;#ASMSTART
	v_dot2_f32_f16 v12, v71, v67, v12
	;;#ASMEND
	;; [unrolled: 3-line block ×4, first 2 shown]
	s_barrier
	buffer_gl0_inv
	s_clause 0x3
	global_load_dwordx4 v[58:61], v[1:2], off offset:128
	global_load_dwordx4 v[1:4], v[3:4], off offset:128
	;; [unrolled: 1-line block ×4, first 2 shown]
	s_waitcnt vmcnt(3)
	ds_write_b128 v38, v[58:61]
	s_waitcnt vmcnt(2)
	ds_write_b128 v39, v[1:4]
	s_waitcnt vmcnt(1)
	ds_write_b128 v40, v[62:65]
	s_waitcnt vmcnt(0)
	ds_write_b128 v41, v[5:8]
	s_waitcnt lgkmcnt(0)
	s_barrier
	buffer_gl0_inv
	ds_read_b128 v[1:4], v43
	ds_read_b128 v[5:8], v42 offset:128
	ds_read_b128 v[58:61], v42 offset:384
	ds_read_b128 v[62:65], v43 offset:4608
	s_waitcnt lgkmcnt(2)
	;;#ASMSTART
	v_dot2_f32_f16 v31, v1, v5, v31
	;;#ASMEND
	;;#ASMSTART
	v_dot2_f32_f16 v31, v2, v6, v31
	;;#ASMEND
	;;#ASMSTART
	v_dot2_f32_f16 v31, v3, v7, v31
	;;#ASMEND
	;;#ASMSTART
	v_dot2_f32_f16 v31, v4, v8, v31
	;;#ASMEND
	s_waitcnt lgkmcnt(1)
	;;#ASMSTART
	v_dot2_f32_f16 v11, v1, v58, v11
	;;#ASMEND
	;;#ASMSTART
	v_dot2_f32_f16 v11, v2, v59, v11
	;;#ASMEND
	;;#ASMSTART
	v_dot2_f32_f16 v11, v3, v60, v11
	;;#ASMEND
	;;#ASMSTART
	v_dot2_f32_f16 v11, v4, v61, v11
	;;#ASMEND
	s_waitcnt lgkmcnt(0)
	;;#ASMSTART
	v_dot2_f32_f16 v32, v62, v5, v32
	;;#ASMEND
	;;#ASMSTART
	v_dot2_f32_f16 v32, v63, v6, v32
	;;#ASMEND
	;;#ASMSTART
	v_dot2_f32_f16 v32, v64, v7, v32
	;;#ASMEND
	;;#ASMSTART
	v_dot2_f32_f16 v32, v65, v8, v32
	;;#ASMEND
	;;#ASMSTART
	v_dot2_f32_f16 v12, v62, v58, v12
	;;#ASMEND
	;;#ASMSTART
	v_dot2_f32_f16 v12, v63, v59, v12
	;;#ASMEND
	;;#ASMSTART
	v_dot2_f32_f16 v12, v64, v60, v12
	;;#ASMEND
	;;#ASMSTART
	v_dot2_f32_f16 v12, v65, v61, v12
	;;#ASMEND
	ds_read_b128 v[1:4], v43 offset:16
	ds_read_b128 v[5:8], v42 offset:144
	ds_read_b128 v[58:61], v42 offset:400
	ds_read_b128 v[62:65], v43 offset:4624
	s_waitcnt lgkmcnt(2)
	;;#ASMSTART
	v_dot2_f32_f16 v31, v1, v5, v31
	;;#ASMEND
	;;#ASMSTART
	v_dot2_f32_f16 v31, v2, v6, v31
	;;#ASMEND
	;;#ASMSTART
	v_dot2_f32_f16 v31, v3, v7, v31
	;;#ASMEND
	;;#ASMSTART
	v_dot2_f32_f16 v31, v4, v8, v31
	;;#ASMEND
	s_waitcnt lgkmcnt(1)
	;;#ASMSTART
	v_dot2_f32_f16 v11, v1, v58, v11
	;;#ASMEND
	;;#ASMSTART
	v_dot2_f32_f16 v11, v2, v59, v11
	;;#ASMEND
	;;#ASMSTART
	v_dot2_f32_f16 v11, v3, v60, v11
	;;#ASMEND
	;;#ASMSTART
	v_dot2_f32_f16 v11, v4, v61, v11
	;;#ASMEND
	s_waitcnt lgkmcnt(0)
	;;#ASMSTART
	v_dot2_f32_f16 v32, v62, v5, v32
	;;#ASMEND
	;;#ASMSTART
	v_dot2_f32_f16 v32, v63, v6, v32
	;;#ASMEND
	;;#ASMSTART
	v_dot2_f32_f16 v32, v64, v7, v32
	;;#ASMEND
	;;#ASMSTART
	v_dot2_f32_f16 v32, v65, v8, v32
	;;#ASMEND
	;;#ASMSTART
	v_dot2_f32_f16 v12, v62, v58, v12
	;;#ASMEND
	;;#ASMSTART
	v_dot2_f32_f16 v12, v63, v59, v12
	;;#ASMEND
	;;#ASMSTART
	v_dot2_f32_f16 v12, v64, v60, v12
	;;#ASMEND
	;;#ASMSTART
	v_dot2_f32_f16 v12, v65, v61, v12
	;;#ASMEND
	ds_read_b128 v[1:4], v43 offset:32
	;; [unrolled: 55-line block ×7, first 2 shown]
	ds_read_b128 v[5:8], v42 offset:240
	ds_read_b128 v[58:61], v42 offset:496
	;; [unrolled: 1-line block ×3, first 2 shown]
	s_waitcnt lgkmcnt(2)
	;;#ASMSTART
	v_dot2_f32_f16 v31, v1, v5, v31
	;;#ASMEND
	;;#ASMSTART
	v_dot2_f32_f16 v31, v2, v6, v31
	;;#ASMEND
	;; [unrolled: 3-line block ×4, first 2 shown]
	s_waitcnt lgkmcnt(1)
	;;#ASMSTART
	v_dot2_f32_f16 v11, v1, v58, v11
	;;#ASMEND
	;;#ASMSTART
	v_dot2_f32_f16 v11, v2, v59, v11
	;;#ASMEND
	;; [unrolled: 3-line block ×4, first 2 shown]
	s_waitcnt lgkmcnt(0)
	;;#ASMSTART
	v_dot2_f32_f16 v32, v62, v5, v32
	;;#ASMEND
	v_cmp_ngt_f32_e64 s0, 0x3f200000, |v31|
	;;#ASMSTART
	v_dot2_f32_f16 v32, v63, v6, v32
	;;#ASMEND
	;;#ASMSTART
	v_dot2_f32_f16 v32, v64, v7, v32
	;;#ASMEND
	;;#ASMSTART
	v_dot2_f32_f16 v32, v65, v8, v32
	;;#ASMEND
	;;#ASMSTART
	v_dot2_f32_f16 v12, v62, v58, v12
	;;#ASMEND
	;;#ASMSTART
	v_dot2_f32_f16 v12, v63, v59, v12
	;;#ASMEND
	;;#ASMSTART
	v_dot2_f32_f16 v12, v64, v60, v12
	;;#ASMEND
	;;#ASMSTART
	v_dot2_f32_f16 v12, v65, v61, v12
	;;#ASMEND
                                        ; implicit-def: $vgpr3
	s_and_saveexec_b32 s1, s0
	s_xor_b32 s0, exec_lo, s1
	s_cbranch_execz .LBB74_11
; %bb.10:                               ;   in Loop: Header=BB74_9 Depth=1
	v_add_f32_e64 v1, |v31|, |v31|
	v_mul_f32_e32 v2, 0x3fb8aa3b, v1
	v_cmp_ngt_f32_e32 vcc_lo, 0xc2ce8ed0, v1
	v_rndne_f32_e32 v3, v2
	v_fma_f32 v4, 0x3fb8aa3b, v1, -v2
	v_sub_f32_e32 v2, v2, v3
	v_fmac_f32_e32 v4, 0x32a5705f, v1
	v_cvt_i32_f32_e32 v3, v3
	v_add_f32_e32 v2, v2, v4
	v_exp_f32_e32 v2, v2
	v_ldexp_f32 v2, v2, v3
	v_cndmask_b32_e32 v2, 0, v2, vcc_lo
	v_cmp_nlt_f32_e32 vcc_lo, 0x42b17218, v1
	v_cndmask_b32_e32 v1, 0x7f800000, v2, vcc_lo
	v_add_f32_e32 v1, 1.0, v1
	v_rcp_f32_e32 v1, v1
	v_fma_f32 v3, v1, -2.0, 1.0
.LBB74_11:                              ;   in Loop: Header=BB74_9 Depth=1
	s_andn2_saveexec_b32 s0, s0
	s_cbranch_execz .LBB74_13
; %bb.12:                               ;   in Loop: Header=BB74_9 Depth=1
	v_mul_f32_e32 v1, v31, v31
	v_fmaak_f32 v2, s18, v1, 0x3ca908c9
	v_fmaak_f32 v2, v1, v2, 0xbd5c1c4e
	;; [unrolled: 1-line block ×4, first 2 shown]
	v_mul_f32_e64 v2, |v31|, v2
	v_fma_f32 v3, v1, v2, |v31|
.LBB74_13:                              ;   in Loop: Header=BB74_9 Depth=1
	s_or_b32 exec_lo, exec_lo, s0
	v_add_nc_u32_e32 v1, s8, v14
	v_cmp_ngt_f32_e64 s0, 0x3f200000, |v32|
                                        ; implicit-def: $vgpr4
	v_ashrrev_i32_e32 v2, 31, v1
	v_lshlrev_b64 v[1:2], 1, v[1:2]
	v_add_co_u32 v1, vcc_lo, s34, v1
	v_add_co_ci_u32_e64 v2, null, s35, v2, vcc_lo
	global_load_ushort v6, v[1:2], off
	s_and_saveexec_b32 s1, s0
	s_xor_b32 s0, exec_lo, s1
	s_cbranch_execz .LBB74_15
; %bb.14:                               ;   in Loop: Header=BB74_9 Depth=1
	v_add_f32_e64 v4, |v32|, |v32|
	v_mul_f32_e32 v5, 0x3fb8aa3b, v4
	v_cmp_ngt_f32_e32 vcc_lo, 0xc2ce8ed0, v4
	v_rndne_f32_e32 v7, v5
	v_fma_f32 v8, 0x3fb8aa3b, v4, -v5
	v_sub_f32_e32 v5, v5, v7
	v_fmac_f32_e32 v8, 0x32a5705f, v4
	v_cvt_i32_f32_e32 v7, v7
	v_add_f32_e32 v5, v5, v8
	v_exp_f32_e32 v5, v5
	v_ldexp_f32 v5, v5, v7
	v_cndmask_b32_e32 v5, 0, v5, vcc_lo
	v_cmp_nlt_f32_e32 vcc_lo, 0x42b17218, v4
	v_cndmask_b32_e32 v4, 0x7f800000, v5, vcc_lo
	v_add_f32_e32 v4, 1.0, v4
	v_rcp_f32_e32 v4, v4
	v_fma_f32 v4, v4, -2.0, 1.0
.LBB74_15:                              ;   in Loop: Header=BB74_9 Depth=1
	s_andn2_saveexec_b32 s0, s0
	s_cbranch_execz .LBB74_17
; %bb.16:                               ;   in Loop: Header=BB74_9 Depth=1
	v_mul_f32_e32 v4, v32, v32
	v_fmaak_f32 v5, s18, v4, 0x3ca908c9
	v_fmaak_f32 v5, v4, v5, 0xbd5c1c4e
	;; [unrolled: 1-line block ×4, first 2 shown]
	v_mul_f32_e64 v5, |v32|, v5
	v_fma_f32 v4, v4, v5, |v32|
.LBB74_17:                              ;   in Loop: Header=BB74_9 Depth=1
	s_or_b32 exec_lo, exec_lo, s0
	global_load_ushort v8, v[1:2], off offset:64
	v_bfi_b32 v1, 0x7fffffff, v3, v31
	v_bfi_b32 v3, 0x7fffffff, v4, v32
	v_xor_b32_e32 v62, 16, v36
	v_xor_b32_e32 v58, 8, v36
	;; [unrolled: 1-line block ×3, first 2 shown]
	s_waitcnt vmcnt(1)
	v_fma_mix_f32 v2, s10, v1, v6 op_sel_hi:[0,0,1]
	v_xor_b32_e32 v60, 2, v36
	v_cmp_gt_i32_e32 vcc_lo, 32, v62
	v_xor_b32_e32 v61, 1, v36
	v_cmp_ngt_f32_e64 s0, 0x3f200000, |v11|
	v_cndmask_b32_e32 v4, v36, v62, vcc_lo
	v_cmp_gt_i32_e32 vcc_lo, 32, v58
	v_lshlrev_b32_e32 v31, 2, v4
	s_waitcnt vmcnt(0)
	v_fma_mix_f32 v1, s10, v3, v8 op_sel_hi:[0,0,1]
	v_add_f32_e32 v3, 0x40051340, v2
	v_add_f32_e32 v5, 0x40051340, v1
	v_max3_f32 v3, v9, v3, v5
	v_cndmask_b32_e32 v5, v36, v58, vcc_lo
	v_cmp_gt_i32_e32 vcc_lo, 32, v59
	ds_bpermute_b32 v4, v31, v3
	v_lshlrev_b32_e32 v32, 2, v5
	v_cndmask_b32_e32 v5, v36, v59, vcc_lo
	v_cmp_gt_i32_e32 vcc_lo, 32, v60
	v_lshlrev_b32_e32 v63, 2, v5
	v_cndmask_b32_e32 v5, v36, v60, vcc_lo
	v_cmp_gt_i32_e32 vcc_lo, 32, v61
	v_lshlrev_b32_e32 v64, 2, v5
	v_cndmask_b32_e32 v5, v36, v61, vcc_lo
	s_waitcnt lgkmcnt(0)
	v_max_f32_e32 v4, v4, v4
	v_max_f32_e32 v3, v3, v4
	ds_bpermute_b32 v4, v32, v3
	s_waitcnt lgkmcnt(0)
	v_max_f32_e32 v4, v4, v4
	v_max_f32_e32 v3, v3, v4
	ds_bpermute_b32 v4, v63, v3
	;; [unrolled: 4-line block ×3, first 2 shown]
	s_waitcnt lgkmcnt(0)
	v_max_f32_e32 v7, v4, v4
	v_lshlrev_b32_e32 v4, 2, v5
	v_max_f32_e32 v3, v3, v7
                                        ; implicit-def: $vgpr7
	ds_bpermute_b32 v5, v4, v3
	s_and_saveexec_b32 s1, s0
	s_xor_b32 s0, exec_lo, s1
	s_cbranch_execz .LBB74_19
; %bb.18:                               ;   in Loop: Header=BB74_9 Depth=1
	v_add_f32_e64 v7, |v11|, |v11|
	v_mul_f32_e32 v65, 0x3fb8aa3b, v7
	v_cmp_ngt_f32_e32 vcc_lo, 0xc2ce8ed0, v7
	v_rndne_f32_e32 v66, v65
	v_fma_f32 v67, 0x3fb8aa3b, v7, -v65
	v_sub_f32_e32 v65, v65, v66
	v_fmac_f32_e32 v67, 0x32a5705f, v7
	v_cvt_i32_f32_e32 v66, v66
	v_add_f32_e32 v65, v65, v67
	v_exp_f32_e32 v65, v65
	v_ldexp_f32 v65, v65, v66
	v_cndmask_b32_e32 v65, 0, v65, vcc_lo
	v_cmp_nlt_f32_e32 vcc_lo, 0x42b17218, v7
	v_cndmask_b32_e32 v7, 0x7f800000, v65, vcc_lo
	v_add_f32_e32 v7, 1.0, v7
	v_rcp_f32_e32 v7, v7
	v_fma_f32 v7, v7, -2.0, 1.0
.LBB74_19:                              ;   in Loop: Header=BB74_9 Depth=1
	s_andn2_saveexec_b32 s0, s0
	s_cbranch_execz .LBB74_21
; %bb.20:                               ;   in Loop: Header=BB74_9 Depth=1
	v_mul_f32_e32 v7, v11, v11
	v_fmaak_f32 v65, s18, v7, 0x3ca908c9
	v_fmaak_f32 v65, v7, v65, 0xbd5c1c4e
	;; [unrolled: 1-line block ×4, first 2 shown]
	v_mul_f32_e64 v65, |v11|, v65
	v_fma_f32 v7, v7, v65, |v11|
.LBB74_21:                              ;   in Loop: Header=BB74_9 Depth=1
	s_or_b32 exec_lo, exec_lo, s0
	v_cmp_ngt_f32_e64 s0, 0x3f200000, |v12|
                                        ; implicit-def: $vgpr65
	s_and_saveexec_b32 s1, s0
	s_xor_b32 s0, exec_lo, s1
	s_cbranch_execz .LBB74_23
; %bb.22:                               ;   in Loop: Header=BB74_9 Depth=1
	v_add_f32_e64 v65, |v12|, |v12|
	v_mul_f32_e32 v66, 0x3fb8aa3b, v65
	v_cmp_ngt_f32_e32 vcc_lo, 0xc2ce8ed0, v65
	v_rndne_f32_e32 v67, v66
	v_fma_f32 v68, 0x3fb8aa3b, v65, -v66
	v_sub_f32_e32 v66, v66, v67
	v_fmac_f32_e32 v68, 0x32a5705f, v65
	v_cvt_i32_f32_e32 v67, v67
	v_add_f32_e32 v66, v66, v68
	v_exp_f32_e32 v66, v66
	v_ldexp_f32 v66, v66, v67
	v_cndmask_b32_e32 v66, 0, v66, vcc_lo
	v_cmp_nlt_f32_e32 vcc_lo, 0x42b17218, v65
	v_cndmask_b32_e32 v65, 0x7f800000, v66, vcc_lo
	v_add_f32_e32 v65, 1.0, v65
	v_rcp_f32_e32 v65, v65
	v_fma_f32 v65, v65, -2.0, 1.0
.LBB74_23:                              ;   in Loop: Header=BB74_9 Depth=1
	s_andn2_saveexec_b32 s0, s0
	s_cbranch_execz .LBB74_25
; %bb.24:                               ;   in Loop: Header=BB74_9 Depth=1
	v_mul_f32_e32 v65, v12, v12
	v_fmaak_f32 v66, s18, v65, 0x3ca908c9
	v_fmaak_f32 v66, v65, v66, 0xbd5c1c4e
	;; [unrolled: 1-line block ×4, first 2 shown]
	v_mul_f32_e64 v66, |v12|, v66
	v_fma_f32 v65, v65, v66, |v12|
.LBB74_25:                              ;   in Loop: Header=BB74_9 Depth=1
	s_or_b32 exec_lo, exec_lo, s0
	v_bfi_b32 v11, 0x7fffffff, v7, v11
	v_bfi_b32 v12, 0x7fffffff, v65, v12
	v_cvt_f32_f16_e32 v7, v6
	v_cvt_f32_f16_e32 v6, v8
	s_waitcnt lgkmcnt(0)
	v_max_f32_e32 v5, v5, v5
	v_max_f32_e32 v3, v3, v3
	v_fmac_f32_e32 v7, s10, v11
	v_fmac_f32_e32 v6, s10, v12
	s_barrier
	buffer_gl0_inv
	v_add_f32_e32 v8, 0x40051340, v7
	v_add_f32_e32 v11, 0x40051340, v6
	v_max3_f32 v8, v10, v8, v11
	ds_bpermute_b32 v11, v31, v8
	v_max_f32_e32 v31, v3, v5
	v_sub_f32_e32 v2, v2, v31
	v_sub_f32_e32 v1, v1, v31
	v_mul_f32_e32 v3, 0x3fb8aa3b, v2
	v_cmp_ngt_f32_e64 s1, 0xc2ce8ed0, v2
	v_rndne_f32_e32 v5, v3
	s_waitcnt lgkmcnt(0)
	v_max_f32_e32 v11, v11, v11
	v_max_f32_e32 v8, v8, v11
	ds_bpermute_b32 v11, v32, v8
	s_waitcnt lgkmcnt(0)
	v_max_f32_e32 v11, v11, v11
	v_max_f32_e32 v8, v8, v11
	ds_bpermute_b32 v11, v63, v8
	;; [unrolled: 4-line block ×4, first 2 shown]
	s_waitcnt lgkmcnt(0)
	v_max_f32_e32 v4, v4, v4
	v_max_f32_e32 v32, v8, v4
	v_fma_f32 v4, 0x3fb8aa3b, v2, -v3
	v_sub_f32_e32 v3, v3, v5
	v_cvt_i32_f32_e32 v5, v5
	v_sub_f32_e32 v6, v6, v32
	v_fmac_f32_e32 v4, 0x32a5705f, v2
	v_sub_f32_e32 v68, v10, v32
	v_cmp_ngt_f32_e64 s0, 0xc2ce8ed0, v6
	v_add_f32_e32 v3, v3, v4
	v_mul_f32_e32 v4, 0x3fb8aa3b, v1
	v_exp_f32_e32 v3, v3
	v_fma_f32 v8, 0x3fb8aa3b, v1, -v4
	v_rndne_f32_e32 v11, v4
	v_fmac_f32_e32 v8, 0x32a5705f, v1
	v_sub_f32_e32 v4, v4, v11
	v_ldexp_f32 v3, v3, v5
	v_cvt_i32_f32_e32 v5, v11
	v_add_f32_e32 v4, v4, v8
	v_cndmask_b32_e64 v3, 0, v3, s1
	v_cmp_nlt_f32_e64 s1, 0x42b17218, v2
	v_exp_f32_e32 v4, v4
	v_cndmask_b32_e64 v64, 0x7f800000, v3, s1
	s_mul_hi_i32 s1, s8, s9
	v_cvt_f16_f32_e32 v2, v64
	v_ldexp_f32 v4, v4, v5
	v_sub_f32_e32 v5, v7, v32
	v_mul_f32_e32 v7, 0x3fb8aa3b, v5
	v_cmp_ngt_f32_e32 vcc_lo, 0xc2ce8ed0, v5
	v_fma_f32 v8, 0x3fb8aa3b, v5, -v7
	v_rndne_f32_e32 v11, v7
	v_fmac_f32_e32 v8, 0x32a5705f, v5
	v_sub_f32_e32 v7, v7, v11
	v_cvt_i32_f32_e32 v11, v11
	v_add_f32_e32 v7, v7, v8
	v_mul_f32_e32 v8, 0x3fb8aa3b, v6
	v_exp_f32_e32 v7, v7
	v_fma_f32 v12, 0x3fb8aa3b, v6, -v8
	v_rndne_f32_e32 v63, v8
	v_fmac_f32_e32 v12, 0x32a5705f, v6
	v_sub_f32_e32 v8, v8, v63
	v_ldexp_f32 v7, v7, v11
	v_cvt_i32_f32_e32 v11, v63
	v_add_f32_e32 v8, v8, v12
	v_cndmask_b32_e32 v7, 0, v7, vcc_lo
	v_cmp_nlt_f32_e32 vcc_lo, 0x42b17218, v5
	v_exp_f32_e32 v8, v8
	v_cndmask_b32_e32 v63, 0x7f800000, v7, vcc_lo
	v_cmp_ngt_f32_e32 vcc_lo, 0xc2ce8ed0, v1
	v_cvt_f16_f32_e32 v3, v63
	v_ldexp_f32 v8, v8, v11
	v_pack_b32_f16 v2, v2, v3
	v_cndmask_b32_e64 v5, 0, v8, s0
	v_cmp_nlt_f32_e64 s0, 0x42b17218, v6
	v_cndmask_b32_e32 v3, 0, v4, vcc_lo
	v_cmp_nlt_f32_e32 vcc_lo, 0x42b17218, v1
	v_cndmask_b32_e64 v65, 0x7f800000, v5, s0
	s_mul_i32 s0, s8, s9
	v_cndmask_b32_e32 v66, 0x7f800000, v3, vcc_lo
	s_lshl_b64 s[0:1], s[0:1], 2
	v_cvt_f16_f32_e32 v3, v65
	s_add_u32 s0, s12, s0
	v_cvt_f16_f32_e32 v1, v66
	s_addc_u32 s1, s13, s1
	v_pack_b32_f16 v1, v1, v3
	v_add_nc_u32_e32 v3, v45, v33
	ds_write2_b32 v3, v2, v1 offset1:32
	v_add_co_u32 v1, vcc_lo, s0, v23
	v_add_co_ci_u32_e64 v2, null, s1, v24, vcc_lo
	v_add_co_u32 v1, vcc_lo, v1, v50
	v_add_co_ci_u32_e64 v2, null, 0, v2, vcc_lo
	;; [unrolled: 2-line block ×4, first 2 shown]
	s_clause 0x1
	global_load_dwordx4 v[1:4], v[1:2], off
	global_load_dwordx4 v[5:8], v[5:6], off
	s_waitcnt vmcnt(1)
	ds_write_b128 v44, v[1:4]
	s_waitcnt vmcnt(0)
	ds_write_b128 v46, v[5:8]
	v_add_co_u32 v1, vcc_lo, s0, v27
	v_add_co_ci_u32_e64 v2, null, s1, v28, vcc_lo
	v_add_co_u32 v1, vcc_lo, v1, v50
	v_add_co_ci_u32_e64 v2, null, 0, v2, vcc_lo
	;; [unrolled: 2-line block ×3, first 2 shown]
	s_or_b32 s0, s8, 32
	v_add_co_u32 v5, vcc_lo, v3, v50
	v_add_co_ci_u32_e64 v6, null, 0, v4, vcc_lo
	s_clause 0x1
	global_load_dwordx4 v[1:4], v[1:2], off
	global_load_dwordx4 v[5:8], v[5:6], off
	s_mul_hi_i32 s1, s0, s9
	s_mul_i32 s0, s0, s9
	s_waitcnt vmcnt(1)
	ds_write_b128 v47, v[1:4]
	s_waitcnt vmcnt(0)
	ds_write_b128 v48, v[5:8]
	v_sub_f32_e32 v1, v9, v31
	s_waitcnt lgkmcnt(0)
	s_barrier
	buffer_gl0_inv
	s_lshl_b64 s[0:1], s[0:1], 2
	v_mul_f32_e32 v2, 0x3fb8aa3b, v1
	v_cmp_ngt_f32_e32 vcc_lo, 0xc2ce8ed0, v1
	s_add_u32 s0, s12, s0
	s_addc_u32 s1, s13, s1
	v_fma_f32 v3, 0x3fb8aa3b, v1, -v2
	v_rndne_f32_e32 v4, v2
	v_fmac_f32_e32 v3, 0x32a5705f, v1
	v_sub_f32_e32 v2, v2, v4
	v_cvt_i32_f32_e32 v4, v4
	v_add_f32_e32 v2, v2, v3
	v_mul_f32_e32 v3, 0x3fb8aa3b, v68
	v_exp_f32_e32 v2, v2
	v_fma_f32 v5, 0x3fb8aa3b, v68, -v3
	v_rndne_f32_e32 v6, v3
	v_fmac_f32_e32 v5, 0x32a5705f, v68
	v_sub_f32_e32 v3, v3, v6
	v_ldexp_f32 v2, v2, v4
	v_cvt_i32_f32_e32 v4, v6
	v_add_f32_e32 v3, v3, v5
	v_cndmask_b32_e32 v2, 0, v2, vcc_lo
	v_cmp_nlt_f32_e32 vcc_lo, 0x42b17218, v1
	v_exp_f32_e32 v3, v3
	v_cndmask_b32_e32 v67, 0x7f800000, v2, vcc_lo
	v_cmp_ngt_f32_e32 vcc_lo, 0xc2ce8ed0, v68
	v_cvt_f16_f32_e32 v1, v67
	v_ldexp_f32 v69, v3, v4
	v_mul_u32_u24_sdwa v70, v1, v51 dst_sel:DWORD dst_unused:UNUSED_PAD src0_sel:WORD_0 src1_sel:DWORD
	ds_read_b128 v[5:8], v45
	ds_read_b128 v[1:4], v45 offset:16
	ds_read2_b64 v[9:12], v35 offset1:32
	v_cndmask_b32_e32 v69, 0, v69, vcc_lo
	v_cmp_nlt_f32_e32 vcc_lo, 0x42b17218, v68
	v_pk_mul_f16 v57, v57, v70
	v_cndmask_b32_e32 v68, 0x7f800000, v69, vcc_lo
	v_cvt_f16_f32_e32 v69, v68
	v_mul_u32_u24_sdwa v69, v69, v51 dst_sel:DWORD dst_unused:UNUSED_PAD src0_sel:WORD_0 src1_sel:DWORD
	s_waitcnt lgkmcnt(2)
	v_mul_u32_u24_sdwa v71, v5, v51 dst_sel:DWORD dst_unused:UNUSED_PAD src0_sel:WORD_0 src1_sel:DWORD
	v_mul_u32_u24_sdwa v5, v5, v51 dst_sel:DWORD dst_unused:UNUSED_PAD src0_sel:WORD_1 src1_sel:DWORD
	v_pk_mul_f16 v54, v54, v69
	s_waitcnt lgkmcnt(0)
	v_pk_mul_f16 v72, v9, v71
	v_pk_mul_f16 v9, v9, v5
	v_pk_fma_f16 v5, v10, v5, v54
	v_pk_fma_f16 v56, v56, v70, v72
	;; [unrolled: 1-line block ×4, first 2 shown]
	v_mul_u32_u24_sdwa v10, v6, v51 dst_sel:DWORD dst_unused:UNUSED_PAD src0_sel:WORD_0 src1_sel:DWORD
	v_mul_u32_u24_sdwa v6, v6, v51 dst_sel:DWORD dst_unused:UNUSED_PAD src0_sel:WORD_1 src1_sel:DWORD
	v_mul_u32_u24_sdwa v57, v8, v51 dst_sel:DWORD dst_unused:UNUSED_PAD src0_sel:WORD_1 src1_sel:DWORD
	v_pk_fma_f16 v54, v12, v10, v55
	v_pk_fma_f16 v10, v11, v10, v56
	;; [unrolled: 1-line block ×4, first 2 shown]
	v_mul_u32_u24_sdwa v11, v7, v51 dst_sel:DWORD dst_unused:UNUSED_PAD src0_sel:WORD_0 src1_sel:DWORD
	v_mul_u32_u24_sdwa v55, v7, v51 dst_sel:DWORD dst_unused:UNUSED_PAD src0_sel:WORD_1 src1_sel:DWORD
	v_mul_u32_u24_sdwa v56, v8, v51 dst_sel:DWORD dst_unused:UNUSED_PAD src0_sel:WORD_0 src1_sel:DWORD
	ds_read2_b64 v[5:8], v35 offset0:64 offset1:96
	s_waitcnt lgkmcnt(0)
	v_pk_fma_f16 v54, v6, v11, v54
	v_pk_fma_f16 v10, v5, v11, v10
	;; [unrolled: 1-line block ×8, first 2 shown]
	ds_read2_b64 v[5:8], v35 offset0:128 offset1:160
	v_mul_u32_u24_sdwa v54, v1, v51 dst_sel:DWORD dst_unused:UNUSED_PAD src0_sel:WORD_0 src1_sel:DWORD
	v_mul_u32_u24_sdwa v1, v1, v51 dst_sel:DWORD dst_unused:UNUSED_PAD src0_sel:WORD_1 src1_sel:DWORD
	s_waitcnt lgkmcnt(0)
	v_pk_fma_f16 v9, v6, v54, v9
	v_pk_fma_f16 v10, v5, v54, v10
	;; [unrolled: 1-line block ×4, first 2 shown]
	v_mul_u32_u24_sdwa v5, v2, v51 dst_sel:DWORD dst_unused:UNUSED_PAD src0_sel:WORD_0 src1_sel:DWORD
	v_mul_u32_u24_sdwa v2, v2, v51 dst_sel:DWORD dst_unused:UNUSED_PAD src0_sel:WORD_1 src1_sel:DWORD
	v_mul_u32_u24_sdwa v11, v4, v51 dst_sel:DWORD dst_unused:UNUSED_PAD src0_sel:WORD_0 src1_sel:DWORD
	v_mul_u32_u24_sdwa v12, v4, v51 dst_sel:DWORD dst_unused:UNUSED_PAD src0_sel:WORD_1 src1_sel:DWORD
	v_pk_fma_f16 v9, v8, v5, v9
	v_pk_fma_f16 v5, v7, v5, v10
	;; [unrolled: 1-line block ×4, first 2 shown]
	v_mul_u32_u24_sdwa v8, v3, v51 dst_sel:DWORD dst_unused:UNUSED_PAD src0_sel:WORD_0 src1_sel:DWORD
	v_mul_u32_u24_sdwa v10, v3, v51 dst_sel:DWORD dst_unused:UNUSED_PAD src0_sel:WORD_1 src1_sel:DWORD
	ds_read2_b64 v[1:4], v35 offset0:192 offset1:224
	s_waitcnt lgkmcnt(0)
	v_pk_fma_f16 v9, v2, v8, v9
	v_pk_fma_f16 v5, v1, v8, v5
	;; [unrolled: 1-line block ×4, first 2 shown]
	v_add_nc_u32_e32 v7, 0x800, v35
	v_pk_fma_f16 v6, v4, v11, v9
	v_pk_fma_f16 v5, v3, v11, v5
	;; [unrolled: 1-line block ×4, first 2 shown]
	ds_read_b128 v[1:4], v45 offset:32
	ds_read_b128 v[8:11], v45 offset:48
	ds_read2_b64 v[54:57], v7 offset1:32
	s_waitcnt lgkmcnt(2)
	v_mul_u32_u24_sdwa v70, v1, v51 dst_sel:DWORD dst_unused:UNUSED_PAD src0_sel:WORD_0 src1_sel:DWORD
	v_mul_u32_u24_sdwa v1, v1, v51 dst_sel:DWORD dst_unused:UNUSED_PAD src0_sel:WORD_1 src1_sel:DWORD
	s_waitcnt lgkmcnt(0)
	v_pk_fma_f16 v6, v55, v70, v6
	v_pk_fma_f16 v5, v54, v70, v5
	;; [unrolled: 1-line block ×4, first 2 shown]
	v_mul_u32_u24_sdwa v12, v2, v51 dst_sel:DWORD dst_unused:UNUSED_PAD src0_sel:WORD_0 src1_sel:DWORD
	v_mul_u32_u24_sdwa v2, v2, v51 dst_sel:DWORD dst_unused:UNUSED_PAD src0_sel:WORD_1 src1_sel:DWORD
	v_mul_u32_u24_sdwa v69, v4, v51 dst_sel:DWORD dst_unused:UNUSED_PAD src0_sel:WORD_1 src1_sel:DWORD
	v_pk_fma_f16 v6, v57, v12, v6
	v_pk_fma_f16 v5, v56, v12, v5
	;; [unrolled: 1-line block ×4, first 2 shown]
	v_mul_u32_u24_sdwa v55, v3, v51 dst_sel:DWORD dst_unused:UNUSED_PAD src0_sel:WORD_0 src1_sel:DWORD
	v_mul_u32_u24_sdwa v56, v3, v51 dst_sel:DWORD dst_unused:UNUSED_PAD src0_sel:WORD_1 src1_sel:DWORD
	v_mul_u32_u24_sdwa v57, v4, v51 dst_sel:DWORD dst_unused:UNUSED_PAD src0_sel:WORD_0 src1_sel:DWORD
	ds_read2_b64 v[1:4], v7 offset0:64 offset1:96
	s_waitcnt lgkmcnt(0)
	v_pk_fma_f16 v6, v2, v55, v6
	v_pk_fma_f16 v5, v1, v55, v5
	;; [unrolled: 1-line block ×4, first 2 shown]
	v_mul_u32_u24_sdwa v55, v8, v51 dst_sel:DWORD dst_unused:UNUSED_PAD src0_sel:WORD_0 src1_sel:DWORD
	v_pk_fma_f16 v6, v4, v57, v6
	v_pk_fma_f16 v5, v3, v57, v5
	;; [unrolled: 1-line block ×4, first 2 shown]
	ds_read2_b64 v[1:4], v7 offset0:128 offset1:160
	v_mul_u32_u24_sdwa v8, v8, v51 dst_sel:DWORD dst_unused:UNUSED_PAD src0_sel:WORD_1 src1_sel:DWORD
	s_waitcnt lgkmcnt(0)
	v_pk_fma_f16 v6, v2, v55, v6
	v_pk_fma_f16 v5, v1, v55, v5
	v_pk_fma_f16 v2, v2, v8, v12
	v_pk_fma_f16 v1, v1, v8, v54
	v_mul_u32_u24_sdwa v8, v9, v51 dst_sel:DWORD dst_unused:UNUSED_PAD src0_sel:WORD_0 src1_sel:DWORD
	v_mul_u32_u24_sdwa v12, v10, v51 dst_sel:DWORD dst_unused:UNUSED_PAD src0_sel:WORD_0 src1_sel:DWORD
	v_mul_u32_u24_sdwa v10, v10, v51 dst_sel:DWORD dst_unused:UNUSED_PAD src0_sel:WORD_1 src1_sel:DWORD
	v_mul_u32_u24_sdwa v54, v11, v51 dst_sel:DWORD dst_unused:UNUSED_PAD src0_sel:WORD_0 src1_sel:DWORD
	v_mul_u32_u24_sdwa v11, v11, v51 dst_sel:DWORD dst_unused:UNUSED_PAD src0_sel:WORD_1 src1_sel:DWORD
	v_pk_fma_f16 v6, v4, v8, v6
	v_pk_fma_f16 v5, v3, v8, v5
	v_mul_u32_u24_sdwa v8, v9, v51 dst_sel:DWORD dst_unused:UNUSED_PAD src0_sel:WORD_1 src1_sel:DWORD
	v_pk_fma_f16 v9, v4, v8, v2
	v_pk_fma_f16 v8, v3, v8, v1
	ds_read2_b64 v[1:4], v7 offset0:192 offset1:224
	s_waitcnt lgkmcnt(0)
	v_pk_fma_f16 v5, v1, v12, v5
	v_pk_fma_f16 v6, v2, v12, v6
	v_pk_fma_f16 v2, v2, v10, v9
	v_pk_fma_f16 v1, v1, v10, v8
	v_pk_fma_f16 v12, v3, v54, v5
	v_add_nc_u32_e32 v5, 0x1000, v35
	v_pk_fma_f16 v6, v4, v54, v6
	v_pk_fma_f16 v69, v4, v11, v2
	;; [unrolled: 1-line block ×3, first 2 shown]
	ds_read_b128 v[1:4], v45 offset:64
	ds_read_b128 v[8:11], v45 offset:80
	ds_read2_b64 v[54:57], v5 offset1:32
	s_waitcnt lgkmcnt(2)
	v_mul_u32_u24_sdwa v71, v1, v51 dst_sel:DWORD dst_unused:UNUSED_PAD src0_sel:WORD_0 src1_sel:DWORD
	v_mul_u32_u24_sdwa v1, v1, v51 dst_sel:DWORD dst_unused:UNUSED_PAD src0_sel:WORD_1 src1_sel:DWORD
	s_waitcnt lgkmcnt(0)
	v_pk_fma_f16 v6, v55, v71, v6
	v_pk_fma_f16 v12, v54, v71, v12
	;; [unrolled: 1-line block ×4, first 2 shown]
	v_mul_u32_u24_sdwa v54, v2, v51 dst_sel:DWORD dst_unused:UNUSED_PAD src0_sel:WORD_0 src1_sel:DWORD
	v_mul_u32_u24_sdwa v2, v2, v51 dst_sel:DWORD dst_unused:UNUSED_PAD src0_sel:WORD_1 src1_sel:DWORD
	v_mul_u32_u24_sdwa v69, v4, v51 dst_sel:DWORD dst_unused:UNUSED_PAD src0_sel:WORD_0 src1_sel:DWORD
	v_mul_u32_u24_sdwa v70, v4, v51 dst_sel:DWORD dst_unused:UNUSED_PAD src0_sel:WORD_1 src1_sel:DWORD
	v_pk_fma_f16 v6, v57, v54, v6
	v_pk_fma_f16 v12, v56, v54, v12
	v_pk_fma_f16 v54, v57, v2, v55
	v_pk_fma_f16 v55, v56, v2, v1
	v_mul_u32_u24_sdwa v56, v3, v51 dst_sel:DWORD dst_unused:UNUSED_PAD src0_sel:WORD_0 src1_sel:DWORD
	v_mul_u32_u24_sdwa v57, v3, v51 dst_sel:DWORD dst_unused:UNUSED_PAD src0_sel:WORD_1 src1_sel:DWORD
	ds_read2_b64 v[1:4], v5 offset0:64 offset1:96
	s_waitcnt lgkmcnt(0)
	v_pk_fma_f16 v6, v2, v56, v6
	v_pk_fma_f16 v12, v1, v56, v12
	v_pk_fma_f16 v2, v2, v57, v54
	v_pk_fma_f16 v1, v1, v57, v55
	v_mul_u32_u24_sdwa v56, v8, v51 dst_sel:DWORD dst_unused:UNUSED_PAD src0_sel:WORD_0 src1_sel:DWORD
	v_pk_fma_f16 v6, v4, v69, v6
	v_pk_fma_f16 v12, v3, v69, v12
	;; [unrolled: 1-line block ×4, first 2 shown]
	ds_read2_b64 v[1:4], v5 offset0:128 offset1:160
	v_mul_u32_u24_sdwa v8, v8, v51 dst_sel:DWORD dst_unused:UNUSED_PAD src0_sel:WORD_1 src1_sel:DWORD
	s_waitcnt lgkmcnt(0)
	v_pk_fma_f16 v6, v2, v56, v6
	v_pk_fma_f16 v12, v1, v56, v12
	;; [unrolled: 1-line block ×4, first 2 shown]
	v_mul_u32_u24_sdwa v8, v9, v51 dst_sel:DWORD dst_unused:UNUSED_PAD src0_sel:WORD_0 src1_sel:DWORD
	v_mul_u32_u24_sdwa v9, v9, v51 dst_sel:DWORD dst_unused:UNUSED_PAD src0_sel:WORD_1 src1_sel:DWORD
	v_mul_u32_u24_sdwa v54, v10, v51 dst_sel:DWORD dst_unused:UNUSED_PAD src0_sel:WORD_0 src1_sel:DWORD
	v_mul_u32_u24_sdwa v10, v10, v51 dst_sel:DWORD dst_unused:UNUSED_PAD src0_sel:WORD_1 src1_sel:DWORD
	v_mul_u32_u24_sdwa v55, v11, v51 dst_sel:DWORD dst_unused:UNUSED_PAD src0_sel:WORD_0 src1_sel:DWORD
	v_pk_fma_f16 v6, v4, v8, v6
	v_pk_fma_f16 v8, v3, v8, v12
	;; [unrolled: 1-line block ×4, first 2 shown]
	ds_read2_b64 v[1:4], v5 offset0:192 offset1:224
	v_mul_u32_u24_sdwa v11, v11, v51 dst_sel:DWORD dst_unused:UNUSED_PAD src0_sel:WORD_1 src1_sel:DWORD
	s_waitcnt lgkmcnt(0)
	v_pk_fma_f16 v6, v2, v54, v6
	v_pk_fma_f16 v8, v1, v54, v8
	;; [unrolled: 1-line block ×5, first 2 shown]
	v_add_nc_u32_e32 v6, 0x1800, v35
	v_pk_fma_f16 v69, v3, v55, v8
	v_pk_fma_f16 v70, v4, v11, v2
	v_pk_fma_f16 v71, v3, v11, v1
	ds_read_b128 v[1:4], v45 offset:96
	ds_read_b128 v[54:57], v45 offset:112
	ds_read2_b64 v[8:11], v6 offset1:32
	s_waitcnt lgkmcnt(2)
	v_mul_u32_u24_sdwa v72, v1, v51 dst_sel:DWORD dst_unused:UNUSED_PAD src0_sel:WORD_0 src1_sel:DWORD
	v_mul_u32_u24_sdwa v1, v1, v51 dst_sel:DWORD dst_unused:UNUSED_PAD src0_sel:WORD_1 src1_sel:DWORD
	s_waitcnt lgkmcnt(0)
	v_pk_fma_f16 v12, v9, v72, v12
	v_pk_fma_f16 v69, v8, v72, v69
	;; [unrolled: 1-line block ×4, first 2 shown]
	v_mul_u32_u24_sdwa v8, v2, v51 dst_sel:DWORD dst_unused:UNUSED_PAD src0_sel:WORD_0 src1_sel:DWORD
	v_mul_u32_u24_sdwa v2, v2, v51 dst_sel:DWORD dst_unused:UNUSED_PAD src0_sel:WORD_1 src1_sel:DWORD
	v_mul_u32_u24_sdwa v70, v4, v51 dst_sel:DWORD dst_unused:UNUSED_PAD src0_sel:WORD_0 src1_sel:DWORD
	v_mul_u32_u24_sdwa v71, v4, v51 dst_sel:DWORD dst_unused:UNUSED_PAD src0_sel:WORD_1 src1_sel:DWORD
	v_pk_fma_f16 v12, v11, v8, v12
	v_pk_fma_f16 v8, v10, v8, v69
	;; [unrolled: 1-line block ×4, first 2 shown]
	v_mul_u32_u24_sdwa v11, v3, v51 dst_sel:DWORD dst_unused:UNUSED_PAD src0_sel:WORD_0 src1_sel:DWORD
	v_mul_u32_u24_sdwa v69, v3, v51 dst_sel:DWORD dst_unused:UNUSED_PAD src0_sel:WORD_1 src1_sel:DWORD
	ds_read2_b64 v[1:4], v6 offset0:64 offset1:96
	s_waitcnt lgkmcnt(0)
	v_pk_fma_f16 v12, v2, v11, v12
	v_pk_fma_f16 v8, v1, v11, v8
	;; [unrolled: 1-line block ×8, first 2 shown]
	ds_read2_b64 v[1:4], v6 offset0:128 offset1:160
	v_mul_u32_u24_sdwa v12, v54, v51 dst_sel:DWORD dst_unused:UNUSED_PAD src0_sel:WORD_0 src1_sel:DWORD
	v_mul_u32_u24_sdwa v70, v56, v51 dst_sel:DWORD dst_unused:UNUSED_PAD src0_sel:WORD_0 src1_sel:DWORD
	s_waitcnt lgkmcnt(0)
	v_pk_fma_f16 v9, v2, v12, v9
	v_pk_fma_f16 v8, v1, v12, v8
	v_mul_u32_u24_sdwa v12, v54, v51 dst_sel:DWORD dst_unused:UNUSED_PAD src0_sel:WORD_1 src1_sel:DWORD
	v_pk_fma_f16 v2, v2, v12, v10
	v_mul_u32_u24_sdwa v10, v55, v51 dst_sel:DWORD dst_unused:UNUSED_PAD src0_sel:WORD_0 src1_sel:DWORD
	v_pk_fma_f16 v1, v1, v12, v11
	v_mul_u32_u24_sdwa v12, v56, v51 dst_sel:DWORD dst_unused:UNUSED_PAD src0_sel:WORD_1 src1_sel:DWORD
	v_pk_fma_f16 v69, v3, v10, v8
	v_mul_u32_u24_sdwa v8, v55, v51 dst_sel:DWORD dst_unused:UNUSED_PAD src0_sel:WORD_1 src1_sel:DWORD
	v_pk_fma_f16 v54, v4, v10, v9
	v_mul_u32_u24_sdwa v9, v57, v51 dst_sel:DWORD dst_unused:UNUSED_PAD src0_sel:WORD_0 src1_sel:DWORD
	v_pk_fma_f16 v55, v4, v8, v2
	v_pk_fma_f16 v11, v3, v8, v1
	ds_read2_b64 v[1:4], v6 offset0:192 offset1:224
	v_mul_u32_u24_sdwa v8, v57, v51 dst_sel:DWORD dst_unused:UNUSED_PAD src0_sel:WORD_1 src1_sel:DWORD
	s_waitcnt lgkmcnt(0)
	s_barrier
	buffer_gl0_inv
	v_pk_fma_f16 v10, v2, v70, v54
	v_pk_fma_f16 v54, v1, v70, v69
	;; [unrolled: 1-line block ×7, first 2 shown]
	v_add_co_u32 v1, vcc_lo, s0, v23
	v_pk_fma_f16 v70, v4, v8, v2
	v_add_co_ci_u32_e64 v2, null, s1, v24, vcc_lo
	v_add_co_u32 v1, vcc_lo, v1, v50
	v_add_co_ci_u32_e64 v2, null, 0, v2, vcc_lo
	v_add_co_u32 v3, vcc_lo, s0, v25
	;; [unrolled: 2-line block ×3, first 2 shown]
	v_add_co_ci_u32_e64 v9, null, 0, v4, vcc_lo
	s_clause 0x1
	global_load_dwordx4 v[1:4], v[1:2], off
	global_load_dwordx4 v[8:11], v[8:9], off
	s_waitcnt vmcnt(1)
	ds_write_b128 v44, v[1:4]
	s_waitcnt vmcnt(0)
	ds_write_b128 v46, v[8:11]
	v_add_co_u32 v1, vcc_lo, s0, v27
	v_add_co_ci_u32_e64 v2, null, s1, v28, vcc_lo
	v_add_co_u32 v1, vcc_lo, v1, v50
	v_add_co_ci_u32_e64 v2, null, 0, v2, vcc_lo
	;; [unrolled: 2-line block ×4, first 2 shown]
	s_clause 0x1
	global_load_dwordx4 v[1:4], v[1:2], off
	global_load_dwordx4 v[8:11], v[8:9], off
	s_waitcnt vmcnt(1)
	ds_write_b128 v47, v[1:4]
	s_waitcnt vmcnt(0)
	ds_write_b128 v48, v[8:11]
	s_waitcnt lgkmcnt(0)
	s_barrier
	buffer_gl0_inv
	ds_read_b128 v[8:11], v45 offset:128
	ds_read_b128 v[1:4], v45 offset:144
	ds_read2_b64 v[54:57], v35 offset1:32
	s_waitcnt lgkmcnt(2)
	v_mul_u32_u24_sdwa v72, v8, v51 dst_sel:DWORD dst_unused:UNUSED_PAD src0_sel:WORD_0 src1_sel:DWORD
	v_mul_u32_u24_sdwa v8, v8, v51 dst_sel:DWORD dst_unused:UNUSED_PAD src0_sel:WORD_1 src1_sel:DWORD
	s_waitcnt lgkmcnt(0)
	v_pk_fma_f16 v69, v54, v72, v69
	v_pk_fma_f16 v12, v55, v72, v12
	;; [unrolled: 1-line block ×4, first 2 shown]
	v_mul_u32_u24_sdwa v55, v9, v51 dst_sel:DWORD dst_unused:UNUSED_PAD src0_sel:WORD_0 src1_sel:DWORD
	v_mul_u32_u24_sdwa v9, v9, v51 dst_sel:DWORD dst_unused:UNUSED_PAD src0_sel:WORD_1 src1_sel:DWORD
	v_mul_u32_u24_sdwa v70, v11, v51 dst_sel:DWORD dst_unused:UNUSED_PAD src0_sel:WORD_0 src1_sel:DWORD
	v_mul_u32_u24_sdwa v71, v11, v51 dst_sel:DWORD dst_unused:UNUSED_PAD src0_sel:WORD_1 src1_sel:DWORD
	v_pk_fma_f16 v69, v56, v55, v69
	v_pk_fma_f16 v12, v57, v55, v12
	;; [unrolled: 1-line block ×4, first 2 shown]
	v_mul_u32_u24_sdwa v56, v10, v51 dst_sel:DWORD dst_unused:UNUSED_PAD src0_sel:WORD_0 src1_sel:DWORD
	v_mul_u32_u24_sdwa v57, v10, v51 dst_sel:DWORD dst_unused:UNUSED_PAD src0_sel:WORD_1 src1_sel:DWORD
	ds_read2_b64 v[8:11], v35 offset0:64 offset1:96
	s_waitcnt lgkmcnt(0)
	v_pk_fma_f16 v69, v8, v56, v69
	v_pk_fma_f16 v12, v9, v56, v12
	;; [unrolled: 1-line block ×4, first 2 shown]
	v_mul_u32_u24_sdwa v57, v1, v51 dst_sel:DWORD dst_unused:UNUSED_PAD src0_sel:WORD_0 src1_sel:DWORD
	v_pk_fma_f16 v54, v10, v70, v69
	v_pk_fma_f16 v12, v11, v70, v12
	;; [unrolled: 1-line block ×4, first 2 shown]
	ds_read2_b64 v[8:11], v35 offset0:128 offset1:160
	v_mul_u32_u24_sdwa v1, v1, v51 dst_sel:DWORD dst_unused:UNUSED_PAD src0_sel:WORD_1 src1_sel:DWORD
	s_waitcnt lgkmcnt(0)
	v_pk_fma_f16 v54, v8, v57, v54
	v_pk_fma_f16 v12, v9, v57, v12
	;; [unrolled: 1-line block ×4, first 2 shown]
	v_mul_u32_u24_sdwa v9, v2, v51 dst_sel:DWORD dst_unused:UNUSED_PAD src0_sel:WORD_0 src1_sel:DWORD
	v_mul_u32_u24_sdwa v2, v2, v51 dst_sel:DWORD dst_unused:UNUSED_PAD src0_sel:WORD_1 src1_sel:DWORD
	v_mul_u32_u24_sdwa v55, v4, v51 dst_sel:DWORD dst_unused:UNUSED_PAD src0_sel:WORD_0 src1_sel:DWORD
	v_mul_u32_u24_sdwa v56, v4, v51 dst_sel:DWORD dst_unused:UNUSED_PAD src0_sel:WORD_1 src1_sel:DWORD
	v_pk_fma_f16 v54, v10, v9, v54
	v_pk_fma_f16 v9, v11, v9, v12
	v_pk_fma_f16 v8, v10, v2, v8
	v_pk_fma_f16 v10, v11, v2, v1
	v_mul_u32_u24_sdwa v11, v3, v51 dst_sel:DWORD dst_unused:UNUSED_PAD src0_sel:WORD_0 src1_sel:DWORD
	v_mul_u32_u24_sdwa v12, v3, v51 dst_sel:DWORD dst_unused:UNUSED_PAD src0_sel:WORD_1 src1_sel:DWORD
	ds_read2_b64 v[1:4], v35 offset0:192 offset1:224
	s_waitcnt lgkmcnt(0)
	v_pk_fma_f16 v54, v1, v11, v54
	v_pk_fma_f16 v9, v2, v11, v9
	v_pk_fma_f16 v1, v1, v12, v8
	v_pk_fma_f16 v2, v2, v12, v10
	v_pk_fma_f16 v12, v3, v55, v54
	v_pk_fma_f16 v69, v4, v55, v9
	v_pk_fma_f16 v70, v3, v56, v1
	v_pk_fma_f16 v71, v4, v56, v2
	ds_read_b128 v[1:4], v45 offset:160
	ds_read_b128 v[8:11], v45 offset:176
	ds_read2_b64 v[54:57], v7 offset1:32
	s_waitcnt lgkmcnt(2)
	v_mul_u32_u24_sdwa v72, v1, v51 dst_sel:DWORD dst_unused:UNUSED_PAD src0_sel:WORD_0 src1_sel:DWORD
	v_mul_u32_u24_sdwa v1, v1, v51 dst_sel:DWORD dst_unused:UNUSED_PAD src0_sel:WORD_1 src1_sel:DWORD
	s_waitcnt lgkmcnt(0)
	v_pk_fma_f16 v12, v54, v72, v12
	v_pk_fma_f16 v69, v55, v72, v69
	;; [unrolled: 1-line block ×4, first 2 shown]
	v_mul_u32_u24_sdwa v55, v2, v51 dst_sel:DWORD dst_unused:UNUSED_PAD src0_sel:WORD_0 src1_sel:DWORD
	v_mul_u32_u24_sdwa v2, v2, v51 dst_sel:DWORD dst_unused:UNUSED_PAD src0_sel:WORD_1 src1_sel:DWORD
	v_mul_u32_u24_sdwa v70, v4, v51 dst_sel:DWORD dst_unused:UNUSED_PAD src0_sel:WORD_0 src1_sel:DWORD
	v_mul_u32_u24_sdwa v71, v4, v51 dst_sel:DWORD dst_unused:UNUSED_PAD src0_sel:WORD_1 src1_sel:DWORD
	v_pk_fma_f16 v12, v56, v55, v12
	v_pk_fma_f16 v55, v57, v55, v69
	;; [unrolled: 1-line block ×4, first 2 shown]
	v_mul_u32_u24_sdwa v57, v3, v51 dst_sel:DWORD dst_unused:UNUSED_PAD src0_sel:WORD_0 src1_sel:DWORD
	v_mul_u32_u24_sdwa v69, v3, v51 dst_sel:DWORD dst_unused:UNUSED_PAD src0_sel:WORD_1 src1_sel:DWORD
	ds_read2_b64 v[1:4], v7 offset0:64 offset1:96
	s_waitcnt lgkmcnt(0)
	v_pk_fma_f16 v12, v1, v57, v12
	v_pk_fma_f16 v55, v2, v57, v55
	;; [unrolled: 1-line block ×4, first 2 shown]
	v_mul_u32_u24_sdwa v57, v8, v51 dst_sel:DWORD dst_unused:UNUSED_PAD src0_sel:WORD_0 src1_sel:DWORD
	v_pk_fma_f16 v12, v3, v70, v12
	v_pk_fma_f16 v54, v4, v70, v55
	;; [unrolled: 1-line block ×4, first 2 shown]
	ds_read2_b64 v[1:4], v7 offset0:128 offset1:160
	v_mul_u32_u24_sdwa v8, v8, v51 dst_sel:DWORD dst_unused:UNUSED_PAD src0_sel:WORD_1 src1_sel:DWORD
	s_waitcnt lgkmcnt(0)
	v_pk_fma_f16 v12, v1, v57, v12
	v_pk_fma_f16 v54, v2, v57, v54
	;; [unrolled: 1-line block ×4, first 2 shown]
	v_mul_u32_u24_sdwa v8, v9, v51 dst_sel:DWORD dst_unused:UNUSED_PAD src0_sel:WORD_0 src1_sel:DWORD
	v_mul_u32_u24_sdwa v9, v9, v51 dst_sel:DWORD dst_unused:UNUSED_PAD src0_sel:WORD_1 src1_sel:DWORD
	v_mul_u32_u24_sdwa v55, v10, v51 dst_sel:DWORD dst_unused:UNUSED_PAD src0_sel:WORD_0 src1_sel:DWORD
	v_mul_u32_u24_sdwa v10, v10, v51 dst_sel:DWORD dst_unused:UNUSED_PAD src0_sel:WORD_1 src1_sel:DWORD
	v_mul_u32_u24_sdwa v56, v11, v51 dst_sel:DWORD dst_unused:UNUSED_PAD src0_sel:WORD_0 src1_sel:DWORD
	v_pk_fma_f16 v12, v3, v8, v12
	v_pk_fma_f16 v8, v4, v8, v54
	;; [unrolled: 1-line block ×4, first 2 shown]
	ds_read2_b64 v[1:4], v7 offset0:192 offset1:224
	v_mul_u32_u24_sdwa v11, v11, v51 dst_sel:DWORD dst_unused:UNUSED_PAD src0_sel:WORD_1 src1_sel:DWORD
	s_waitcnt lgkmcnt(0)
	v_pk_fma_f16 v7, v1, v55, v12
	v_pk_fma_f16 v8, v2, v55, v8
	;; [unrolled: 1-line block ×8, first 2 shown]
	ds_read_b128 v[1:4], v45 offset:192
	ds_read_b128 v[7:10], v45 offset:208
	ds_read2_b64 v[54:57], v5 offset1:32
	s_waitcnt lgkmcnt(2)
	v_mul_u32_u24_sdwa v71, v1, v51 dst_sel:DWORD dst_unused:UNUSED_PAD src0_sel:WORD_0 src1_sel:DWORD
	v_mul_u32_u24_sdwa v1, v1, v51 dst_sel:DWORD dst_unused:UNUSED_PAD src0_sel:WORD_1 src1_sel:DWORD
	s_waitcnt lgkmcnt(0)
	v_pk_fma_f16 v12, v54, v71, v12
	v_pk_fma_f16 v69, v55, v71, v69
	;; [unrolled: 1-line block ×4, first 2 shown]
	v_mul_u32_u24_sdwa v11, v2, v51 dst_sel:DWORD dst_unused:UNUSED_PAD src0_sel:WORD_0 src1_sel:DWORD
	v_mul_u32_u24_sdwa v2, v2, v51 dst_sel:DWORD dst_unused:UNUSED_PAD src0_sel:WORD_1 src1_sel:DWORD
	v_mul_u32_u24_sdwa v70, v4, v51 dst_sel:DWORD dst_unused:UNUSED_PAD src0_sel:WORD_1 src1_sel:DWORD
	v_pk_fma_f16 v12, v56, v11, v12
	v_pk_fma_f16 v11, v57, v11, v69
	;; [unrolled: 1-line block ×4, first 2 shown]
	v_mul_u32_u24_sdwa v56, v3, v51 dst_sel:DWORD dst_unused:UNUSED_PAD src0_sel:WORD_0 src1_sel:DWORD
	v_mul_u32_u24_sdwa v57, v3, v51 dst_sel:DWORD dst_unused:UNUSED_PAD src0_sel:WORD_1 src1_sel:DWORD
	v_mul_u32_u24_sdwa v69, v4, v51 dst_sel:DWORD dst_unused:UNUSED_PAD src0_sel:WORD_0 src1_sel:DWORD
	ds_read2_b64 v[1:4], v5 offset0:64 offset1:96
	s_waitcnt lgkmcnt(0)
	v_pk_fma_f16 v12, v1, v56, v12
	v_pk_fma_f16 v11, v2, v56, v11
	v_pk_fma_f16 v1, v1, v57, v54
	v_pk_fma_f16 v2, v2, v57, v55
	v_mul_u32_u24_sdwa v56, v7, v51 dst_sel:DWORD dst_unused:UNUSED_PAD src0_sel:WORD_0 src1_sel:DWORD
	v_pk_fma_f16 v12, v3, v69, v12
	v_pk_fma_f16 v11, v4, v69, v11
	;; [unrolled: 1-line block ×4, first 2 shown]
	ds_read2_b64 v[1:4], v5 offset0:128 offset1:160
	v_mul_u32_u24_sdwa v7, v7, v51 dst_sel:DWORD dst_unused:UNUSED_PAD src0_sel:WORD_1 src1_sel:DWORD
	s_waitcnt lgkmcnt(0)
	v_pk_fma_f16 v12, v1, v56, v12
	v_pk_fma_f16 v11, v2, v56, v11
	v_pk_fma_f16 v1, v1, v7, v54
	v_pk_fma_f16 v2, v2, v7, v55
	v_mul_u32_u24_sdwa v7, v8, v51 dst_sel:DWORD dst_unused:UNUSED_PAD src0_sel:WORD_0 src1_sel:DWORD
	v_mul_u32_u24_sdwa v8, v8, v51 dst_sel:DWORD dst_unused:UNUSED_PAD src0_sel:WORD_1 src1_sel:DWORD
	v_mul_u32_u24_sdwa v54, v9, v51 dst_sel:DWORD dst_unused:UNUSED_PAD src0_sel:WORD_0 src1_sel:DWORD
	v_mul_u32_u24_sdwa v9, v9, v51 dst_sel:DWORD dst_unused:UNUSED_PAD src0_sel:WORD_1 src1_sel:DWORD
	v_mul_u32_u24_sdwa v55, v10, v51 dst_sel:DWORD dst_unused:UNUSED_PAD src0_sel:WORD_0 src1_sel:DWORD
	v_pk_fma_f16 v12, v3, v7, v12
	v_pk_fma_f16 v7, v4, v7, v11
	;; [unrolled: 1-line block ×4, first 2 shown]
	ds_read2_b64 v[1:4], v5 offset0:192 offset1:224
	v_mul_u32_u24_sdwa v10, v10, v51 dst_sel:DWORD dst_unused:UNUSED_PAD src0_sel:WORD_1 src1_sel:DWORD
	s_waitcnt lgkmcnt(0)
	v_pk_fma_f16 v5, v1, v54, v12
	v_pk_fma_f16 v7, v2, v54, v7
	;; [unrolled: 1-line block ×8, first 2 shown]
	ds_read_b128 v[1:4], v45 offset:224
	ds_read_b128 v[7:10], v45 offset:240
	ds_read2_b64 v[54:57], v6 offset1:32
	s_waitcnt lgkmcnt(2)
	v_mul_u32_u24_sdwa v70, v1, v51 dst_sel:DWORD dst_unused:UNUSED_PAD src0_sel:WORD_0 src1_sel:DWORD
	v_mul_u32_u24_sdwa v1, v1, v51 dst_sel:DWORD dst_unused:UNUSED_PAD src0_sel:WORD_1 src1_sel:DWORD
	s_waitcnt lgkmcnt(0)
	v_pk_fma_f16 v5, v54, v70, v5
	v_pk_fma_f16 v11, v55, v70, v11
	;; [unrolled: 1-line block ×4, first 2 shown]
	v_mul_u32_u24_sdwa v54, v2, v51 dst_sel:DWORD dst_unused:UNUSED_PAD src0_sel:WORD_0 src1_sel:DWORD
	v_mul_u32_u24_sdwa v2, v2, v51 dst_sel:DWORD dst_unused:UNUSED_PAD src0_sel:WORD_1 src1_sel:DWORD
	v_mul_u32_u24_sdwa v55, v3, v51 dst_sel:DWORD dst_unused:UNUSED_PAD src0_sel:WORD_0 src1_sel:DWORD
	v_mul_u32_u24_sdwa v69, v4, v51 dst_sel:DWORD dst_unused:UNUSED_PAD src0_sel:WORD_1 src1_sel:DWORD
	v_pk_fma_f16 v5, v56, v54, v5
	v_pk_fma_f16 v11, v57, v54, v11
	;; [unrolled: 1-line block ×4, first 2 shown]
	v_mul_u32_u24_sdwa v56, v3, v51 dst_sel:DWORD dst_unused:UNUSED_PAD src0_sel:WORD_1 src1_sel:DWORD
	v_mul_u32_u24_sdwa v57, v4, v51 dst_sel:DWORD dst_unused:UNUSED_PAD src0_sel:WORD_0 src1_sel:DWORD
	ds_read2_b64 v[1:4], v6 offset0:64 offset1:96
	s_waitcnt lgkmcnt(0)
	v_pk_fma_f16 v5, v1, v55, v5
	v_pk_fma_f16 v11, v2, v55, v11
	;; [unrolled: 1-line block ×4, first 2 shown]
	v_mul_u32_u24_sdwa v55, v7, v51 dst_sel:DWORD dst_unused:UNUSED_PAD src0_sel:WORD_0 src1_sel:DWORD
	v_pk_fma_f16 v5, v3, v57, v5
	v_pk_fma_f16 v11, v4, v57, v11
	;; [unrolled: 1-line block ×4, first 2 shown]
	ds_read2_b64 v[1:4], v6 offset0:128 offset1:160
	v_mul_u32_u24_sdwa v7, v7, v51 dst_sel:DWORD dst_unused:UNUSED_PAD src0_sel:WORD_1 src1_sel:DWORD
	s_waitcnt lgkmcnt(0)
	v_pk_fma_f16 v5, v1, v55, v5
	v_pk_fma_f16 v11, v2, v55, v11
	;; [unrolled: 1-line block ×4, first 2 shown]
	v_mul_u32_u24_sdwa v7, v8, v51 dst_sel:DWORD dst_unused:UNUSED_PAD src0_sel:WORD_0 src1_sel:DWORD
	v_mul_u32_u24_sdwa v8, v8, v51 dst_sel:DWORD dst_unused:UNUSED_PAD src0_sel:WORD_1 src1_sel:DWORD
	v_mul_u32_u24_sdwa v12, v9, v51 dst_sel:DWORD dst_unused:UNUSED_PAD src0_sel:WORD_0 src1_sel:DWORD
	v_mul_u32_u24_sdwa v9, v9, v51 dst_sel:DWORD dst_unused:UNUSED_PAD src0_sel:WORD_1 src1_sel:DWORD
	v_mul_u32_u24_sdwa v54, v10, v51 dst_sel:DWORD dst_unused:UNUSED_PAD src0_sel:WORD_0 src1_sel:DWORD
	v_pk_fma_f16 v5, v3, v7, v5
	v_pk_fma_f16 v7, v4, v7, v11
	;; [unrolled: 1-line block ×4, first 2 shown]
	ds_read2_b64 v[1:4], v6 offset0:192 offset1:224
	s_waitcnt lgkmcnt(0)
	s_barrier
	buffer_gl0_inv
	s_load_dword s0, s[6:7], 0x4
	v_mul_u32_u24_sdwa v10, v10, v51 dst_sel:DWORD dst_unused:UNUSED_PAD src0_sel:WORD_1 src1_sel:DWORD
	v_pk_fma_f16 v5, v1, v12, v5
	v_pk_fma_f16 v6, v2, v12, v7
	;; [unrolled: 1-line block ×4, first 2 shown]
	s_waitcnt lgkmcnt(0)
	s_lshl_b32 s0, s0, 6
	v_pk_fma_f16 v56, v3, v54, v5
	v_pk_fma_f16 v57, v4, v54, v6
	;; [unrolled: 1-line block ×4, first 2 shown]
	v_add_f32_e32 v2, v64, v66
	v_add_f32_e32 v1, v63, v65
	s_add_i32 s8, s0, s8
	s_cmp_ge_i32 s8, s30
	v_fmac_f32_e32 v2, v53, v67
	v_fmac_f32_e32 v1, v52, v68
	s_cbranch_scc1 .LBB74_27
; %bb.26:                               ;   in Loop: Header=BB74_9 Depth=1
	v_mov_b32_e32 v9, v31
	v_mov_b32_e32 v10, v32
	;; [unrolled: 1-line block ×4, first 2 shown]
	s_branch .LBB74_9
.LBB74_27:
	v_mov_b32_e32 v5, v36
.LBB74_28:
	v_cmp_lt_i32_e32 vcc_lo, v62, v37
	s_cmp_lg_u64 s[16:17], 0
	s_cselect_b32 s0, -1, 0
	s_cmp_eq_u32 s28, 0
	v_cndmask_b32_e32 v3, v5, v62, vcc_lo
	v_cmp_lt_i32_e32 vcc_lo, v58, v37
	s_cselect_b32 s1, -1, 0
	s_and_b32 s0, s1, s0
	v_lshlrev_b32_e32 v3, 2, v3
	v_cndmask_b32_e32 v6, v5, v58, vcc_lo
	v_cmp_lt_i32_e32 vcc_lo, v59, v37
	ds_bpermute_b32 v4, v3, v2
	ds_bpermute_b32 v3, v3, v1
	v_lshlrev_b32_e32 v6, 2, v6
	s_waitcnt lgkmcnt(1)
	v_add_f32_e32 v2, v2, v4
	s_waitcnt lgkmcnt(0)
	v_add_f32_e32 v1, v1, v3
	ds_bpermute_b32 v3, v6, v2
	ds_bpermute_b32 v4, v6, v1
	v_cndmask_b32_e32 v6, v5, v59, vcc_lo
	v_cmp_lt_i32_e32 vcc_lo, v60, v37
	v_lshlrev_b32_e32 v6, 2, v6
	s_waitcnt lgkmcnt(1)
	v_add_f32_e32 v2, v2, v3
	s_waitcnt lgkmcnt(0)
	v_add_f32_e32 v1, v1, v4
	ds_bpermute_b32 v3, v6, v2
	ds_bpermute_b32 v4, v6, v1
	v_cndmask_b32_e32 v6, v5, v60, vcc_lo
	v_cmp_lt_i32_e32 vcc_lo, v61, v37
	v_lshlrev_b32_e32 v6, 2, v6
	v_cndmask_b32_e32 v5, v5, v61, vcc_lo
	s_and_b32 vcc_lo, exec_lo, s0
	s_mov_b32 s0, 0
	v_lshlrev_b32_e32 v5, 2, v5
	s_waitcnt lgkmcnt(1)
	v_add_f32_e32 v2, v2, v3
	s_waitcnt lgkmcnt(0)
	v_add_f32_e32 v1, v1, v4
	ds_bpermute_b32 v3, v6, v2
	ds_bpermute_b32 v4, v6, v1
	s_waitcnt lgkmcnt(1)
	v_add_f32_e32 v2, v2, v3
	s_waitcnt lgkmcnt(0)
	v_add_f32_e32 v3, v1, v4
	ds_bpermute_b32 v1, v5, v2
	ds_bpermute_b32 v4, v5, v3
	s_waitcnt lgkmcnt(1)
	v_add_f32_e32 v1, v2, v1
	s_waitcnt lgkmcnt(0)
	v_add_f32_e32 v2, v3, v4
	v_add_nc_u32_e32 v3, s33, v34
	s_cbranch_vccnz .LBB74_31
; %bb.29:
	v_mov_b32_e32 v5, v2
	v_add_nc_u32_e32 v6, s33, v34
	v_mov_b32_e32 v4, v1
	s_andn2_b32 vcc_lo, exec_lo, s0
	s_cbranch_vccz .LBB74_32
; %bb.30:
	v_mov_b32_e32 v3, v6
	s_branch .LBB74_33
.LBB74_31:
                                        ; implicit-def: $vgpr6
                                        ; implicit-def: $vgpr4_vgpr5
.LBB74_32:
	v_ashrrev_i32_e32 v4, 31, v3
	v_max_f32_e32 v6, v31, v31
	v_max_f32_e32 v8, v32, v32
	v_lshlrev_b64 v[4:5], 2, v[3:4]
	v_add_co_u32 v4, vcc_lo, s16, v4
	v_add_co_ci_u32_e64 v5, null, s17, v5, vcc_lo
	global_load_dwordx2 v[4:5], v[4:5], off
	s_waitcnt vmcnt(0)
	v_max_f32_e32 v7, v4, v4
	v_max_f32_e32 v9, v5, v5
	;; [unrolled: 1-line block ×4, first 2 shown]
	v_sub_f32_e32 v8, v31, v6
	v_sub_f32_e32 v9, v32, v7
	;; [unrolled: 1-line block ×4, first 2 shown]
	v_mov_b32_e32 v32, v7
	v_mul_f32_e32 v10, 0x3fb8aa3b, v8
	v_mul_f32_e32 v12, 0x3fb8aa3b, v9
	;; [unrolled: 1-line block ×4, first 2 shown]
	v_cmp_ngt_f32_e32 vcc_lo, 0xc2ce8ed0, v8
	v_fma_f32 v15, 0x3fb8aa3b, v8, -v10
	v_rndne_f32_e32 v16, v10
	v_fma_f32 v19, 0x3fb8aa3b, v9, -v12
	v_rndne_f32_e32 v20, v12
	v_fma_f32 v17, 0x3fb8aa3b, v4, -v11
	v_fmac_f32_e32 v15, 0x32a5705f, v8
	v_sub_f32_e32 v10, v10, v16
	v_rndne_f32_e32 v18, v11
	v_fmac_f32_e32 v19, 0x32a5705f, v9
	v_sub_f32_e32 v12, v12, v20
	v_fmac_f32_e32 v17, 0x32a5705f, v4
	v_add_f32_e32 v10, v10, v15
	v_sub_f32_e32 v11, v11, v18
	v_cvt_i32_f32_e32 v15, v16
	v_add_f32_e32 v12, v12, v19
	v_fma_f32 v21, 0x3fb8aa3b, v5, -v14
	v_exp_f32_e32 v10, v10
	v_add_f32_e32 v11, v11, v17
	v_rndne_f32_e32 v22, v14
	v_exp_f32_e32 v12, v12
	v_cvt_i32_f32_e32 v17, v20
	v_fmac_f32_e32 v21, 0x32a5705f, v5
	v_exp_f32_e32 v11, v11
	v_sub_f32_e32 v14, v14, v22
	v_cvt_i32_f32_e32 v16, v18
	v_cvt_i32_f32_e32 v18, v22
	v_ldexp_f32 v10, v10, v15
	v_mov_b32_e32 v19, 0x10001
	v_add_f32_e32 v14, v14, v21
	v_ldexp_f32 v12, v12, v17
	v_mov_b32_e32 v31, v6
	v_cndmask_b32_e32 v10, 0, v10, vcc_lo
	v_cmp_ngt_f32_e32 vcc_lo, 0xc2ce8ed0, v9
	v_ldexp_f32 v11, v11, v16
	v_exp_f32_e32 v14, v14
	v_cndmask_b32_e32 v12, 0, v12, vcc_lo
	v_cmp_ngt_f32_e32 vcc_lo, 0xc2ce8ed0, v4
	v_cndmask_b32_e32 v11, 0, v11, vcc_lo
	v_cmp_nlt_f32_e32 vcc_lo, 0x42b17218, v8
	v_ldexp_f32 v14, v14, v18
	v_cndmask_b32_e32 v8, 0x7f800000, v10, vcc_lo
	v_cmp_nlt_f32_e32 vcc_lo, 0x42b17218, v9
	v_cndmask_b32_e32 v9, 0x7f800000, v12, vcc_lo
	v_cmp_ngt_f32_e32 vcc_lo, 0xc2ce8ed0, v5
	v_cvt_f16_f32_e32 v12, v9
	v_cndmask_b32_e32 v10, 0, v14, vcc_lo
	v_cmp_nlt_f32_e32 vcc_lo, 0x42b17218, v4
	v_mul_u32_u24_sdwa v6, v12, v19 dst_sel:DWORD dst_unused:UNUSED_PAD src0_sel:WORD_0 src1_sel:DWORD
	v_cndmask_b32_e32 v4, 0x7f800000, v11, vcc_lo
	v_cmp_nlt_f32_e32 vcc_lo, 0x42b17218, v5
	v_cvt_f16_f32_e32 v11, v8
	v_pk_mul_f16 v55, v55, v6
	v_pk_mul_f16 v54, v54, v6
	v_fmac_f32_e32 v4, v1, v8
	v_cndmask_b32_e32 v5, 0x7f800000, v10, vcc_lo
	v_mul_u32_u24_sdwa v8, v11, v19 dst_sel:DWORD dst_unused:UNUSED_PAD src0_sel:WORD_0 src1_sel:DWORD
	v_mov_b32_e32 v1, v4
	v_fmac_f32_e32 v5, v2, v9
	v_pk_mul_f16 v56, v56, v8
	v_pk_mul_f16 v57, v57, v8
	v_mov_b32_e32 v2, v5
.LBB74_33:
	s_load_dword s1, s[4:5], 0xd4
	v_mov_b32_e32 v8, 1.0
	s_waitcnt lgkmcnt(0)
	s_cmp_lg_u32 s1, 1
	s_cselect_b32 s5, -1, 0
	s_cmp_eq_u32 s1, 1
	s_cselect_b32 s4, -1, 0
	s_and_b32 vcc_lo, exec_lo, s5
	s_cbranch_vccnz .LBB74_35
; %bb.34:
	v_div_scale_f32 v6, null, v1, v1, 1.0
	v_rcp_f32_e32 v7, v6
	v_fma_f32 v8, -v6, v7, 1.0
	v_fmac_f32_e32 v7, v8, v7
	v_div_scale_f32 v8, vcc_lo, 1.0, v1, 1.0
	v_mul_f32_e32 v9, v8, v7
	v_fma_f32 v10, -v6, v9, v8
	v_fmac_f32_e32 v9, v10, v7
	v_fma_f32 v6, -v6, v9, v8
	v_div_fmas_f32 v6, v6, v7, v9
	v_div_fixup_f32 v8, v6, v1, 1.0
.LBB74_35:
	v_mad_u64_u32 v[6:7], null, s29, s2, v[13:14]
	v_cmp_eq_u32_e32 vcc_lo, 0, v0
	v_mov_b32_e32 v1, 0
	v_cvt_f32_f16_e32 v11, v57
	v_cvt_f32_f16_sdwa v12, v57 dst_sel:DWORD dst_unused:UNUSED_PAD src0_sel:WORD_1
	v_mad_u64_u32 v[6:7], null, v6, s3, v[3:4]
	v_cvt_f32_f16_e32 v3, v56
	v_mul_f32_e32 v11, v8, v11
	v_mul_f32_e32 v12, v8, v12
	;; [unrolled: 1-line block ×3, first 2 shown]
	v_mad_u64_u32 v[6:7], null, s1, v6, s[28:29]
	v_cvt_f32_f16_sdwa v7, v56 dst_sel:DWORD dst_unused:UNUSED_PAD src0_sel:WORD_1
	v_mul_f32_e32 v10, v8, v7
	v_lshl_add_u32 v0, v6, 7, v33
	v_lshlrev_b64 v[0:1], 2, v[0:1]
	v_add_co_u32 v0, s0, s20, v0
	v_add_co_ci_u32_e64 v1, null, s21, v1, s0
	s_and_b32 s0, vcc_lo, s5
	global_store_dwordx4 v[0:1], v[9:12], off
	s_and_saveexec_b32 s2, s0
	s_cbranch_execz .LBB74_37
; %bb.36:
	v_ashrrev_i32_e32 v7, 31, v6
	v_mov_b32_e32 v3, v31
	v_lshlrev_b64 v[0:1], 3, v[6:7]
	v_add_co_u32 v0, vcc_lo, s22, v0
	v_add_co_ci_u32_e64 v1, null, s23, v1, vcc_lo
	global_store_dwordx2 v[0:1], v[3:4], off
.LBB74_37:
	s_or_b32 exec_lo, exec_lo, s2
	v_mov_b32_e32 v1, 1.0
	s_andn2_b32 vcc_lo, exec_lo, s4
	s_cbranch_vccnz .LBB74_39
; %bb.38:
	v_div_scale_f32 v0, null, v2, v2, 1.0
	v_rcp_f32_e32 v1, v0
	v_fma_f32 v3, -v0, v1, 1.0
	v_fmac_f32_e32 v1, v3, v1
	v_div_scale_f32 v3, vcc_lo, 1.0, v2, 1.0
	v_mul_f32_e32 v4, v3, v1
	v_fma_f32 v7, -v0, v4, v3
	v_fmac_f32_e32 v4, v7, v1
	v_fma_f32 v0, -v0, v4, v3
	v_div_fmas_f32 v0, v0, v1, v4
	v_div_fixup_f32 v1, v0, v2, 1.0
.LBB74_39:
	v_add_nc_u32_e32 v0, s1, v6
	v_mov_b32_e32 v3, 0
	v_cvt_f32_f16_e32 v4, v55
	v_cvt_f32_f16_sdwa v7, v55 dst_sel:DWORD dst_unused:UNUSED_PAD src0_sel:WORD_1
	v_cvt_f32_f16_e32 v8, v54
	v_lshl_add_u32 v2, v0, 7, v33
	v_cvt_f32_f16_sdwa v9, v54 dst_sel:DWORD dst_unused:UNUSED_PAD src0_sel:WORD_1
	v_mul_f32_e32 v6, v1, v4
	v_mul_f32_e32 v7, v1, v7
	;; [unrolled: 1-line block ×3, first 2 shown]
	v_lshlrev_b64 v[2:3], 2, v[2:3]
	v_mul_f32_e32 v9, v1, v9
	v_add_co_u32 v1, vcc_lo, s20, v2
	v_add_co_ci_u32_e64 v2, null, s21, v3, vcc_lo
	global_store_dwordx4 v[1:2], v[6:9], off
	s_and_saveexec_b32 s1, s0
	s_cbranch_execz .LBB74_41
; %bb.40:
	v_ashrrev_i32_e32 v1, 31, v0
	v_mov_b32_e32 v4, v32
	v_lshlrev_b64 v[0:1], 3, v[0:1]
	v_add_co_u32 v0, vcc_lo, s22, v0
	v_add_co_ci_u32_e64 v1, null, s23, v1, vcc_lo
	global_store_dwordx2 v[0:1], v[4:5], off
.LBB74_41:
	s_endpgm
	.section	.rodata,"a",@progbits
	.p2align	6, 0x0
	.amdhsa_kernel _ZL15flash_attn_tileILi128ELi128ELi1ELi8ELb1EEvPKcS1_S1_S1_S1_PKiPfP15HIP_vector_typeIfLj2EEffffjfiS5_IjLj3EEiiiiiiiiiiiliiliiiiil
		.amdhsa_group_segment_fixed_size 12288
		.amdhsa_private_segment_fixed_size 0
		.amdhsa_kernarg_size 464
		.amdhsa_user_sgpr_count 6
		.amdhsa_user_sgpr_private_segment_buffer 1
		.amdhsa_user_sgpr_dispatch_ptr 0
		.amdhsa_user_sgpr_queue_ptr 0
		.amdhsa_user_sgpr_kernarg_segment_ptr 1
		.amdhsa_user_sgpr_dispatch_id 0
		.amdhsa_user_sgpr_flat_scratch_init 0
		.amdhsa_user_sgpr_private_segment_size 0
		.amdhsa_wavefront_size32 1
		.amdhsa_uses_dynamic_stack 0
		.amdhsa_system_sgpr_private_segment_wavefront_offset 0
		.amdhsa_system_sgpr_workgroup_id_x 1
		.amdhsa_system_sgpr_workgroup_id_y 1
		.amdhsa_system_sgpr_workgroup_id_z 1
		.amdhsa_system_sgpr_workgroup_info 0
		.amdhsa_system_vgpr_workitem_id 1
		.amdhsa_next_free_vgpr 81
		.amdhsa_next_free_sgpr 40
		.amdhsa_reserve_vcc 1
		.amdhsa_reserve_flat_scratch 0
		.amdhsa_float_round_mode_32 0
		.amdhsa_float_round_mode_16_64 0
		.amdhsa_float_denorm_mode_32 3
		.amdhsa_float_denorm_mode_16_64 3
		.amdhsa_dx10_clamp 1
		.amdhsa_ieee_mode 1
		.amdhsa_fp16_overflow 0
		.amdhsa_workgroup_processor_mode 1
		.amdhsa_memory_ordered 1
		.amdhsa_forward_progress 1
		.amdhsa_shared_vgpr_count 0
		.amdhsa_exception_fp_ieee_invalid_op 0
		.amdhsa_exception_fp_denorm_src 0
		.amdhsa_exception_fp_ieee_div_zero 0
		.amdhsa_exception_fp_ieee_overflow 0
		.amdhsa_exception_fp_ieee_underflow 0
		.amdhsa_exception_fp_ieee_inexact 0
		.amdhsa_exception_int_div_zero 0
	.end_amdhsa_kernel
	.section	.text._ZL15flash_attn_tileILi128ELi128ELi1ELi8ELb1EEvPKcS1_S1_S1_S1_PKiPfP15HIP_vector_typeIfLj2EEffffjfiS5_IjLj3EEiiiiiiiiiiiliiliiiiil,"axG",@progbits,_ZL15flash_attn_tileILi128ELi128ELi1ELi8ELb1EEvPKcS1_S1_S1_S1_PKiPfP15HIP_vector_typeIfLj2EEffffjfiS5_IjLj3EEiiiiiiiiiiiliiliiiiil,comdat
.Lfunc_end74:
	.size	_ZL15flash_attn_tileILi128ELi128ELi1ELi8ELb1EEvPKcS1_S1_S1_S1_PKiPfP15HIP_vector_typeIfLj2EEffffjfiS5_IjLj3EEiiiiiiiiiiiliiliiiiil, .Lfunc_end74-_ZL15flash_attn_tileILi128ELi128ELi1ELi8ELb1EEvPKcS1_S1_S1_S1_PKiPfP15HIP_vector_typeIfLj2EEffffjfiS5_IjLj3EEiiiiiiiiiiiliiliiiiil
                                        ; -- End function
	.set _ZL15flash_attn_tileILi128ELi128ELi1ELi8ELb1EEvPKcS1_S1_S1_S1_PKiPfP15HIP_vector_typeIfLj2EEffffjfiS5_IjLj3EEiiiiiiiiiiiliiliiiiil.num_vgpr, 74
	.set _ZL15flash_attn_tileILi128ELi128ELi1ELi8ELb1EEvPKcS1_S1_S1_S1_PKiPfP15HIP_vector_typeIfLj2EEffffjfiS5_IjLj3EEiiiiiiiiiiiliiliiiiil.num_agpr, 0
	.set _ZL15flash_attn_tileILi128ELi128ELi1ELi8ELb1EEvPKcS1_S1_S1_S1_PKiPfP15HIP_vector_typeIfLj2EEffffjfiS5_IjLj3EEiiiiiiiiiiiliiliiiiil.numbered_sgpr, 40
	.set _ZL15flash_attn_tileILi128ELi128ELi1ELi8ELb1EEvPKcS1_S1_S1_S1_PKiPfP15HIP_vector_typeIfLj2EEffffjfiS5_IjLj3EEiiiiiiiiiiiliiliiiiil.num_named_barrier, 0
	.set _ZL15flash_attn_tileILi128ELi128ELi1ELi8ELb1EEvPKcS1_S1_S1_S1_PKiPfP15HIP_vector_typeIfLj2EEffffjfiS5_IjLj3EEiiiiiiiiiiiliiliiiiil.private_seg_size, 0
	.set _ZL15flash_attn_tileILi128ELi128ELi1ELi8ELb1EEvPKcS1_S1_S1_S1_PKiPfP15HIP_vector_typeIfLj2EEffffjfiS5_IjLj3EEiiiiiiiiiiiliiliiiiil.uses_vcc, 1
	.set _ZL15flash_attn_tileILi128ELi128ELi1ELi8ELb1EEvPKcS1_S1_S1_S1_PKiPfP15HIP_vector_typeIfLj2EEffffjfiS5_IjLj3EEiiiiiiiiiiiliiliiiiil.uses_flat_scratch, 0
	.set _ZL15flash_attn_tileILi128ELi128ELi1ELi8ELb1EEvPKcS1_S1_S1_S1_PKiPfP15HIP_vector_typeIfLj2EEffffjfiS5_IjLj3EEiiiiiiiiiiiliiliiiiil.has_dyn_sized_stack, 0
	.set _ZL15flash_attn_tileILi128ELi128ELi1ELi8ELb1EEvPKcS1_S1_S1_S1_PKiPfP15HIP_vector_typeIfLj2EEffffjfiS5_IjLj3EEiiiiiiiiiiiliiliiiiil.has_recursion, 0
	.set _ZL15flash_attn_tileILi128ELi128ELi1ELi8ELb1EEvPKcS1_S1_S1_S1_PKiPfP15HIP_vector_typeIfLj2EEffffjfiS5_IjLj3EEiiiiiiiiiiiliiliiiiil.has_indirect_call, 0
	.section	.AMDGPU.csdata,"",@progbits
; Kernel info:
; codeLenInByte = 15404
; TotalNumSgprs: 42
; NumVgprs: 74
; ScratchSize: 0
; MemoryBound: 0
; FloatMode: 240
; IeeeMode: 1
; LDSByteSize: 12288 bytes/workgroup (compile time only)
; SGPRBlocks: 0
; VGPRBlocks: 10
; NumSGPRsForWavesPerEU: 42
; NumVGPRsForWavesPerEU: 81
; Occupancy: 10
; WaveLimiterHint : 1
; COMPUTE_PGM_RSRC2:SCRATCH_EN: 0
; COMPUTE_PGM_RSRC2:USER_SGPR: 6
; COMPUTE_PGM_RSRC2:TRAP_HANDLER: 0
; COMPUTE_PGM_RSRC2:TGID_X_EN: 1
; COMPUTE_PGM_RSRC2:TGID_Y_EN: 1
; COMPUTE_PGM_RSRC2:TGID_Z_EN: 1
; COMPUTE_PGM_RSRC2:TIDIG_COMP_CNT: 1
	.section	.text._ZL15flash_attn_tileILi128ELi128ELi16ELi4ELb1EEvPKcS1_S1_S1_S1_PKiPfP15HIP_vector_typeIfLj2EEffffjfiS5_IjLj3EEiiiiiiiiiiiliiliiiiil,"axG",@progbits,_ZL15flash_attn_tileILi128ELi128ELi16ELi4ELb1EEvPKcS1_S1_S1_S1_PKiPfP15HIP_vector_typeIfLj2EEffffjfiS5_IjLj3EEiiiiiiiiiiiliiliiiiil,comdat
	.globl	_ZL15flash_attn_tileILi128ELi128ELi16ELi4ELb1EEvPKcS1_S1_S1_S1_PKiPfP15HIP_vector_typeIfLj2EEffffjfiS5_IjLj3EEiiiiiiiiiiiliiliiiiil ; -- Begin function _ZL15flash_attn_tileILi128ELi128ELi16ELi4ELb1EEvPKcS1_S1_S1_S1_PKiPfP15HIP_vector_typeIfLj2EEffffjfiS5_IjLj3EEiiiiiiiiiiiliiliiiiil
	.p2align	8
	.type	_ZL15flash_attn_tileILi128ELi128ELi16ELi4ELb1EEvPKcS1_S1_S1_S1_PKiPfP15HIP_vector_typeIfLj2EEffffjfiS5_IjLj3EEiiiiiiiiiiiliiliiiiil,@function
_ZL15flash_attn_tileILi128ELi128ELi16ELi4ELb1EEvPKcS1_S1_S1_S1_PKiPfP15HIP_vector_typeIfLj2EEffffjfiS5_IjLj3EEiiiiiiiiiiiliiliiiiil: ; @_ZL15flash_attn_tileILi128ELi128ELi16ELi4ELb1EEvPKcS1_S1_S1_S1_PKiPfP15HIP_vector_typeIfLj2EEffffjfiS5_IjLj3EEiiiiiiiiiiiliiliiiiil
; %bb.0:
	s_clause 0x1
	s_load_dwordx4 s[0:3], s[4:5], 0x5c
	s_load_dwordx2 s[34:35], s[4:5], 0x80
	s_mov_b32 s28, s7
	s_mov_b64 s[36:37], 0
	s_waitcnt lgkmcnt(0)
	s_ashr_i32 s7, s3, 31
	s_lshr_b32 s7, s7, 30
	s_add_i32 s7, s3, s7
	s_ashr_i32 s7, s7, 2
	v_cvt_f32_u32_e32 v2, s7
	s_sub_i32 s10, 0, s7
	v_rcp_iflag_f32_e32 v2, v2
	v_mul_f32_e32 v2, 0x4f7ffffe, v2
	v_cvt_u32_f32_e32 v2, v2
	v_readfirstlane_b32 s9, v2
	s_mul_i32 s10, s10, s9
	s_mul_hi_u32 s10, s9, s10
	s_add_i32 s9, s9, s10
	s_mul_hi_u32 s9, s8, s9
	s_mul_i32 s10, s9, s7
	s_add_i32 s11, s9, 1
	s_sub_i32 s10, s8, s10
	s_sub_i32 s12, s10, s7
	s_cmp_ge_u32 s10, s7
	s_cselect_b32 s9, s11, s9
	s_cselect_b32 s10, s12, s10
	s_add_i32 s11, s9, 1
	s_cmp_ge_u32 s10, s7
	s_cselect_b32 s7, s11, s9
	s_abs_i32 s9, s35
	s_lshl_b32 s8, s8, 2
	v_cvt_f32_u32_e32 v2, s9
	s_sub_i32 s11, 0, s9
	s_mul_i32 s12, s7, s3
	s_abs_i32 s13, s3
	s_sub_i32 s30, s8, s12
	v_rcp_iflag_f32_e32 v2, v2
	v_mul_f32_e32 v2, 0x4f7ffffe, v2
	v_cvt_u32_f32_e32 v2, v2
	v_readfirstlane_b32 s10, v2
	s_mul_i32 s11, s11, s10
	s_mul_hi_u32 s11, s10, s11
	s_add_i32 s10, s10, s11
	s_mul_hi_u32 s8, s13, s10
	s_xor_b32 s10, s3, s35
	s_mul_i32 s11, s8, s9
	s_ashr_i32 s10, s10, 31
	s_sub_i32 s11, s13, s11
	s_add_i32 s12, s8, 1
	s_sub_i32 s13, s11, s9
	s_cmp_ge_u32 s11, s9
	s_cselect_b32 s8, s12, s8
	s_cselect_b32 s11, s13, s11
	s_add_i32 s12, s8, 1
	s_cmp_ge_u32 s11, s9
	s_cselect_b32 s8, s12, s8
	s_xor_b32 s8, s8, s10
	s_sub_i32 s31, s8, s10
	s_clause 0x1
	s_load_dwordx16 s[8:23], s[4:5], 0x0
	s_load_dwordx2 s[38:39], s[4:5], 0xb8
	s_abs_i32 s29, s31
	v_cvt_f32_u32_e32 v2, s29
	v_rcp_iflag_f32_e32 v2, v2
	v_mul_f32_e32 v2, 0x4f7ffffe, v2
	s_waitcnt lgkmcnt(0)
	s_cmp_eq_u64 s[14:15], 0
	v_cvt_u32_f32_e32 v2, v2
	v_readfirstlane_b32 s33, v2
	s_cbranch_scc1 .LBB75_2
; %bb.1:
	s_abs_i32 s26, s38
	s_abs_i32 s27, s7
	v_cvt_f32_u32_e32 v2, s26
	s_sub_i32 s25, 0, s26
	v_rcp_iflag_f32_e32 v2, v2
	v_mul_f32_e32 v2, 0x4f7ffffe, v2
	v_cvt_u32_f32_e32 v2, v2
	v_readfirstlane_b32 s24, v2
	s_mul_i32 s25, s25, s24
	s_mul_hi_u32 s25, s24, s25
	s_add_i32 s24, s24, s25
	s_mul_hi_u32 s35, s27, s24
	s_load_dwordx2 s[24:25], s[4:5], 0xc8
	s_mul_i32 s35, s35, s26
	s_sub_i32 s27, s27, s35
	s_ashr_i32 s35, s7, 31
	s_sub_i32 s36, s27, s26
	s_cmp_ge_u32 s27, s26
	s_cselect_b32 s27, s36, s27
	s_sub_i32 s36, s27, s26
	s_cmp_ge_u32 s27, s26
	s_cselect_b32 s26, s36, s27
	s_xor_b32 s26, s26, s35
	s_sub_i32 s26, s26, s35
	s_ashr_i32 s27, s26, 31
	s_waitcnt lgkmcnt(0)
	s_mul_hi_u32 s35, s24, s26
	s_mul_i32 s27, s24, s27
	s_mul_i32 s25, s25, s26
	s_add_i32 s27, s35, s27
	s_mul_i32 s24, s24, s26
	s_add_i32 s27, s27, s25
	s_add_u32 s36, s14, s24
	s_addc_u32 s37, s15, s27
.LBB75_2:
	v_lshlrev_b32_e32 v25, 1, v1
	s_lshl_b32 s14, s6, 4
	s_load_dwordx4 s[24:27], s[4:5], 0x70
	v_lshlrev_b32_e32 v8, 3, v1
	v_lshlrev_b32_e32 v3, 4, v0
	v_add_nc_u32_e32 v26, s14, v25
	v_or_b32_e32 v24, 4, v8
	v_or_b32_e32 v51, 5, v8
	v_mul_hi_u32 v2, v26, s0
	v_or_b32_e32 v52, 6, v8
	v_or_b32_e32 v53, 7, v8
	v_lshrrev_b32_e32 v32, 2, v24
	v_lshrrev_b32_e32 v30, 2, v51
	v_lshrrev_b32_e32 v28, 2, v52
	v_lshrrev_b32_e32 v27, 2, v53
	v_add_nc_u32_e32 v2, v26, v2
	v_add_nc_u32_e32 v34, s14, v32
	;; [unrolled: 1-line block ×4, first 2 shown]
	s_waitcnt lgkmcnt(0)
	s_mul_i32 s15, s7, s26
	v_lshrrev_b32_e32 v2, s1, v2
	s_mul_i32 s27, s30, s25
	s_ashr_i32 s35, s15, 31
	s_add_u32 s8, s8, s15
	s_addc_u32 s9, s9, s35
	v_mul_lo_u32 v2, v2, s2
	s_ashr_i32 s15, s27, 31
	s_add_u32 s35, s8, s27
	s_mov_b32 s26, s24
	s_addc_u32 s15, s9, s15
	s_ashr_i32 s27, s24, 31
	v_mul_hi_u32 v7, v34, s0
	s_lshr_b64 s[8:9], s[26:27], 2
	v_sub_nc_u32_e32 v2, v26, v2
	s_lshr_b32 s9, s27, 2
	v_mul_hi_u32 v9, v33, s0
	s_mov_b32 s26, s25
	s_ashr_i32 s27, s25, 31
	v_mad_u64_u32 v[4:5], null, s8, v2, 0
	s_and_b32 s38, s25, -4
	s_lshr_b64 s[24:25], s[26:27], 2
	s_add_u32 s38, s35, s38
	v_add_nc_u32_e32 v11, v33, v9
	s_mul_i32 s40, s27, 12
	s_addc_u32 s41, s15, s27
	v_mad_u64_u32 v[5:6], null, s9, v2, v[5:6]
	v_add_nc_u32_e32 v6, v34, v7
	v_lshrrev_b32_e32 v8, s1, v11
	s_lshl_b64 s[26:27], s[24:25], 3
	v_mul_hi_u32 v11, v31, s0
	s_add_u32 s26, s35, s26
	v_lshrrev_b32_e32 v6, s1, v6
	v_lshlrev_b64 v[4:5], 2, v[4:5]
	v_mul_lo_u32 v8, v8, s2
	v_add_nc_u32_e32 v29, s14, v27
	s_addc_u32 s27, s15, s27
	v_mul_lo_u32 v12, v6, s2
	s_mul_hi_u32 s25, s24, 12
	v_add_co_u32 v6, vcc_lo, s35, v4
	v_add_co_ci_u32_e64 v7, null, s15, v5, vcc_lo
	v_add_co_u32 v9, vcc_lo, s38, v4
	v_sub_nc_u32_e32 v12, v34, v12
	v_add_co_ci_u32_e64 v10, null, s41, v5, vcc_lo
	v_add_co_u32 v13, vcc_lo, s26, v4
	v_mad_u64_u32 v[22:23], null, s8, v12, 0
	v_add_co_ci_u32_e64 v14, null, s27, v5, vcc_lo
	v_add_co_u32 v6, vcc_lo, v6, v3
	v_sub_nc_u32_e32 v8, v33, v8
	v_add_co_ci_u32_e64 v7, null, 0, v7, vcc_lo
	v_add_co_u32 v9, vcc_lo, v9, v3
	s_mul_i32 s24, s24, 12
	v_add_nc_u32_e32 v11, v31, v11
	v_mul_hi_u32 v15, v29, s0
	s_add_i32 s25, s25, s40
	v_add_co_ci_u32_e64 v10, null, 0, v10, vcc_lo
	v_add_co_u32 v13, vcc_lo, v13, v3
	s_add_u32 s24, s35, s24
	v_add_co_ci_u32_e64 v14, null, 0, v14, vcc_lo
	v_add_co_u32 v16, vcc_lo, s24, v4
	v_mov_b32_e32 v4, v23
	v_mad_u64_u32 v[35:36], null, s8, v8, 0
	v_lshrrev_b32_e32 v11, s1, v11
	s_addc_u32 s25, s15, s25
	v_add_nc_u32_e32 v15, v29, v15
	v_add_co_ci_u32_e64 v18, null, s25, v5, vcc_lo
	v_mad_u64_u32 v[4:5], null, s9, v12, v[4:5]
	v_mul_lo_u32 v11, v11, s2
	v_mov_b32_e32 v5, v36
	v_lshrrev_b32_e32 v12, s1, v15
	v_add_co_u32 v17, vcc_lo, v16, v3
	v_add_co_ci_u32_e64 v18, null, 0, v18, vcc_lo
	v_mov_b32_e32 v23, v4
	v_mad_u64_u32 v[4:5], null, s9, v8, v[5:6]
	v_sub_nc_u32_e32 v39, v31, v11
	v_mul_lo_u32 v36, v12, s2
	s_clause 0x3
	global_load_dwordx4 v[5:8], v[6:7], off
	global_load_dwordx4 v[9:12], v[9:10], off
	;; [unrolled: 1-line block ×4, first 2 shown]
	v_lshlrev_b64 v[22:23], 2, v[22:23]
	s_cmp_eq_u64 s[18:19], 0
	v_mad_u64_u32 v[37:38], null, s8, v39, 0
	v_sub_nc_u32_e32 v17, v29, v36
	v_mov_b32_e32 v36, v4
	v_mov_b32_e32 v4, v38
	v_mad_u64_u32 v[43:44], null, s8, v17, 0
	v_add_co_u32 v38, vcc_lo, s35, v22
	v_add_co_ci_u32_e64 v40, null, s15, v23, vcc_lo
	v_lshlrev_b64 v[22:23], 2, v[35:36]
	s_load_dword s8, s[4:5], 0x40
	s_waitcnt vmcnt(3)
	v_mad_u64_u32 v[35:36], null, s9, v39, v[4:5]
	v_mov_b32_e32 v4, v44
	v_add_co_u32 v39, vcc_lo, v38, v3
	v_add_co_ci_u32_e64 v40, null, 0, v40, vcc_lo
	v_mad_u64_u32 v[41:42], null, s9, v17, v[4:5]
	v_add_co_u32 v4, vcc_lo, s38, v22
	v_add_co_ci_u32_e64 v17, null, s41, v23, vcc_lo
	v_mov_b32_e32 v38, v35
	v_add_co_u32 v22, vcc_lo, v4, v3
	v_mov_b32_e32 v44, v41
	v_add_co_ci_u32_e64 v23, null, 0, v17, vcc_lo
	v_lshlrev_b64 v[45:46], 2, v[37:38]
	s_clause 0x1
	global_load_dwordx4 v[35:38], v[39:40], off
	global_load_dwordx4 v[39:42], v[22:23], off
	v_lshlrev_b64 v[22:23], 2, v[43:44]
	s_waitcnt lgkmcnt(0)
	v_fma_mixlo_f16 v5, s8, v5, 0
	v_fma_mixlo_f16 v6, s8, v6, 0
	v_add_co_u32 v4, vcc_lo, s26, v45
	v_add_co_ci_u32_e64 v17, null, s27, v46, vcc_lo
	v_add_co_u32 v43, vcc_lo, s24, v22
	v_add_co_ci_u32_e64 v44, null, s25, v23, vcc_lo
	;; [unrolled: 2-line block ×4, first 2 shown]
	s_clause 0x1
	global_load_dwordx4 v[43:46], v[22:23], off
	global_load_dwordx4 v[47:50], v[47:48], off
	v_fma_mixlo_f16 v7, s8, v7, 0
	v_fma_mixlo_f16 v8, s8, v8, 0
	s_waitcnt vmcnt(6)
	v_fma_mixlo_f16 v9, s8, v9, 0
	v_fma_mixlo_f16 v10, s8, v10, 0
	s_waitcnt vmcnt(5)
	v_fma_mixlo_f16 v13, s8, v13, 0
	v_fma_mixlo_f16 v14, s8, v14, 0
	;; [unrolled: 1-line block ×4, first 2 shown]
	s_waitcnt vmcnt(4)
	v_fma_mixlo_f16 v18, s8, v18, 0
	v_fma_mixlo_f16 v19, s8, v19, 0
	;; [unrolled: 1-line block ×4, first 2 shown]
	v_lshlrev_b32_e32 v6, 16, v6
	v_and_b32_e32 v5, 0xffff, v5
	v_lshlrev_b32_e32 v8, 16, v8
	v_and_b32_e32 v7, 0xffff, v7
	v_lshlrev_b32_e32 v10, 16, v10
	v_and_b32_e32 v9, 0xffff, v9
	v_lshlrev_b32_e32 v14, 16, v14
	v_and_b32_e32 v13, 0xffff, v13
	v_fma_mixlo_f16 v20, s8, v20, 0
	v_fma_mixlo_f16 v21, s8, v21, 0
	v_lshlrev_b32_e32 v12, 16, v12
	v_and_b32_e32 v11, 0xffff, v11
	v_lshlrev_b32_e32 v19, 16, v19
	v_and_b32_e32 v18, 0xffff, v18
	;; [unrolled: 2-line block ×3, first 2 shown]
	v_lshlrev_b32_e32 v4, 3, v0
	v_lshlrev_b32_e32 v17, 11, v1
	v_or_b32_e32 v5, v6, v5
	v_or3_b32 v6, v8, v7, 0
	v_or_b32_e32 v7, v10, v9
	v_or_b32_e32 v9, v14, v13
	v_lshlrev_b32_e32 v21, 16, v21
	v_and_b32_e32 v20, 0xffff, v20
	v_or3_b32 v8, v12, v11, 0
	v_or_b32_e32 v11, v19, v18
	v_or3_b32 v10, v16, v15, 0
	v_or_b32_e32 v22, v4, v17
	v_or3_b32 v5, 0, 0, v5
	v_or3_b32 v7, 0, 0, v7
	;; [unrolled: 1-line block ×5, first 2 shown]
	v_lshl_add_u32 v23, v24, 8, v4
	ds_write2_b64 v22, v[5:6], v[7:8] offset1:32
	v_lshl_add_u32 v24, v51, 8, v4
	v_lshl_add_u32 v51, v52, 8, v4
	;; [unrolled: 1-line block ×3, first 2 shown]
	s_waitcnt vmcnt(3)
	v_fma_mixlo_f16 v13, s8, v35, 0
	v_fma_mixlo_f16 v14, s8, v36, 0
	s_waitcnt vmcnt(2)
	v_fma_mixlo_f16 v18, s8, v39, 0
	v_fma_mixlo_f16 v19, s8, v40, 0
	;; [unrolled: 1-line block ×4, first 2 shown]
	v_lshlrev_b32_e32 v14, 16, v14
	v_and_b32_e32 v13, 0xffff, v13
	v_fma_mixlo_f16 v20, s8, v41, 0
	v_fma_mixlo_f16 v21, s8, v42, 0
	v_lshlrev_b32_e32 v19, 16, v19
	v_and_b32_e32 v18, 0xffff, v18
	v_lshlrev_b32_e32 v16, 16, v16
	v_and_b32_e32 v15, 0xffff, v15
	v_or_b32_e32 v5, v14, v13
	v_lshlrev_b32_e32 v21, 16, v21
	v_and_b32_e32 v20, 0xffff, v20
	v_or_b32_e32 v7, v19, v18
	v_or3_b32 v6, v16, v15, 0
	v_or3_b32 v5, 0, 0, v5
	;; [unrolled: 1-line block ×3, first 2 shown]
	s_waitcnt vmcnt(1)
	v_fma_mixlo_f16 v35, s8, v43, 0
	v_fma_mixlo_f16 v36, s8, v44, 0
	s_waitcnt vmcnt(0)
	v_fma_mixlo_f16 v39, s8, v47, 0
	v_fma_mixlo_f16 v40, s8, v48, 0
	;; [unrolled: 1-line block ×4, first 2 shown]
	v_lshlrev_b32_e32 v36, 16, v36
	v_and_b32_e32 v35, 0xffff, v35
	v_fma_mixlo_f16 v41, s8, v49, 0
	v_fma_mixlo_f16 v42, s8, v50, 0
	v_lshlrev_b32_e32 v40, 16, v40
	v_and_b32_e32 v39, 0xffff, v39
	v_lshlrev_b32_e32 v38, 16, v38
	v_and_b32_e32 v37, 0xffff, v37
	v_or_b32_e32 v13, v36, v35
	v_lshlrev_b32_e32 v42, 16, v42
	v_and_b32_e32 v41, 0xffff, v41
	v_or_b32_e32 v15, v40, v39
	v_or3_b32 v7, 0, 0, v7
	v_or3_b32 v14, v38, v37, 0
	;; [unrolled: 1-line block ×5, first 2 shown]
	ds_write2_b64 v22, v[9:10], v[11:12] offset0:64 offset1:96
	ds_write_b64 v23, v[5:6]
	ds_write_b64 v24, v[7:8]
	;; [unrolled: 1-line block ×4, first 2 shown]
	s_waitcnt lgkmcnt(0)
	s_barrier
	buffer_gl0_inv
	s_cbranch_scc1 .LBB75_4
; %bb.3:
	s_load_dword s8, s[4:5], 0xd0
	s_mov_b32 s9, 0
	s_waitcnt lgkmcnt(0)
	s_mul_i32 s8, s8, s7
	s_add_i32 s8, s8, s6
	s_lshl_b64 s[8:9], s[8:9], 2
	s_add_u32 s8, s18, s8
	s_addc_u32 s9, s19, s9
	s_load_dword s34, s[8:9], 0x0
.LBB75_4:
	v_mbcnt_lo_u32_b32 v19, -1, 0
	s_lshl_b32 s6, s28, 6
	s_waitcnt lgkmcnt(0)
	s_cmp_lt_i32 s6, s34
	s_cbranch_scc1 .LBB75_7
; %bb.5:
	v_mbcnt_lo_u32_b32 v9, -1, 0
	v_mov_b32_e32 v18, 32
	v_xor_b32_e32 v80, 16, v9
	v_xor_b32_e32 v78, 8, v9
	;; [unrolled: 1-line block ×5, first 2 shown]
	v_lshlrev_b32_e32 v35, 2, v0
	s_cbranch_execz .LBB75_8
; %bb.6:
	v_mov_b32_e32 v58, 0
	v_mov_b32_e32 v86, 0
	;; [unrolled: 1-line block ×32, first 2 shown]
	s_branch .LBB75_76
.LBB75_7:
                                        ; implicit-def: $vgpr9
                                        ; implicit-def: $vgpr18
                                        ; implicit-def: $vgpr80
                                        ; implicit-def: $vgpr78
                                        ; implicit-def: $vgpr77
                                        ; implicit-def: $vgpr76
                                        ; implicit-def: $vgpr75
	v_lshlrev_b32_e32 v35, 2, v0
.LBB75_8:
	s_clause 0x1
	s_load_dwordx4 s[24:27], s[4:5], 0x98
	s_load_dwordx2 s[18:19], s[4:5], 0x8c
	s_sub_i32 s8, 0, s29
	v_add3_u32 v8, s14, v25, 1
	s_mul_i32 s8, s8, s33
	s_ashr_i32 s41, s7, 31
	s_mul_hi_u32 s8, s33, s8
	s_abs_i32 s15, s30
	v_mul_hi_u32 v5, s0, v8
	s_add_i32 s33, s33, s8
	s_ashr_i32 s35, s30, 31
	s_mul_hi_u32 s33, s15, s33
	s_ashr_i32 s31, s31, 31
	s_ashr_i32 s40, s39, 1
	s_load_dwordx2 s[38:39], s[4:5], 0xa8
	s_mul_i32 s42, s33, s29
	v_lshrrev_b32_e32 v6, 3, v0
	v_lshrrev_b32_e32 v10, 4, v0
	v_add_nc_u32_e32 v5, v8, v5
	v_and_b32_e32 v11, 28, v35
	s_waitcnt lgkmcnt(0)
	s_ashr_i32 s8, s26, 2
	s_ashr_i32 s9, s18, 2
	s_mul_hi_u32 s18, s24, s7
	s_mul_i32 s26, s24, s41
	s_mul_i32 s25, s25, s7
	s_add_i32 s18, s18, s26
	s_mul_i32 s24, s24, s7
	s_add_i32 s18, s18, s25
	s_add_u32 s24, s10, s24
	s_addc_u32 s18, s11, s18
	s_sub_i32 s10, s15, s42
	s_xor_b32 s11, s35, s31
	s_add_i32 s15, s33, 1
	s_sub_i32 s25, s10, s29
	s_cmp_ge_u32 s10, s29
	v_lshl_add_u32 v6, v1, 2, v6
	v_add_nc_u32_e32 v10, v10, v25
	s_cselect_b32 s15, s15, s33
	s_cselect_b32 s10, s25, s10
	v_lshrrev_b32_e32 v9, s1, v5
	s_add_i32 s25, s15, 1
	s_cmp_ge_u32 s10, s29
	v_mul_lo_u32 v5, s9, v6
	v_mul_lo_u32 v13, s8, v10
	s_cselect_b32 s15, s25, s15
	v_lshlrev_b32_e32 v7, 2, v11
	v_mul_lo_u32 v9, v9, s2
	v_and_b32_e32 v42, 60, v35
	s_load_dword s10, s[4:5], 0x54
	s_xor_b32 s0, s15, s11
	v_mad_u32_u24 v12, 0x90, v6, v7
	s_sub_i32 s0, s0, s11
	v_lshl_add_u32 v7, s9, 5, v5
	s_mul_i32 s11, s0, s19
	v_lshlrev_b32_e32 v14, 2, v42
	v_lshl_add_u32 v15, s8, 4, v13
	s_mul_hi_u32 s25, s38, s7
	s_mul_i32 s26, s38, s41
	s_ashr_i32 s15, s11, 31
	s_add_u32 s11, s24, s11
	v_sub_nc_u32_e32 v9, v8, v9
	s_mul_i32 s19, s39, s7
	s_addc_u32 s15, s18, s15
	s_add_i32 s18, s25, s26
	s_mul_i32 s24, s38, s7
	v_ashrrev_i32_e32 v6, 31, v5
	v_ashrrev_i32_e32 v8, 31, v7
	v_lshl_or_b32 v10, v10, 8, v14
	v_ashrrev_i32_e32 v14, 31, v13
	v_ashrrev_i32_e32 v16, 31, v15
	s_add_i32 s18, s18, s19
	s_mul_i32 s0, s0, s27
	v_lshl_add_u32 v36, v1, 10, 0x6400
	s_add_u32 s12, s12, s24
	s_addc_u32 s13, s13, s18
	s_ashr_i32 s18, s0, 31
	v_mul_lo_u32 v23, v2, s40
	v_mul_lo_u32 v24, v9, s40
	s_add_u32 s12, s12, s0
	s_movk_i32 s0, 0x4000
	v_add_nc_u32_e32 v20, 0x4000, v12
	v_add_nc_u32_e32 v21, 0x5200, v12
	;; [unrolled: 1-line block ×4, first 2 shown]
	v_lshlrev_b64 v[9:10], 2, v[5:6]
	v_lshlrev_b32_e32 v40, 2, v11
	v_lshlrev_b64 v[11:12], 2, v[7:8]
	v_lshlrev_b64 v[13:14], 2, v[13:14]
	;; [unrolled: 1-line block ×3, first 2 shown]
	v_mov_b32_e32 v44, 0
	v_mad_u32_u24 v22, 0x90, v0, s0
	v_or_b32_e32 v39, 0x4000, v4
	v_mov_b32_e32 v73, 0xfeffffff
	v_mov_b32_e32 v18, 32
	v_add_nc_u32_e32 v41, v36, v3
	v_lshlrev_b32_e32 v42, 2, v42
	v_mov_b32_e32 v43, 0x10001
	v_mov_b32_e32 v45, 0
	;; [unrolled: 1-line block ×31, first 2 shown]
	s_addc_u32 s13, s13, s18
	s_add_u32 s0, s4, 0xd0
	s_addc_u32 s1, s5, 0
	s_mov_b32 s18, 0xbbbac73d
.LBB75_9:                               ; =>This Inner Loop Header: Depth=1
	s_mul_hi_i32 s25, s6, s9
	s_mul_i32 s24, s6, s9
	v_mov_b32_e32 v75, 0
	s_lshl_b64 s[24:25], s[24:25], 2
	v_mov_b32_e32 v88, 0
	s_add_u32 s19, s11, s24
	s_addc_u32 s24, s15, s25
	v_add_co_u32 v1, vcc_lo, s19, v9
	v_add_co_ci_u32_e64 v2, null, s24, v10, vcc_lo
	v_add_co_u32 v3, vcc_lo, s19, v11
	v_add_co_ci_u32_e64 v4, null, s24, v12, vcc_lo
	v_add_co_u32 v1, vcc_lo, v1, v40
	v_add_co_ci_u32_e64 v2, null, 0, v2, vcc_lo
	v_add_co_u32 v3, vcc_lo, v3, v40
	v_add_co_ci_u32_e64 v4, null, 0, v4, vcc_lo
	s_clause 0x1
	global_load_dwordx4 v[76:79], v[1:2], off
	global_load_dwordx4 v[89:92], v[3:4], off
	v_mov_b32_e32 v86, 0
	v_mov_b32_e32 v85, 0
	;; [unrolled: 1-line block ×10, first 2 shown]
	s_waitcnt vmcnt(1)
	ds_write_b128 v20, v[76:79]
	s_waitcnt vmcnt(0)
	ds_write_b128 v21, v[89:92]
	s_waitcnt lgkmcnt(0)
	s_barrier
	buffer_gl0_inv
	ds_read_b128 v[91:94], v22
	ds_read_b128 v[95:98], v17
	ds_read_b128 v[99:102], v17 offset:256
	ds_read_b128 v[103:106], v17 offset:512
	;; [unrolled: 1-line block ×8, first 2 shown]
	v_mov_b32_e32 v76, 0
	v_mov_b32_e32 v90, 0
	;; [unrolled: 1-line block ×4, first 2 shown]
	s_waitcnt lgkmcnt(8)
	;;#ASMSTART
	v_dot2_f32_f16 v75, v91, v95, v75
	;;#ASMEND
	;;#ASMSTART
	v_dot2_f32_f16 v75, v92, v96, v75
	;;#ASMEND
	;;#ASMSTART
	v_dot2_f32_f16 v75, v93, v97, v75
	;;#ASMEND
	;;#ASMSTART
	v_dot2_f32_f16 v75, v94, v98, v75
	;;#ASMEND
	s_waitcnt lgkmcnt(7)
	;;#ASMSTART
	v_dot2_f32_f16 v88, v91, v99, v88
	;;#ASMEND
	;;#ASMSTART
	v_dot2_f32_f16 v88, v92, v100, v88
	;;#ASMEND
	;;#ASMSTART
	v_dot2_f32_f16 v88, v93, v101, v88
	;;#ASMEND
	;;#ASMSTART
	v_dot2_f32_f16 v88, v94, v102, v88
	;;#ASMEND
	s_waitcnt lgkmcnt(6)
	;;#ASMSTART
	v_dot2_f32_f16 v86, v91, v103, v86
	;;#ASMEND
	;;#ASMSTART
	v_dot2_f32_f16 v86, v92, v104, v86
	;;#ASMEND
	;;#ASMSTART
	v_dot2_f32_f16 v86, v93, v105, v86
	;;#ASMEND
	;;#ASMSTART
	v_dot2_f32_f16 v86, v94, v106, v86
	;;#ASMEND
	s_waitcnt lgkmcnt(5)
	;;#ASMSTART
	v_dot2_f32_f16 v85, v91, v107, v85
	;;#ASMEND
	;;#ASMSTART
	v_dot2_f32_f16 v85, v92, v108, v85
	;;#ASMEND
	;;#ASMSTART
	v_dot2_f32_f16 v85, v93, v109, v85
	;;#ASMEND
	;;#ASMSTART
	v_dot2_f32_f16 v85, v94, v110, v85
	;;#ASMEND
	s_waitcnt lgkmcnt(3)
	;;#ASMSTART
	v_dot2_f32_f16 v82, v91, v115, v82
	;;#ASMEND
	;;#ASMSTART
	v_dot2_f32_f16 v82, v92, v116, v82
	;;#ASMEND
	;;#ASMSTART
	v_dot2_f32_f16 v82, v93, v117, v82
	;;#ASMEND
	;;#ASMSTART
	v_dot2_f32_f16 v82, v94, v118, v82
	;;#ASMEND
	s_waitcnt lgkmcnt(2)
	;;#ASMSTART
	v_dot2_f32_f16 v81, v91, v119, v81
	;;#ASMEND
	;;#ASMSTART
	v_dot2_f32_f16 v81, v92, v120, v81
	;;#ASMEND
	;;#ASMSTART
	v_dot2_f32_f16 v81, v93, v121, v81
	;;#ASMEND
	;;#ASMSTART
	v_dot2_f32_f16 v81, v94, v122, v81
	;;#ASMEND
	s_waitcnt lgkmcnt(1)
	;;#ASMSTART
	v_dot2_f32_f16 v7, v91, v123, v7
	;;#ASMEND
	;;#ASMSTART
	v_dot2_f32_f16 v7, v92, v124, v7
	;;#ASMEND
	;;#ASMSTART
	v_dot2_f32_f16 v7, v93, v125, v7
	;;#ASMEND
	;;#ASMSTART
	v_dot2_f32_f16 v7, v94, v126, v7
	;;#ASMEND
	s_waitcnt lgkmcnt(0)
	;;#ASMSTART
	v_dot2_f32_f16 v5, v91, v127, v5
	;;#ASMEND
	;;#ASMSTART
	v_dot2_f32_f16 v5, v92, v128, v5
	;;#ASMEND
	;;#ASMSTART
	v_dot2_f32_f16 v5, v93, v129, v5
	;;#ASMEND
	;;#ASMSTART
	v_dot2_f32_f16 v5, v94, v130, v5
	;;#ASMEND
	;;#ASMSTART
	v_dot2_f32_f16 v76, v111, v95, v76
	;;#ASMEND
	;;#ASMSTART
	v_dot2_f32_f16 v76, v112, v96, v76
	;;#ASMEND
	;; [unrolled: 3-line block ×32, first 2 shown]
	ds_read_b128 v[91:94], v22 offset:16
	ds_read_b128 v[95:98], v17 offset:16
	;; [unrolled: 1-line block ×10, first 2 shown]
	s_waitcnt lgkmcnt(8)
	;;#ASMSTART
	v_dot2_f32_f16 v75, v91, v95, v75
	;;#ASMEND
	;;#ASMSTART
	v_dot2_f32_f16 v75, v92, v96, v75
	;;#ASMEND
	;;#ASMSTART
	v_dot2_f32_f16 v75, v93, v97, v75
	;;#ASMEND
	;;#ASMSTART
	v_dot2_f32_f16 v75, v94, v98, v75
	;;#ASMEND
	s_waitcnt lgkmcnt(7)
	;;#ASMSTART
	v_dot2_f32_f16 v88, v91, v99, v88
	;;#ASMEND
	;;#ASMSTART
	v_dot2_f32_f16 v88, v92, v100, v88
	;;#ASMEND
	;;#ASMSTART
	v_dot2_f32_f16 v88, v93, v101, v88
	;;#ASMEND
	;;#ASMSTART
	v_dot2_f32_f16 v88, v94, v102, v88
	;;#ASMEND
	;; [unrolled: 13-line block ×8, first 2 shown]
	;;#ASMSTART
	v_dot2_f32_f16 v76, v111, v95, v76
	;;#ASMEND
	;;#ASMSTART
	v_dot2_f32_f16 v76, v112, v96, v76
	;;#ASMEND
	;; [unrolled: 3-line block ×32, first 2 shown]
	ds_read_b128 v[91:94], v22 offset:32
	ds_read_b128 v[95:98], v17 offset:32
	;; [unrolled: 1-line block ×10, first 2 shown]
	s_waitcnt lgkmcnt(8)
	;;#ASMSTART
	v_dot2_f32_f16 v75, v91, v95, v75
	;;#ASMEND
	;;#ASMSTART
	v_dot2_f32_f16 v75, v92, v96, v75
	;;#ASMEND
	;;#ASMSTART
	v_dot2_f32_f16 v75, v93, v97, v75
	;;#ASMEND
	;;#ASMSTART
	v_dot2_f32_f16 v75, v94, v98, v75
	;;#ASMEND
	s_waitcnt lgkmcnt(7)
	;;#ASMSTART
	v_dot2_f32_f16 v88, v91, v99, v88
	;;#ASMEND
	;;#ASMSTART
	v_dot2_f32_f16 v88, v92, v100, v88
	;;#ASMEND
	;;#ASMSTART
	v_dot2_f32_f16 v88, v93, v101, v88
	;;#ASMEND
	;;#ASMSTART
	v_dot2_f32_f16 v88, v94, v102, v88
	;;#ASMEND
	s_waitcnt lgkmcnt(6)
	;;#ASMSTART
	v_dot2_f32_f16 v86, v91, v103, v86
	;;#ASMEND
	;;#ASMSTART
	v_dot2_f32_f16 v86, v92, v104, v86
	;;#ASMEND
	;;#ASMSTART
	v_dot2_f32_f16 v86, v93, v105, v86
	;;#ASMEND
	;;#ASMSTART
	v_dot2_f32_f16 v86, v94, v106, v86
	;;#ASMEND
	s_waitcnt lgkmcnt(5)
	;;#ASMSTART
	v_dot2_f32_f16 v85, v91, v107, v85
	;;#ASMEND
	;;#ASMSTART
	v_dot2_f32_f16 v85, v92, v108, v85
	;;#ASMEND
	;;#ASMSTART
	v_dot2_f32_f16 v85, v93, v109, v85
	;;#ASMEND
	;;#ASMSTART
	v_dot2_f32_f16 v85, v94, v110, v85
	;;#ASMEND
	s_waitcnt lgkmcnt(3)
	;;#ASMSTART
	v_dot2_f32_f16 v82, v91, v115, v82
	;;#ASMEND
	;;#ASMSTART
	v_dot2_f32_f16 v82, v92, v116, v82
	;;#ASMEND
	;;#ASMSTART
	v_dot2_f32_f16 v82, v93, v117, v82
	;;#ASMEND
	;;#ASMSTART
	v_dot2_f32_f16 v82, v94, v118, v82
	;;#ASMEND
	s_waitcnt lgkmcnt(2)
	;;#ASMSTART
	v_dot2_f32_f16 v81, v91, v119, v81
	;;#ASMEND
	;;#ASMSTART
	v_dot2_f32_f16 v81, v92, v120, v81
	;;#ASMEND
	;;#ASMSTART
	v_dot2_f32_f16 v81, v93, v121, v81
	;;#ASMEND
	;;#ASMSTART
	v_dot2_f32_f16 v81, v94, v122, v81
	;;#ASMEND
	s_waitcnt lgkmcnt(1)
	;;#ASMSTART
	v_dot2_f32_f16 v7, v91, v123, v7
	;;#ASMEND
	;;#ASMSTART
	v_dot2_f32_f16 v7, v92, v124, v7
	;;#ASMEND
	;;#ASMSTART
	v_dot2_f32_f16 v7, v93, v125, v7
	;;#ASMEND
	;;#ASMSTART
	v_dot2_f32_f16 v7, v94, v126, v7
	;;#ASMEND
	s_waitcnt lgkmcnt(0)
	;;#ASMSTART
	v_dot2_f32_f16 v5, v91, v127, v5
	;;#ASMEND
	;;#ASMSTART
	v_dot2_f32_f16 v5, v92, v128, v5
	;;#ASMEND
	;;#ASMSTART
	v_dot2_f32_f16 v5, v93, v129, v5
	;;#ASMEND
	;;#ASMSTART
	v_dot2_f32_f16 v5, v94, v130, v5
	;;#ASMEND
	;;#ASMSTART
	v_dot2_f32_f16 v76, v111, v95, v76
	;;#ASMEND
	;;#ASMSTART
	v_dot2_f32_f16 v76, v112, v96, v76
	;;#ASMEND
	;; [unrolled: 3-line block ×32, first 2 shown]
	ds_read_b128 v[91:94], v22 offset:48
	ds_read_b128 v[95:98], v17 offset:48
	;; [unrolled: 1-line block ×10, first 2 shown]
	s_waitcnt lgkmcnt(8)
	;;#ASMSTART
	v_dot2_f32_f16 v75, v91, v95, v75
	;;#ASMEND
	;;#ASMSTART
	v_dot2_f32_f16 v75, v92, v96, v75
	;;#ASMEND
	;;#ASMSTART
	v_dot2_f32_f16 v75, v93, v97, v75
	;;#ASMEND
	;;#ASMSTART
	v_dot2_f32_f16 v75, v94, v98, v75
	;;#ASMEND
	s_waitcnt lgkmcnt(7)
	;;#ASMSTART
	v_dot2_f32_f16 v88, v91, v99, v88
	;;#ASMEND
	;;#ASMSTART
	v_dot2_f32_f16 v88, v92, v100, v88
	;;#ASMEND
	;;#ASMSTART
	v_dot2_f32_f16 v88, v93, v101, v88
	;;#ASMEND
	;;#ASMSTART
	v_dot2_f32_f16 v88, v94, v102, v88
	;;#ASMEND
	;; [unrolled: 13-line block ×8, first 2 shown]
	;;#ASMSTART
	v_dot2_f32_f16 v76, v111, v95, v76
	;;#ASMEND
	;;#ASMSTART
	v_dot2_f32_f16 v76, v112, v96, v76
	;;#ASMEND
	;; [unrolled: 3-line block ×32, first 2 shown]
	ds_read_b128 v[91:94], v22 offset:64
	ds_read_b128 v[95:98], v17 offset:64
	ds_read_b128 v[99:102], v17 offset:320
	ds_read_b128 v[103:106], v17 offset:576
	ds_read_b128 v[107:110], v17 offset:832
	ds_read_b128 v[111:114], v22 offset:4672
	ds_read_b128 v[115:118], v17 offset:1088
	ds_read_b128 v[119:122], v17 offset:1344
	ds_read_b128 v[123:126], v17 offset:1600
	ds_read_b128 v[127:130], v17 offset:1856
	s_waitcnt lgkmcnt(8)
	;;#ASMSTART
	v_dot2_f32_f16 v75, v91, v95, v75
	;;#ASMEND
	;;#ASMSTART
	v_dot2_f32_f16 v75, v92, v96, v75
	;;#ASMEND
	;;#ASMSTART
	v_dot2_f32_f16 v75, v93, v97, v75
	;;#ASMEND
	;;#ASMSTART
	v_dot2_f32_f16 v75, v94, v98, v75
	;;#ASMEND
	s_waitcnt lgkmcnt(7)
	;;#ASMSTART
	v_dot2_f32_f16 v88, v91, v99, v88
	;;#ASMEND
	;;#ASMSTART
	v_dot2_f32_f16 v88, v92, v100, v88
	;;#ASMEND
	;;#ASMSTART
	v_dot2_f32_f16 v88, v93, v101, v88
	;;#ASMEND
	;;#ASMSTART
	v_dot2_f32_f16 v88, v94, v102, v88
	;;#ASMEND
	;; [unrolled: 13-line block ×8, first 2 shown]
	;;#ASMSTART
	v_dot2_f32_f16 v76, v111, v95, v76
	;;#ASMEND
	;;#ASMSTART
	v_dot2_f32_f16 v76, v112, v96, v76
	;;#ASMEND
	;; [unrolled: 3-line block ×32, first 2 shown]
	ds_read_b128 v[91:94], v22 offset:80
	ds_read_b128 v[95:98], v17 offset:80
	ds_read_b128 v[99:102], v17 offset:336
	ds_read_b128 v[103:106], v17 offset:592
	ds_read_b128 v[107:110], v17 offset:848
	ds_read_b128 v[111:114], v22 offset:4688
	ds_read_b128 v[115:118], v17 offset:1104
	ds_read_b128 v[119:122], v17 offset:1360
	ds_read_b128 v[123:126], v17 offset:1616
	ds_read_b128 v[127:130], v17 offset:1872
	s_waitcnt lgkmcnt(8)
	;;#ASMSTART
	v_dot2_f32_f16 v75, v91, v95, v75
	;;#ASMEND
	;;#ASMSTART
	v_dot2_f32_f16 v75, v92, v96, v75
	;;#ASMEND
	;;#ASMSTART
	v_dot2_f32_f16 v75, v93, v97, v75
	;;#ASMEND
	;;#ASMSTART
	v_dot2_f32_f16 v75, v94, v98, v75
	;;#ASMEND
	s_waitcnt lgkmcnt(7)
	;;#ASMSTART
	v_dot2_f32_f16 v88, v91, v99, v88
	;;#ASMEND
	;;#ASMSTART
	v_dot2_f32_f16 v88, v92, v100, v88
	;;#ASMEND
	;;#ASMSTART
	v_dot2_f32_f16 v88, v93, v101, v88
	;;#ASMEND
	;;#ASMSTART
	v_dot2_f32_f16 v88, v94, v102, v88
	;;#ASMEND
	;; [unrolled: 13-line block ×8, first 2 shown]
	;;#ASMSTART
	v_dot2_f32_f16 v76, v111, v95, v76
	;;#ASMEND
	;;#ASMSTART
	v_dot2_f32_f16 v76, v112, v96, v76
	;;#ASMEND
	;; [unrolled: 3-line block ×32, first 2 shown]
	ds_read_b128 v[91:94], v22 offset:96
	ds_read_b128 v[95:98], v17 offset:96
	;; [unrolled: 1-line block ×10, first 2 shown]
	s_waitcnt lgkmcnt(8)
	;;#ASMSTART
	v_dot2_f32_f16 v75, v91, v95, v75
	;;#ASMEND
	;;#ASMSTART
	v_dot2_f32_f16 v75, v92, v96, v75
	;;#ASMEND
	;;#ASMSTART
	v_dot2_f32_f16 v75, v93, v97, v75
	;;#ASMEND
	;;#ASMSTART
	v_dot2_f32_f16 v75, v94, v98, v75
	;;#ASMEND
	s_waitcnt lgkmcnt(7)
	;;#ASMSTART
	v_dot2_f32_f16 v88, v91, v99, v88
	;;#ASMEND
	;;#ASMSTART
	v_dot2_f32_f16 v88, v92, v100, v88
	;;#ASMEND
	;;#ASMSTART
	v_dot2_f32_f16 v88, v93, v101, v88
	;;#ASMEND
	;;#ASMSTART
	v_dot2_f32_f16 v88, v94, v102, v88
	;;#ASMEND
	;; [unrolled: 13-line block ×8, first 2 shown]
	;;#ASMSTART
	v_dot2_f32_f16 v76, v111, v95, v76
	;;#ASMEND
	;;#ASMSTART
	v_dot2_f32_f16 v76, v112, v96, v76
	;;#ASMEND
	;; [unrolled: 3-line block ×32, first 2 shown]
	ds_read_b128 v[91:94], v22 offset:112
	ds_read_b128 v[95:98], v17 offset:112
	;; [unrolled: 1-line block ×10, first 2 shown]
	s_waitcnt lgkmcnt(8)
	;;#ASMSTART
	v_dot2_f32_f16 v75, v91, v95, v75
	;;#ASMEND
	;;#ASMSTART
	v_dot2_f32_f16 v75, v92, v96, v75
	;;#ASMEND
	;;#ASMSTART
	v_dot2_f32_f16 v75, v93, v97, v75
	;;#ASMEND
	;;#ASMSTART
	v_dot2_f32_f16 v75, v94, v98, v75
	;;#ASMEND
	s_waitcnt lgkmcnt(7)
	;;#ASMSTART
	v_dot2_f32_f16 v88, v91, v99, v88
	;;#ASMEND
	;;#ASMSTART
	v_dot2_f32_f16 v88, v92, v100, v88
	;;#ASMEND
	;;#ASMSTART
	v_dot2_f32_f16 v88, v93, v101, v88
	;;#ASMEND
	;;#ASMSTART
	v_dot2_f32_f16 v88, v94, v102, v88
	;;#ASMEND
	;; [unrolled: 13-line block ×8, first 2 shown]
	;;#ASMSTART
	v_dot2_f32_f16 v76, v111, v95, v76
	;;#ASMEND
	;;#ASMSTART
	v_dot2_f32_f16 v76, v112, v96, v76
	;;#ASMEND
	;; [unrolled: 3-line block ×32, first 2 shown]
	s_barrier
	buffer_gl0_inv
	s_clause 0x1
	global_load_dwordx4 v[91:94], v[1:2], off offset:128
	global_load_dwordx4 v[1:4], v[3:4], off offset:128
	s_waitcnt vmcnt(1)
	ds_write_b128 v20, v[91:94]
	s_waitcnt vmcnt(0)
	ds_write_b128 v21, v[1:4]
	s_waitcnt lgkmcnt(0)
	s_barrier
	buffer_gl0_inv
	ds_read_b128 v[1:4], v22
	ds_read_b128 v[91:94], v17 offset:128
	ds_read_b128 v[95:98], v17 offset:384
	;; [unrolled: 1-line block ×9, first 2 shown]
	s_waitcnt lgkmcnt(8)
	;;#ASMSTART
	v_dot2_f32_f16 v75, v1, v91, v75
	;;#ASMEND
	;;#ASMSTART
	v_dot2_f32_f16 v75, v2, v92, v75
	;;#ASMEND
	;;#ASMSTART
	v_dot2_f32_f16 v75, v3, v93, v75
	;;#ASMEND
	;;#ASMSTART
	v_dot2_f32_f16 v75, v4, v94, v75
	;;#ASMEND
	s_waitcnt lgkmcnt(7)
	;;#ASMSTART
	v_dot2_f32_f16 v88, v1, v95, v88
	;;#ASMEND
	;;#ASMSTART
	v_dot2_f32_f16 v88, v2, v96, v88
	;;#ASMEND
	;;#ASMSTART
	v_dot2_f32_f16 v88, v3, v97, v88
	;;#ASMEND
	;;#ASMSTART
	v_dot2_f32_f16 v88, v4, v98, v88
	;;#ASMEND
	;; [unrolled: 13-line block ×8, first 2 shown]
	;;#ASMSTART
	v_dot2_f32_f16 v76, v107, v91, v76
	;;#ASMEND
	;;#ASMSTART
	v_dot2_f32_f16 v76, v108, v92, v76
	;;#ASMEND
	;; [unrolled: 3-line block ×32, first 2 shown]
	ds_read_b128 v[1:4], v22 offset:16
	ds_read_b128 v[91:94], v17 offset:144
	;; [unrolled: 1-line block ×10, first 2 shown]
	s_waitcnt lgkmcnt(8)
	;;#ASMSTART
	v_dot2_f32_f16 v75, v1, v91, v75
	;;#ASMEND
	;;#ASMSTART
	v_dot2_f32_f16 v75, v2, v92, v75
	;;#ASMEND
	;;#ASMSTART
	v_dot2_f32_f16 v75, v3, v93, v75
	;;#ASMEND
	;;#ASMSTART
	v_dot2_f32_f16 v75, v4, v94, v75
	;;#ASMEND
	s_waitcnt lgkmcnt(7)
	;;#ASMSTART
	v_dot2_f32_f16 v88, v1, v95, v88
	;;#ASMEND
	;;#ASMSTART
	v_dot2_f32_f16 v88, v2, v96, v88
	;;#ASMEND
	;;#ASMSTART
	v_dot2_f32_f16 v88, v3, v97, v88
	;;#ASMEND
	;;#ASMSTART
	v_dot2_f32_f16 v88, v4, v98, v88
	;;#ASMEND
	s_waitcnt lgkmcnt(6)
	;;#ASMSTART
	v_dot2_f32_f16 v86, v1, v99, v86
	;;#ASMEND
	;;#ASMSTART
	v_dot2_f32_f16 v86, v2, v100, v86
	;;#ASMEND
	;;#ASMSTART
	v_dot2_f32_f16 v86, v3, v101, v86
	;;#ASMEND
	;;#ASMSTART
	v_dot2_f32_f16 v86, v4, v102, v86
	;;#ASMEND
	s_waitcnt lgkmcnt(5)
	;;#ASMSTART
	v_dot2_f32_f16 v85, v1, v103, v85
	;;#ASMEND
	;;#ASMSTART
	v_dot2_f32_f16 v85, v2, v104, v85
	;;#ASMEND
	;;#ASMSTART
	v_dot2_f32_f16 v85, v3, v105, v85
	;;#ASMEND
	;;#ASMSTART
	v_dot2_f32_f16 v85, v4, v106, v85
	;;#ASMEND
	s_waitcnt lgkmcnt(3)
	;;#ASMSTART
	v_dot2_f32_f16 v82, v1, v111, v82
	;;#ASMEND
	;;#ASMSTART
	v_dot2_f32_f16 v82, v2, v112, v82
	;;#ASMEND
	;;#ASMSTART
	v_dot2_f32_f16 v82, v3, v113, v82
	;;#ASMEND
	;;#ASMSTART
	v_dot2_f32_f16 v82, v4, v114, v82
	;;#ASMEND
	s_waitcnt lgkmcnt(2)
	;;#ASMSTART
	v_dot2_f32_f16 v81, v1, v115, v81
	;;#ASMEND
	;;#ASMSTART
	v_dot2_f32_f16 v81, v2, v116, v81
	;;#ASMEND
	;;#ASMSTART
	v_dot2_f32_f16 v81, v3, v117, v81
	;;#ASMEND
	;;#ASMSTART
	v_dot2_f32_f16 v81, v4, v118, v81
	;;#ASMEND
	s_waitcnt lgkmcnt(1)
	;;#ASMSTART
	v_dot2_f32_f16 v7, v1, v119, v7
	;;#ASMEND
	;;#ASMSTART
	v_dot2_f32_f16 v7, v2, v120, v7
	;;#ASMEND
	;;#ASMSTART
	v_dot2_f32_f16 v7, v3, v121, v7
	;;#ASMEND
	;;#ASMSTART
	v_dot2_f32_f16 v7, v4, v122, v7
	;;#ASMEND
	s_waitcnt lgkmcnt(0)
	;;#ASMSTART
	v_dot2_f32_f16 v5, v1, v123, v5
	;;#ASMEND
	;;#ASMSTART
	v_dot2_f32_f16 v5, v2, v124, v5
	;;#ASMEND
	;;#ASMSTART
	v_dot2_f32_f16 v5, v3, v125, v5
	;;#ASMEND
	;;#ASMSTART
	v_dot2_f32_f16 v5, v4, v126, v5
	;;#ASMEND
	;;#ASMSTART
	v_dot2_f32_f16 v76, v107, v91, v76
	;;#ASMEND
	;;#ASMSTART
	v_dot2_f32_f16 v76, v108, v92, v76
	;;#ASMEND
	;; [unrolled: 3-line block ×32, first 2 shown]
	ds_read_b128 v[1:4], v22 offset:32
	ds_read_b128 v[91:94], v17 offset:160
	ds_read_b128 v[95:98], v17 offset:416
	ds_read_b128 v[99:102], v17 offset:672
	ds_read_b128 v[103:106], v17 offset:928
	ds_read_b128 v[107:110], v22 offset:4640
	ds_read_b128 v[111:114], v17 offset:1184
	ds_read_b128 v[115:118], v17 offset:1440
	ds_read_b128 v[119:122], v17 offset:1696
	ds_read_b128 v[123:126], v17 offset:1952
	s_waitcnt lgkmcnt(8)
	;;#ASMSTART
	v_dot2_f32_f16 v75, v1, v91, v75
	;;#ASMEND
	;;#ASMSTART
	v_dot2_f32_f16 v75, v2, v92, v75
	;;#ASMEND
	;;#ASMSTART
	v_dot2_f32_f16 v75, v3, v93, v75
	;;#ASMEND
	;;#ASMSTART
	v_dot2_f32_f16 v75, v4, v94, v75
	;;#ASMEND
	s_waitcnt lgkmcnt(7)
	;;#ASMSTART
	v_dot2_f32_f16 v88, v1, v95, v88
	;;#ASMEND
	;;#ASMSTART
	v_dot2_f32_f16 v88, v2, v96, v88
	;;#ASMEND
	;;#ASMSTART
	v_dot2_f32_f16 v88, v3, v97, v88
	;;#ASMEND
	;;#ASMSTART
	v_dot2_f32_f16 v88, v4, v98, v88
	;;#ASMEND
	;; [unrolled: 13-line block ×8, first 2 shown]
	;;#ASMSTART
	v_dot2_f32_f16 v76, v107, v91, v76
	;;#ASMEND
	;;#ASMSTART
	v_dot2_f32_f16 v76, v108, v92, v76
	;;#ASMEND
	;; [unrolled: 3-line block ×32, first 2 shown]
	ds_read_b128 v[1:4], v22 offset:48
	ds_read_b128 v[91:94], v17 offset:176
	;; [unrolled: 1-line block ×10, first 2 shown]
	s_waitcnt lgkmcnt(8)
	;;#ASMSTART
	v_dot2_f32_f16 v75, v1, v91, v75
	;;#ASMEND
	;;#ASMSTART
	v_dot2_f32_f16 v75, v2, v92, v75
	;;#ASMEND
	;;#ASMSTART
	v_dot2_f32_f16 v75, v3, v93, v75
	;;#ASMEND
	;;#ASMSTART
	v_dot2_f32_f16 v75, v4, v94, v75
	;;#ASMEND
	s_waitcnt lgkmcnt(7)
	;;#ASMSTART
	v_dot2_f32_f16 v88, v1, v95, v88
	;;#ASMEND
	;;#ASMSTART
	v_dot2_f32_f16 v88, v2, v96, v88
	;;#ASMEND
	;;#ASMSTART
	v_dot2_f32_f16 v88, v3, v97, v88
	;;#ASMEND
	;;#ASMSTART
	v_dot2_f32_f16 v88, v4, v98, v88
	;;#ASMEND
	;; [unrolled: 13-line block ×8, first 2 shown]
	;;#ASMSTART
	v_dot2_f32_f16 v76, v107, v91, v76
	;;#ASMEND
	;;#ASMSTART
	v_dot2_f32_f16 v76, v108, v92, v76
	;;#ASMEND
	;; [unrolled: 3-line block ×32, first 2 shown]
	ds_read_b128 v[1:4], v22 offset:64
	ds_read_b128 v[91:94], v17 offset:192
	;; [unrolled: 1-line block ×10, first 2 shown]
	s_waitcnt lgkmcnt(8)
	;;#ASMSTART
	v_dot2_f32_f16 v75, v1, v91, v75
	;;#ASMEND
	;;#ASMSTART
	v_dot2_f32_f16 v75, v2, v92, v75
	;;#ASMEND
	;;#ASMSTART
	v_dot2_f32_f16 v75, v3, v93, v75
	;;#ASMEND
	;;#ASMSTART
	v_dot2_f32_f16 v75, v4, v94, v75
	;;#ASMEND
	s_waitcnt lgkmcnt(7)
	;;#ASMSTART
	v_dot2_f32_f16 v88, v1, v95, v88
	;;#ASMEND
	;;#ASMSTART
	v_dot2_f32_f16 v88, v2, v96, v88
	;;#ASMEND
	;;#ASMSTART
	v_dot2_f32_f16 v88, v3, v97, v88
	;;#ASMEND
	;;#ASMSTART
	v_dot2_f32_f16 v88, v4, v98, v88
	;;#ASMEND
	;; [unrolled: 13-line block ×8, first 2 shown]
	;;#ASMSTART
	v_dot2_f32_f16 v76, v107, v91, v76
	;;#ASMEND
	;;#ASMSTART
	v_dot2_f32_f16 v76, v108, v92, v76
	;;#ASMEND
	;; [unrolled: 3-line block ×32, first 2 shown]
	ds_read_b128 v[1:4], v22 offset:80
	ds_read_b128 v[91:94], v17 offset:208
	;; [unrolled: 1-line block ×10, first 2 shown]
	s_waitcnt lgkmcnt(8)
	;;#ASMSTART
	v_dot2_f32_f16 v75, v1, v91, v75
	;;#ASMEND
	;;#ASMSTART
	v_dot2_f32_f16 v75, v2, v92, v75
	;;#ASMEND
	;;#ASMSTART
	v_dot2_f32_f16 v75, v3, v93, v75
	;;#ASMEND
	;;#ASMSTART
	v_dot2_f32_f16 v75, v4, v94, v75
	;;#ASMEND
	s_waitcnt lgkmcnt(7)
	;;#ASMSTART
	v_dot2_f32_f16 v88, v1, v95, v88
	;;#ASMEND
	;;#ASMSTART
	v_dot2_f32_f16 v88, v2, v96, v88
	;;#ASMEND
	;;#ASMSTART
	v_dot2_f32_f16 v88, v3, v97, v88
	;;#ASMEND
	;;#ASMSTART
	v_dot2_f32_f16 v88, v4, v98, v88
	;;#ASMEND
	;; [unrolled: 13-line block ×8, first 2 shown]
	;;#ASMSTART
	v_dot2_f32_f16 v76, v107, v91, v76
	;;#ASMEND
	;;#ASMSTART
	v_dot2_f32_f16 v76, v108, v92, v76
	;;#ASMEND
	;; [unrolled: 3-line block ×32, first 2 shown]
	ds_read_b128 v[1:4], v22 offset:96
	ds_read_b128 v[91:94], v17 offset:224
	;; [unrolled: 1-line block ×10, first 2 shown]
	s_waitcnt lgkmcnt(8)
	;;#ASMSTART
	v_dot2_f32_f16 v75, v1, v91, v75
	;;#ASMEND
	;;#ASMSTART
	v_dot2_f32_f16 v75, v2, v92, v75
	;;#ASMEND
	;;#ASMSTART
	v_dot2_f32_f16 v75, v3, v93, v75
	;;#ASMEND
	;;#ASMSTART
	v_dot2_f32_f16 v75, v4, v94, v75
	;;#ASMEND
	s_waitcnt lgkmcnt(7)
	;;#ASMSTART
	v_dot2_f32_f16 v88, v1, v95, v88
	;;#ASMEND
	;;#ASMSTART
	v_dot2_f32_f16 v88, v2, v96, v88
	;;#ASMEND
	;;#ASMSTART
	v_dot2_f32_f16 v88, v3, v97, v88
	;;#ASMEND
	;;#ASMSTART
	v_dot2_f32_f16 v88, v4, v98, v88
	;;#ASMEND
	;; [unrolled: 13-line block ×8, first 2 shown]
	;;#ASMSTART
	v_dot2_f32_f16 v76, v107, v91, v76
	;;#ASMEND
	;;#ASMSTART
	v_dot2_f32_f16 v76, v108, v92, v76
	;;#ASMEND
	;; [unrolled: 3-line block ×32, first 2 shown]
	ds_read_b128 v[1:4], v22 offset:112
	ds_read_b128 v[91:94], v17 offset:240
	;; [unrolled: 1-line block ×10, first 2 shown]
	s_waitcnt lgkmcnt(8)
	;;#ASMSTART
	v_dot2_f32_f16 v75, v1, v91, v75
	;;#ASMEND
	;;#ASMSTART
	v_dot2_f32_f16 v75, v2, v92, v75
	;;#ASMEND
	;;#ASMSTART
	v_dot2_f32_f16 v75, v3, v93, v75
	;;#ASMEND
	;;#ASMSTART
	v_dot2_f32_f16 v75, v4, v94, v75
	;;#ASMEND
	s_waitcnt lgkmcnt(7)
	;;#ASMSTART
	v_dot2_f32_f16 v88, v1, v95, v88
	;;#ASMEND
	;;#ASMSTART
	v_dot2_f32_f16 v88, v2, v96, v88
	;;#ASMEND
	;;#ASMSTART
	v_dot2_f32_f16 v88, v3, v97, v88
	;;#ASMEND
	;;#ASMSTART
	v_dot2_f32_f16 v88, v4, v98, v88
	;;#ASMEND
	;; [unrolled: 13-line block ×8, first 2 shown]
	;;#ASMSTART
	v_dot2_f32_f16 v76, v107, v91, v76
	;;#ASMEND
	;;#ASMSTART
	v_dot2_f32_f16 v76, v108, v92, v76
	;;#ASMEND
	;; [unrolled: 3-line block ×25, first 2 shown]
	v_cmp_ngt_f32_e64 s19, 0x3f200000, |v75|
	;;#ASMSTART
	v_dot2_f32_f16 v79, v108, v120, v79
	;;#ASMEND
	;;#ASMSTART
	v_dot2_f32_f16 v79, v109, v121, v79
	;;#ASMEND
	;; [unrolled: 3-line block ×7, first 2 shown]
                                        ; implicit-def: $vgpr3
	s_and_saveexec_b32 s24, s19
	s_xor_b32 s19, exec_lo, s24
	s_cbranch_execz .LBB75_11
; %bb.10:                               ;   in Loop: Header=BB75_9 Depth=1
	v_add_f32_e64 v1, |v75|, |v75|
	v_mul_f32_e32 v2, 0x3fb8aa3b, v1
	v_cmp_ngt_f32_e32 vcc_lo, 0xc2ce8ed0, v1
	v_rndne_f32_e32 v3, v2
	v_fma_f32 v4, 0x3fb8aa3b, v1, -v2
	v_sub_f32_e32 v2, v2, v3
	v_fmac_f32_e32 v4, 0x32a5705f, v1
	v_cvt_i32_f32_e32 v3, v3
	v_add_f32_e32 v2, v2, v4
	v_exp_f32_e32 v2, v2
	v_ldexp_f32 v2, v2, v3
	v_cndmask_b32_e32 v2, 0, v2, vcc_lo
	v_cmp_nlt_f32_e32 vcc_lo, 0x42b17218, v1
	v_cndmask_b32_e32 v1, 0x7f800000, v2, vcc_lo
	v_add_f32_e32 v1, 1.0, v1
	v_rcp_f32_e32 v1, v1
	v_fma_f32 v3, v1, -2.0, 1.0
.LBB75_11:                              ;   in Loop: Header=BB75_9 Depth=1
	s_andn2_saveexec_b32 s19, s19
	s_cbranch_execz .LBB75_13
; %bb.12:                               ;   in Loop: Header=BB75_9 Depth=1
	v_mul_f32_e32 v1, v75, v75
	v_fmaak_f32 v2, s18, v1, 0x3ca908c9
	v_fmaak_f32 v2, v1, v2, 0xbd5c1c4e
	;; [unrolled: 1-line block ×4, first 2 shown]
	v_mul_f32_e64 v2, |v75|, v2
	v_fma_f32 v3, v1, v2, |v75|
.LBB75_13:                              ;   in Loop: Header=BB75_9 Depth=1
	s_or_b32 exec_lo, exec_lo, s19
	v_add_nc_u32_e32 v99, s6, v0
	v_cmp_ngt_f32_e64 s19, 0x3f200000, |v76|
                                        ; implicit-def: $vgpr4
	v_add_nc_u32_e32 v1, v99, v23
	v_ashrrev_i32_e32 v2, 31, v1
	v_lshlrev_b64 v[1:2], 1, v[1:2]
	v_add_co_u32 v1, vcc_lo, s36, v1
	v_add_co_ci_u32_e64 v2, null, s37, v2, vcc_lo
	global_load_ushort v93, v[1:2], off
	s_and_saveexec_b32 s24, s19
	s_xor_b32 s19, exec_lo, s24
	s_cbranch_execz .LBB75_15
; %bb.14:                               ;   in Loop: Header=BB75_9 Depth=1
	v_add_f32_e64 v4, |v76|, |v76|
	v_mul_f32_e32 v77, 0x3fb8aa3b, v4
	v_cmp_ngt_f32_e32 vcc_lo, 0xc2ce8ed0, v4
	v_rndne_f32_e32 v78, v77
	v_fma_f32 v80, 0x3fb8aa3b, v4, -v77
	v_sub_f32_e32 v77, v77, v78
	v_fmac_f32_e32 v80, 0x32a5705f, v4
	v_cvt_i32_f32_e32 v78, v78
	v_add_f32_e32 v77, v77, v80
	v_exp_f32_e32 v77, v77
	v_ldexp_f32 v77, v77, v78
	v_cndmask_b32_e32 v77, 0, v77, vcc_lo
	v_cmp_nlt_f32_e32 vcc_lo, 0x42b17218, v4
	v_cndmask_b32_e32 v4, 0x7f800000, v77, vcc_lo
	v_add_f32_e32 v4, 1.0, v4
	v_rcp_f32_e32 v4, v4
	v_fma_f32 v4, v4, -2.0, 1.0
.LBB75_15:                              ;   in Loop: Header=BB75_9 Depth=1
	s_andn2_saveexec_b32 s19, s19
	s_cbranch_execz .LBB75_17
; %bb.16:                               ;   in Loop: Header=BB75_9 Depth=1
	v_mul_f32_e32 v4, v76, v76
	v_fmaak_f32 v77, s18, v4, 0x3ca908c9
	v_fmaak_f32 v77, v4, v77, 0xbd5c1c4e
	v_fmaak_f32 v77, v4, v77, 0x3e088382
	v_fmaak_f32 v77, v4, v77, 0xbeaaaa99
	v_mul_f32_e64 v77, |v76|, v77
	v_fma_f32 v4, v4, v77, |v76|
.LBB75_17:                              ;   in Loop: Header=BB75_9 Depth=1
	s_or_b32 exec_lo, exec_lo, s19
	global_load_ushort v1, v[1:2], off offset:64
	v_bfi_b32 v2, 0x7fffffff, v3, v75
	v_bfi_b32 v3, 0x7fffffff, v4, v76
	v_xor_b32_e32 v80, 16, v19
	v_xor_b32_e32 v78, 8, v19
	;; [unrolled: 1-line block ×3, first 2 shown]
	s_waitcnt vmcnt(1)
	v_fma_mix_f32 v96, s10, v2, v93 op_sel_hi:[0,0,1]
	v_xor_b32_e32 v76, 2, v19
	v_cmp_gt_i32_e32 vcc_lo, 32, v80
	v_cmp_ngt_f32_e64 s19, 0x3f200000, |v88|
	v_add_f32_e32 v2, 0x40051340, v96
	s_waitcnt vmcnt(0)
	v_fma_mix_f32 v97, s10, v3, v1 op_sel_hi:[0,0,1]
	v_cndmask_b32_e32 v3, v19, v80, vcc_lo
	v_cmp_gt_i32_e32 vcc_lo, 32, v78
	v_add_f32_e32 v4, 0x40051340, v97
	v_lshlrev_b32_e32 v3, 2, v3
	v_cndmask_b32_e32 v75, v19, v78, vcc_lo
	v_cmp_gt_i32_e32 vcc_lo, 32, v77
	v_max3_f32 v2, v73, v2, v4
	v_lshlrev_b32_e32 v98, 2, v75
	v_cndmask_b32_e32 v75, v19, v77, vcc_lo
	v_cmp_gt_i32_e32 vcc_lo, 32, v76
	ds_bpermute_b32 v4, v3, v2
	v_lshlrev_b32_e32 v95, 2, v75
	v_cndmask_b32_e32 v75, v19, v76, vcc_lo
	v_lshlrev_b32_e32 v92, 2, v75
	v_xor_b32_e32 v75, 1, v19
	v_cmp_gt_i32_e32 vcc_lo, 32, v75
	v_cndmask_b32_e32 v91, v19, v75, vcc_lo
	s_waitcnt lgkmcnt(0)
	v_max_f32_e32 v4, v4, v4
	v_lshlrev_b32_e32 v91, 2, v91
	v_max_f32_e32 v2, v2, v4
	ds_bpermute_b32 v4, v98, v2
	s_waitcnt lgkmcnt(0)
	v_max_f32_e32 v4, v4, v4
	v_max_f32_e32 v2, v2, v4
	ds_bpermute_b32 v4, v95, v2
	s_waitcnt lgkmcnt(0)
	v_max_f32_e32 v4, v4, v4
	;; [unrolled: 4-line block ×3, first 2 shown]
	v_max_f32_e32 v4, v2, v4
                                        ; implicit-def: $vgpr2
	ds_bpermute_b32 v104, v91, v4
	s_and_saveexec_b32 s24, s19
	s_xor_b32 s19, exec_lo, s24
	s_cbranch_execz .LBB75_19
; %bb.18:                               ;   in Loop: Header=BB75_9 Depth=1
	v_add_f32_e64 v2, |v88|, |v88|
	v_mul_f32_e32 v94, 0x3fb8aa3b, v2
	v_cmp_ngt_f32_e32 vcc_lo, 0xc2ce8ed0, v2
	v_rndne_f32_e32 v100, v94
	v_fma_f32 v101, 0x3fb8aa3b, v2, -v94
	v_sub_f32_e32 v94, v94, v100
	v_fmac_f32_e32 v101, 0x32a5705f, v2
	v_cvt_i32_f32_e32 v100, v100
	v_add_f32_e32 v94, v94, v101
	v_exp_f32_e32 v94, v94
	v_ldexp_f32 v94, v94, v100
	v_cndmask_b32_e32 v94, 0, v94, vcc_lo
	v_cmp_nlt_f32_e32 vcc_lo, 0x42b17218, v2
	v_cndmask_b32_e32 v2, 0x7f800000, v94, vcc_lo
	v_add_f32_e32 v2, 1.0, v2
	v_rcp_f32_e32 v2, v2
	v_fma_f32 v2, v2, -2.0, 1.0
.LBB75_19:                              ;   in Loop: Header=BB75_9 Depth=1
	s_andn2_saveexec_b32 s19, s19
	s_cbranch_execz .LBB75_21
; %bb.20:                               ;   in Loop: Header=BB75_9 Depth=1
	v_mul_f32_e32 v2, v88, v88
	v_fmaak_f32 v94, s18, v2, 0x3ca908c9
	v_fmaak_f32 v94, v2, v94, 0xbd5c1c4e
	;; [unrolled: 1-line block ×4, first 2 shown]
	v_mul_f32_e64 v94, |v88|, v94
	v_fma_f32 v2, v2, v94, |v88|
.LBB75_21:                              ;   in Loop: Header=BB75_9 Depth=1
	s_or_b32 exec_lo, exec_lo, s19
	v_cmp_ngt_f32_e64 s19, 0x3f200000, |v90|
                                        ; implicit-def: $vgpr100
	s_and_saveexec_b32 s24, s19
	s_xor_b32 s19, exec_lo, s24
	s_cbranch_execz .LBB75_23
; %bb.22:                               ;   in Loop: Header=BB75_9 Depth=1
	v_add_f32_e64 v94, |v90|, |v90|
	v_mul_f32_e32 v100, 0x3fb8aa3b, v94
	v_cmp_ngt_f32_e32 vcc_lo, 0xc2ce8ed0, v94
	v_rndne_f32_e32 v101, v100
	v_fma_f32 v102, 0x3fb8aa3b, v94, -v100
	v_sub_f32_e32 v100, v100, v101
	v_fmac_f32_e32 v102, 0x32a5705f, v94
	v_cvt_i32_f32_e32 v101, v101
	v_add_f32_e32 v100, v100, v102
	v_exp_f32_e32 v100, v100
	v_ldexp_f32 v100, v100, v101
	v_cndmask_b32_e32 v100, 0, v100, vcc_lo
	v_cmp_nlt_f32_e32 vcc_lo, 0x42b17218, v94
	v_cndmask_b32_e32 v94, 0x7f800000, v100, vcc_lo
	v_add_f32_e32 v94, 1.0, v94
	v_rcp_f32_e32 v94, v94
	v_fma_f32 v100, v94, -2.0, 1.0
.LBB75_23:                              ;   in Loop: Header=BB75_9 Depth=1
	s_andn2_saveexec_b32 s19, s19
	s_cbranch_execz .LBB75_25
; %bb.24:                               ;   in Loop: Header=BB75_9 Depth=1
	v_mul_f32_e32 v94, v90, v90
	v_fmaak_f32 v100, s18, v94, 0x3ca908c9
	v_fmaak_f32 v100, v94, v100, 0xbd5c1c4e
	;; [unrolled: 1-line block ×4, first 2 shown]
	v_mul_f32_e64 v100, |v90|, v100
	v_fma_f32 v100, v94, v100, |v90|
.LBB75_25:                              ;   in Loop: Header=BB75_9 Depth=1
	s_or_b32 exec_lo, exec_lo, s19
	v_cvt_f32_f16_e32 v94, v93
	v_cvt_f32_f16_e32 v93, v1
	v_bfi_b32 v1, 0x7fffffff, v2, v88
	v_bfi_b32 v2, 0x7fffffff, v100, v90
	v_cmp_ngt_f32_e64 s19, 0x3f200000, |v86|
	v_fma_f32 v88, s10, v1, v94
	v_fma_f32 v90, s10, v2, v93
	v_add_f32_e32 v1, 0x40051340, v88
	v_add_f32_e32 v2, 0x40051340, v90
	v_max3_f32 v1, v74, v1, v2
	ds_bpermute_b32 v2, v3, v1
	s_waitcnt lgkmcnt(0)
	v_max_f32_e32 v2, v2, v2
	v_max_f32_e32 v1, v1, v2
	ds_bpermute_b32 v2, v98, v1
	s_waitcnt lgkmcnt(0)
	v_max_f32_e32 v2, v2, v2
	v_max_f32_e32 v1, v1, v2
	;; [unrolled: 4-line block ×4, first 2 shown]
                                        ; implicit-def: $vgpr1
	ds_bpermute_b32 v106, v91, v105
	s_and_saveexec_b32 s24, s19
	s_xor_b32 s19, exec_lo, s24
	s_cbranch_execz .LBB75_27
; %bb.26:                               ;   in Loop: Header=BB75_9 Depth=1
	v_add_f32_e64 v1, |v86|, |v86|
	v_mul_f32_e32 v2, 0x3fb8aa3b, v1
	v_cmp_ngt_f32_e32 vcc_lo, 0xc2ce8ed0, v1
	v_rndne_f32_e32 v100, v2
	v_fma_f32 v101, 0x3fb8aa3b, v1, -v2
	v_sub_f32_e32 v2, v2, v100
	v_fmac_f32_e32 v101, 0x32a5705f, v1
	v_cvt_i32_f32_e32 v100, v100
	v_add_f32_e32 v2, v2, v101
	v_exp_f32_e32 v2, v2
	v_ldexp_f32 v2, v2, v100
	v_cndmask_b32_e32 v2, 0, v2, vcc_lo
	v_cmp_nlt_f32_e32 vcc_lo, 0x42b17218, v1
	v_cndmask_b32_e32 v1, 0x7f800000, v2, vcc_lo
	v_add_f32_e32 v1, 1.0, v1
	v_rcp_f32_e32 v1, v1
	v_fma_f32 v1, v1, -2.0, 1.0
.LBB75_27:                              ;   in Loop: Header=BB75_9 Depth=1
	s_andn2_saveexec_b32 s19, s19
	s_cbranch_execz .LBB75_29
; %bb.28:                               ;   in Loop: Header=BB75_9 Depth=1
	v_mul_f32_e32 v1, v86, v86
	v_fmaak_f32 v2, s18, v1, 0x3ca908c9
	v_fmaak_f32 v2, v1, v2, 0xbd5c1c4e
	v_fmaak_f32 v2, v1, v2, 0x3e088382
	v_fmaak_f32 v2, v1, v2, 0xbeaaaa99
	v_mul_f32_e64 v2, |v86|, v2
	v_fma_f32 v1, v1, v2, |v86|
.LBB75_29:                              ;   in Loop: Header=BB75_9 Depth=1
	s_or_b32 exec_lo, exec_lo, s19
	v_cmp_ngt_f32_e64 s19, 0x3f200000, |v89|
                                        ; implicit-def: $vgpr2
	s_and_saveexec_b32 s24, s19
	s_xor_b32 s19, exec_lo, s24
	s_cbranch_execz .LBB75_31
; %bb.30:                               ;   in Loop: Header=BB75_9 Depth=1
	v_add_f32_e64 v2, |v89|, |v89|
	v_mul_f32_e32 v100, 0x3fb8aa3b, v2
	v_cmp_ngt_f32_e32 vcc_lo, 0xc2ce8ed0, v2
	v_rndne_f32_e32 v101, v100
	v_fma_f32 v102, 0x3fb8aa3b, v2, -v100
	v_sub_f32_e32 v100, v100, v101
	v_fmac_f32_e32 v102, 0x32a5705f, v2
	v_cvt_i32_f32_e32 v101, v101
	v_add_f32_e32 v100, v100, v102
	v_exp_f32_e32 v100, v100
	v_ldexp_f32 v100, v100, v101
	v_cndmask_b32_e32 v100, 0, v100, vcc_lo
	v_cmp_nlt_f32_e32 vcc_lo, 0x42b17218, v2
	v_cndmask_b32_e32 v2, 0x7f800000, v100, vcc_lo
	v_add_f32_e32 v2, 1.0, v2
	v_rcp_f32_e32 v2, v2
	v_fma_f32 v2, v2, -2.0, 1.0
.LBB75_31:                              ;   in Loop: Header=BB75_9 Depth=1
	s_andn2_saveexec_b32 s19, s19
	s_cbranch_execz .LBB75_33
; %bb.32:                               ;   in Loop: Header=BB75_9 Depth=1
	v_mul_f32_e32 v2, v89, v89
	v_fmaak_f32 v100, s18, v2, 0x3ca908c9
	v_fmaak_f32 v100, v2, v100, 0xbd5c1c4e
	;; [unrolled: 1-line block ×4, first 2 shown]
	v_mul_f32_e64 v100, |v89|, v100
	v_fma_f32 v2, v2, v100, |v89|
.LBB75_33:                              ;   in Loop: Header=BB75_9 Depth=1
	s_or_b32 exec_lo, exec_lo, s19
	v_bfi_b32 v1, 0x7fffffff, v1, v86
	v_bfi_b32 v2, 0x7fffffff, v2, v89
	v_cmp_ngt_f32_e64 s19, 0x3f200000, |v85|
	v_fma_f32 v86, s10, v1, v94
	v_fma_f32 v89, s10, v2, v93
	v_add_f32_e32 v1, 0x40051340, v86
	v_add_f32_e32 v2, 0x40051340, v89
	v_max3_f32 v1, v71, v1, v2
	ds_bpermute_b32 v2, v3, v1
	s_waitcnt lgkmcnt(0)
	v_max_f32_e32 v2, v2, v2
	v_max_f32_e32 v1, v1, v2
	ds_bpermute_b32 v2, v98, v1
	s_waitcnt lgkmcnt(0)
	v_max_f32_e32 v2, v2, v2
	v_max_f32_e32 v1, v1, v2
	;; [unrolled: 4-line block ×4, first 2 shown]
                                        ; implicit-def: $vgpr1
	ds_bpermute_b32 v108, v91, v107
	s_and_saveexec_b32 s24, s19
	s_xor_b32 s19, exec_lo, s24
	s_cbranch_execz .LBB75_35
; %bb.34:                               ;   in Loop: Header=BB75_9 Depth=1
	v_add_f32_e64 v1, |v85|, |v85|
	v_mul_f32_e32 v2, 0x3fb8aa3b, v1
	v_cmp_ngt_f32_e32 vcc_lo, 0xc2ce8ed0, v1
	v_rndne_f32_e32 v100, v2
	v_fma_f32 v101, 0x3fb8aa3b, v1, -v2
	v_sub_f32_e32 v2, v2, v100
	v_fmac_f32_e32 v101, 0x32a5705f, v1
	v_cvt_i32_f32_e32 v100, v100
	v_add_f32_e32 v2, v2, v101
	v_exp_f32_e32 v2, v2
	v_ldexp_f32 v2, v2, v100
	v_cndmask_b32_e32 v2, 0, v2, vcc_lo
	v_cmp_nlt_f32_e32 vcc_lo, 0x42b17218, v1
	v_cndmask_b32_e32 v1, 0x7f800000, v2, vcc_lo
	v_add_f32_e32 v1, 1.0, v1
	v_rcp_f32_e32 v1, v1
	v_fma_f32 v1, v1, -2.0, 1.0
.LBB75_35:                              ;   in Loop: Header=BB75_9 Depth=1
	s_andn2_saveexec_b32 s19, s19
	s_cbranch_execz .LBB75_37
; %bb.36:                               ;   in Loop: Header=BB75_9 Depth=1
	v_mul_f32_e32 v1, v85, v85
	v_fmaak_f32 v2, s18, v1, 0x3ca908c9
	v_fmaak_f32 v2, v1, v2, 0xbd5c1c4e
	;; [unrolled: 1-line block ×4, first 2 shown]
	v_mul_f32_e64 v2, |v85|, v2
	v_fma_f32 v1, v1, v2, |v85|
.LBB75_37:                              ;   in Loop: Header=BB75_9 Depth=1
	s_or_b32 exec_lo, exec_lo, s19
	v_cmp_ngt_f32_e64 s19, 0x3f200000, |v87|
                                        ; implicit-def: $vgpr2
	s_and_saveexec_b32 s24, s19
	s_xor_b32 s19, exec_lo, s24
	s_cbranch_execz .LBB75_39
; %bb.38:                               ;   in Loop: Header=BB75_9 Depth=1
	v_add_f32_e64 v2, |v87|, |v87|
	v_mul_f32_e32 v100, 0x3fb8aa3b, v2
	v_cmp_ngt_f32_e32 vcc_lo, 0xc2ce8ed0, v2
	v_rndne_f32_e32 v101, v100
	v_fma_f32 v102, 0x3fb8aa3b, v2, -v100
	v_sub_f32_e32 v100, v100, v101
	v_fmac_f32_e32 v102, 0x32a5705f, v2
	v_cvt_i32_f32_e32 v101, v101
	v_add_f32_e32 v100, v100, v102
	v_exp_f32_e32 v100, v100
	v_ldexp_f32 v100, v100, v101
	v_cndmask_b32_e32 v100, 0, v100, vcc_lo
	v_cmp_nlt_f32_e32 vcc_lo, 0x42b17218, v2
	v_cndmask_b32_e32 v2, 0x7f800000, v100, vcc_lo
	v_add_f32_e32 v2, 1.0, v2
	v_rcp_f32_e32 v2, v2
	v_fma_f32 v2, v2, -2.0, 1.0
.LBB75_39:                              ;   in Loop: Header=BB75_9 Depth=1
	s_andn2_saveexec_b32 s19, s19
	s_cbranch_execz .LBB75_41
; %bb.40:                               ;   in Loop: Header=BB75_9 Depth=1
	v_mul_f32_e32 v2, v87, v87
	v_fmaak_f32 v100, s18, v2, 0x3ca908c9
	v_fmaak_f32 v100, v2, v100, 0xbd5c1c4e
	;; [unrolled: 1-line block ×4, first 2 shown]
	v_mul_f32_e64 v100, |v87|, v100
	v_fma_f32 v2, v2, v100, |v87|
.LBB75_41:                              ;   in Loop: Header=BB75_9 Depth=1
	s_or_b32 exec_lo, exec_lo, s19
	v_bfi_b32 v1, 0x7fffffff, v1, v85
	v_bfi_b32 v2, 0x7fffffff, v2, v87
	v_cmp_ngt_f32_e64 s19, 0x3f200000, |v82|
                                        ; implicit-def: $vgpr85
	v_fmac_f32_e32 v94, s10, v1
	v_fmac_f32_e32 v93, s10, v2
	v_add_f32_e32 v1, 0x40051340, v94
	v_add_f32_e32 v2, 0x40051340, v93
	v_max3_f32 v1, v69, v1, v2
	ds_bpermute_b32 v2, v3, v1
	s_waitcnt lgkmcnt(0)
	v_max_f32_e32 v2, v2, v2
	v_max_f32_e32 v1, v1, v2
	ds_bpermute_b32 v2, v98, v1
	s_waitcnt lgkmcnt(0)
	v_max_f32_e32 v2, v2, v2
	v_max_f32_e32 v1, v1, v2
	;; [unrolled: 4-line block ×4, first 2 shown]
	ds_bpermute_b32 v110, v91, v109
	s_and_saveexec_b32 s24, s19
	s_xor_b32 s19, exec_lo, s24
	s_cbranch_execz .LBB75_43
; %bb.42:                               ;   in Loop: Header=BB75_9 Depth=1
	v_add_f32_e64 v1, |v82|, |v82|
	v_mul_f32_e32 v2, 0x3fb8aa3b, v1
	v_cmp_ngt_f32_e32 vcc_lo, 0xc2ce8ed0, v1
	v_rndne_f32_e32 v85, v2
	v_fma_f32 v87, 0x3fb8aa3b, v1, -v2
	v_sub_f32_e32 v2, v2, v85
	v_fmac_f32_e32 v87, 0x32a5705f, v1
	v_cvt_i32_f32_e32 v85, v85
	v_add_f32_e32 v2, v2, v87
	v_exp_f32_e32 v2, v2
	v_ldexp_f32 v2, v2, v85
	v_cndmask_b32_e32 v2, 0, v2, vcc_lo
	v_cmp_nlt_f32_e32 vcc_lo, 0x42b17218, v1
	v_cndmask_b32_e32 v1, 0x7f800000, v2, vcc_lo
	v_add_f32_e32 v1, 1.0, v1
	v_rcp_f32_e32 v1, v1
	v_fma_f32 v85, v1, -2.0, 1.0
.LBB75_43:                              ;   in Loop: Header=BB75_9 Depth=1
	s_andn2_saveexec_b32 s19, s19
	s_cbranch_execz .LBB75_45
; %bb.44:                               ;   in Loop: Header=BB75_9 Depth=1
	v_mul_f32_e32 v1, v82, v82
	v_fmaak_f32 v2, s18, v1, 0x3ca908c9
	v_fmaak_f32 v2, v1, v2, 0xbd5c1c4e
	;; [unrolled: 1-line block ×4, first 2 shown]
	v_mul_f32_e64 v2, |v82|, v2
	v_fma_f32 v85, v1, v2, |v82|
.LBB75_45:                              ;   in Loop: Header=BB75_9 Depth=1
	s_or_b32 exec_lo, exec_lo, s19
	v_add_nc_u32_e32 v1, v99, v24
	v_cmp_ngt_f32_e64 s19, 0x3f200000, |v84|
                                        ; implicit-def: $vgpr99
	v_ashrrev_i32_e32 v2, 31, v1
	v_lshlrev_b64 v[1:2], 1, v[1:2]
	v_add_co_u32 v1, vcc_lo, s36, v1
	v_add_co_ci_u32_e64 v2, null, s37, v2, vcc_lo
	global_load_ushort v87, v[1:2], off
	s_and_saveexec_b32 s24, s19
	s_xor_b32 s19, exec_lo, s24
	s_cbranch_execz .LBB75_47
; %bb.46:                               ;   in Loop: Header=BB75_9 Depth=1
	v_add_f32_e64 v99, |v84|, |v84|
	v_mul_f32_e32 v100, 0x3fb8aa3b, v99
	v_cmp_ngt_f32_e32 vcc_lo, 0xc2ce8ed0, v99
	v_rndne_f32_e32 v101, v100
	v_fma_f32 v102, 0x3fb8aa3b, v99, -v100
	v_sub_f32_e32 v100, v100, v101
	v_fmac_f32_e32 v102, 0x32a5705f, v99
	v_cvt_i32_f32_e32 v101, v101
	v_add_f32_e32 v100, v100, v102
	v_exp_f32_e32 v100, v100
	v_ldexp_f32 v100, v100, v101
	v_cndmask_b32_e32 v100, 0, v100, vcc_lo
	v_cmp_nlt_f32_e32 vcc_lo, 0x42b17218, v99
	v_cndmask_b32_e32 v99, 0x7f800000, v100, vcc_lo
	v_add_f32_e32 v99, 1.0, v99
	v_rcp_f32_e32 v99, v99
	v_fma_f32 v99, v99, -2.0, 1.0
.LBB75_47:                              ;   in Loop: Header=BB75_9 Depth=1
	s_andn2_saveexec_b32 s19, s19
	s_cbranch_execz .LBB75_49
; %bb.48:                               ;   in Loop: Header=BB75_9 Depth=1
	v_mul_f32_e32 v99, v84, v84
	v_fmaak_f32 v100, s18, v99, 0x3ca908c9
	v_fmaak_f32 v100, v99, v100, 0xbd5c1c4e
	;; [unrolled: 1-line block ×4, first 2 shown]
	v_mul_f32_e64 v100, |v84|, v100
	v_fma_f32 v99, v99, v100, |v84|
.LBB75_49:                              ;   in Loop: Header=BB75_9 Depth=1
	s_or_b32 exec_lo, exec_lo, s19
	global_load_ushort v100, v[1:2], off offset:64
	v_bfi_b32 v1, 0x7fffffff, v85, v82
	v_bfi_b32 v2, 0x7fffffff, v99, v84
	v_cmp_ngt_f32_e64 s19, 0x3f200000, |v81|
                                        ; implicit-def: $vgpr82
	s_waitcnt vmcnt(1)
	v_fma_mix_f32 v85, s10, v1, v87 op_sel_hi:[0,0,1]
	v_add_f32_e32 v1, 0x40051340, v85
	s_waitcnt vmcnt(0)
	v_fma_mix_f32 v84, s10, v2, v100 op_sel_hi:[0,0,1]
	v_add_f32_e32 v2, 0x40051340, v84
	v_max3_f32 v1, v68, v1, v2
	ds_bpermute_b32 v2, v3, v1
	s_waitcnt lgkmcnt(0)
	v_max_f32_e32 v2, v2, v2
	v_max_f32_e32 v1, v1, v2
	ds_bpermute_b32 v2, v98, v1
	s_waitcnt lgkmcnt(0)
	v_max_f32_e32 v2, v2, v2
	v_max_f32_e32 v1, v1, v2
	;; [unrolled: 4-line block ×4, first 2 shown]
	ds_bpermute_b32 v2, v91, v1
	s_and_saveexec_b32 s24, s19
	s_xor_b32 s19, exec_lo, s24
	s_cbranch_execz .LBB75_51
; %bb.50:                               ;   in Loop: Header=BB75_9 Depth=1
	v_add_f32_e64 v82, |v81|, |v81|
	v_mul_f32_e32 v99, 0x3fb8aa3b, v82
	v_cmp_ngt_f32_e32 vcc_lo, 0xc2ce8ed0, v82
	v_rndne_f32_e32 v101, v99
	v_fma_f32 v102, 0x3fb8aa3b, v82, -v99
	v_sub_f32_e32 v99, v99, v101
	v_fmac_f32_e32 v102, 0x32a5705f, v82
	v_cvt_i32_f32_e32 v101, v101
	v_add_f32_e32 v99, v99, v102
	v_exp_f32_e32 v99, v99
	v_ldexp_f32 v99, v99, v101
	v_cndmask_b32_e32 v99, 0, v99, vcc_lo
	v_cmp_nlt_f32_e32 vcc_lo, 0x42b17218, v82
	v_cndmask_b32_e32 v82, 0x7f800000, v99, vcc_lo
	v_add_f32_e32 v82, 1.0, v82
	v_rcp_f32_e32 v82, v82
	v_fma_f32 v82, v82, -2.0, 1.0
.LBB75_51:                              ;   in Loop: Header=BB75_9 Depth=1
	s_andn2_saveexec_b32 s19, s19
	s_cbranch_execz .LBB75_53
; %bb.52:                               ;   in Loop: Header=BB75_9 Depth=1
	v_mul_f32_e32 v82, v81, v81
	v_fmaak_f32 v99, s18, v82, 0x3ca908c9
	v_fmaak_f32 v99, v82, v99, 0xbd5c1c4e
	;; [unrolled: 1-line block ×4, first 2 shown]
	v_mul_f32_e64 v99, |v81|, v99
	v_fma_f32 v82, v82, v99, |v81|
.LBB75_53:                              ;   in Loop: Header=BB75_9 Depth=1
	s_or_b32 exec_lo, exec_lo, s19
	v_cmp_ngt_f32_e64 s19, 0x3f200000, |v83|
                                        ; implicit-def: $vgpr101
	s_and_saveexec_b32 s24, s19
	s_xor_b32 s19, exec_lo, s24
	s_cbranch_execz .LBB75_55
; %bb.54:                               ;   in Loop: Header=BB75_9 Depth=1
	v_add_f32_e64 v99, |v83|, |v83|
	v_mul_f32_e32 v101, 0x3fb8aa3b, v99
	v_cmp_ngt_f32_e32 vcc_lo, 0xc2ce8ed0, v99
	v_rndne_f32_e32 v102, v101
	v_fma_f32 v103, 0x3fb8aa3b, v99, -v101
	v_sub_f32_e32 v101, v101, v102
	v_fmac_f32_e32 v103, 0x32a5705f, v99
	v_cvt_i32_f32_e32 v102, v102
	v_add_f32_e32 v101, v101, v103
	v_exp_f32_e32 v101, v101
	v_ldexp_f32 v101, v101, v102
	v_cndmask_b32_e32 v101, 0, v101, vcc_lo
	v_cmp_nlt_f32_e32 vcc_lo, 0x42b17218, v99
	v_cndmask_b32_e32 v99, 0x7f800000, v101, vcc_lo
	v_add_f32_e32 v99, 1.0, v99
	v_rcp_f32_e32 v99, v99
	v_fma_f32 v101, v99, -2.0, 1.0
.LBB75_55:                              ;   in Loop: Header=BB75_9 Depth=1
	s_andn2_saveexec_b32 s19, s19
	s_cbranch_execz .LBB75_57
; %bb.56:                               ;   in Loop: Header=BB75_9 Depth=1
	v_mul_f32_e32 v99, v83, v83
	v_fmaak_f32 v101, s18, v99, 0x3ca908c9
	v_fmaak_f32 v101, v99, v101, 0xbd5c1c4e
	v_fmaak_f32 v101, v99, v101, 0x3e088382
	v_fmaak_f32 v101, v99, v101, 0xbeaaaa99
	v_mul_f32_e64 v101, |v83|, v101
	v_fma_f32 v101, v99, v101, |v83|
.LBB75_57:                              ;   in Loop: Header=BB75_9 Depth=1
	s_or_b32 exec_lo, exec_lo, s19
	v_cvt_f32_f16_e32 v99, v87
	v_cvt_f32_f16_e32 v87, v100
	v_bfi_b32 v81, 0x7fffffff, v82, v81
	v_bfi_b32 v82, 0x7fffffff, v101, v83
	v_cmp_ngt_f32_e64 s19, 0x3f200000, |v7|
                                        ; implicit-def: $vgpr83
	v_fma_f32 v101, s10, v81, v99
	v_fma_f32 v100, s10, v82, v87
	v_add_f32_e32 v81, 0x40051340, v101
	v_add_f32_e32 v82, 0x40051340, v100
	v_max3_f32 v81, v65, v81, v82
	ds_bpermute_b32 v82, v3, v81
	s_waitcnt lgkmcnt(0)
	v_max_f32_e32 v82, v82, v82
	v_max_f32_e32 v81, v81, v82
	ds_bpermute_b32 v82, v98, v81
	s_waitcnt lgkmcnt(0)
	v_max_f32_e32 v82, v82, v82
	v_max_f32_e32 v81, v81, v82
	;; [unrolled: 4-line block ×4, first 2 shown]
	ds_bpermute_b32 v82, v91, v81
	s_and_saveexec_b32 s24, s19
	s_xor_b32 s19, exec_lo, s24
	s_cbranch_execz .LBB75_59
; %bb.58:                               ;   in Loop: Header=BB75_9 Depth=1
	v_add_f32_e64 v83, |v7|, |v7|
	v_mul_f32_e32 v102, 0x3fb8aa3b, v83
	v_cmp_ngt_f32_e32 vcc_lo, 0xc2ce8ed0, v83
	v_rndne_f32_e32 v103, v102
	v_fma_f32 v111, 0x3fb8aa3b, v83, -v102
	v_sub_f32_e32 v102, v102, v103
	v_fmac_f32_e32 v111, 0x32a5705f, v83
	v_cvt_i32_f32_e32 v103, v103
	v_add_f32_e32 v102, v102, v111
	v_exp_f32_e32 v102, v102
	v_ldexp_f32 v102, v102, v103
	v_cndmask_b32_e32 v102, 0, v102, vcc_lo
	v_cmp_nlt_f32_e32 vcc_lo, 0x42b17218, v83
	v_cndmask_b32_e32 v83, 0x7f800000, v102, vcc_lo
	v_add_f32_e32 v83, 1.0, v83
	v_rcp_f32_e32 v83, v83
	v_fma_f32 v83, v83, -2.0, 1.0
.LBB75_59:                              ;   in Loop: Header=BB75_9 Depth=1
	s_andn2_saveexec_b32 s19, s19
	s_cbranch_execz .LBB75_61
; %bb.60:                               ;   in Loop: Header=BB75_9 Depth=1
	v_mul_f32_e32 v83, v7, v7
	v_fmaak_f32 v102, s18, v83, 0x3ca908c9
	v_fmaak_f32 v102, v83, v102, 0xbd5c1c4e
	;; [unrolled: 1-line block ×4, first 2 shown]
	v_mul_f32_e64 v102, |v7|, v102
	v_fma_f32 v83, v83, v102, |v7|
.LBB75_61:                              ;   in Loop: Header=BB75_9 Depth=1
	s_or_b32 exec_lo, exec_lo, s19
	v_cmp_ngt_f32_e64 s19, 0x3f200000, |v79|
                                        ; implicit-def: $vgpr102
	s_and_saveexec_b32 s24, s19
	s_xor_b32 s19, exec_lo, s24
	s_cbranch_execz .LBB75_63
; %bb.62:                               ;   in Loop: Header=BB75_9 Depth=1
	v_add_f32_e64 v102, |v79|, |v79|
	v_mul_f32_e32 v103, 0x3fb8aa3b, v102
	v_cmp_ngt_f32_e32 vcc_lo, 0xc2ce8ed0, v102
	v_rndne_f32_e32 v111, v103
	v_fma_f32 v112, 0x3fb8aa3b, v102, -v103
	v_sub_f32_e32 v103, v103, v111
	v_fmac_f32_e32 v112, 0x32a5705f, v102
	v_cvt_i32_f32_e32 v111, v111
	v_add_f32_e32 v103, v103, v112
	v_exp_f32_e32 v103, v103
	v_ldexp_f32 v103, v103, v111
	v_cndmask_b32_e32 v103, 0, v103, vcc_lo
	v_cmp_nlt_f32_e32 vcc_lo, 0x42b17218, v102
	v_cndmask_b32_e32 v102, 0x7f800000, v103, vcc_lo
	v_add_f32_e32 v102, 1.0, v102
	v_rcp_f32_e32 v102, v102
	v_fma_f32 v102, v102, -2.0, 1.0
.LBB75_63:                              ;   in Loop: Header=BB75_9 Depth=1
	s_andn2_saveexec_b32 s19, s19
	s_cbranch_execz .LBB75_65
; %bb.64:                               ;   in Loop: Header=BB75_9 Depth=1
	v_mul_f32_e32 v102, v79, v79
	v_fmaak_f32 v103, s18, v102, 0x3ca908c9
	v_fmaak_f32 v103, v102, v103, 0xbd5c1c4e
	;; [unrolled: 1-line block ×4, first 2 shown]
	v_mul_f32_e64 v103, |v79|, v103
	v_fma_f32 v102, v102, v103, |v79|
.LBB75_65:                              ;   in Loop: Header=BB75_9 Depth=1
	s_or_b32 exec_lo, exec_lo, s19
	v_bfi_b32 v7, 0x7fffffff, v83, v7
	v_bfi_b32 v79, 0x7fffffff, v102, v79
	v_cmp_ngt_f32_e64 s19, 0x3f200000, |v5|
                                        ; implicit-def: $vgpr83
	v_fma_f32 v103, s10, v7, v99
	v_fma_f32 v102, s10, v79, v87
	v_add_f32_e32 v7, 0x40051340, v103
	v_add_f32_e32 v79, 0x40051340, v102
	v_max3_f32 v7, v64, v7, v79
	ds_bpermute_b32 v79, v3, v7
	s_waitcnt lgkmcnt(0)
	v_max_f32_e32 v79, v79, v79
	v_max_f32_e32 v7, v7, v79
	ds_bpermute_b32 v79, v98, v7
	s_waitcnt lgkmcnt(0)
	v_max_f32_e32 v79, v79, v79
	v_max_f32_e32 v7, v7, v79
	;; [unrolled: 4-line block ×4, first 2 shown]
	ds_bpermute_b32 v79, v91, v7
	s_and_saveexec_b32 s24, s19
	s_xor_b32 s19, exec_lo, s24
	s_cbranch_execz .LBB75_67
; %bb.66:                               ;   in Loop: Header=BB75_9 Depth=1
	v_add_f32_e64 v83, |v5|, |v5|
	v_mul_f32_e32 v111, 0x3fb8aa3b, v83
	v_cmp_ngt_f32_e32 vcc_lo, 0xc2ce8ed0, v83
	v_rndne_f32_e32 v112, v111
	v_fma_f32 v113, 0x3fb8aa3b, v83, -v111
	v_sub_f32_e32 v111, v111, v112
	v_fmac_f32_e32 v113, 0x32a5705f, v83
	v_cvt_i32_f32_e32 v112, v112
	v_add_f32_e32 v111, v111, v113
	v_exp_f32_e32 v111, v111
	v_ldexp_f32 v111, v111, v112
	v_cndmask_b32_e32 v111, 0, v111, vcc_lo
	v_cmp_nlt_f32_e32 vcc_lo, 0x42b17218, v83
	v_cndmask_b32_e32 v83, 0x7f800000, v111, vcc_lo
	v_add_f32_e32 v83, 1.0, v83
	v_rcp_f32_e32 v83, v83
	v_fma_f32 v83, v83, -2.0, 1.0
.LBB75_67:                              ;   in Loop: Header=BB75_9 Depth=1
	s_andn2_saveexec_b32 s19, s19
	s_cbranch_execz .LBB75_69
; %bb.68:                               ;   in Loop: Header=BB75_9 Depth=1
	v_mul_f32_e32 v83, v5, v5
	v_fmaak_f32 v111, s18, v83, 0x3ca908c9
	v_fmaak_f32 v111, v83, v111, 0xbd5c1c4e
	;; [unrolled: 1-line block ×4, first 2 shown]
	v_mul_f32_e64 v111, |v5|, v111
	v_fma_f32 v83, v83, v111, |v5|
.LBB75_69:                              ;   in Loop: Header=BB75_9 Depth=1
	s_or_b32 exec_lo, exec_lo, s19
	v_cmp_ngt_f32_e64 s19, 0x3f200000, |v6|
                                        ; implicit-def: $vgpr111
	s_and_saveexec_b32 s24, s19
	s_xor_b32 s19, exec_lo, s24
	s_cbranch_execz .LBB75_71
; %bb.70:                               ;   in Loop: Header=BB75_9 Depth=1
	v_add_f32_e64 v111, |v6|, |v6|
	v_mul_f32_e32 v112, 0x3fb8aa3b, v111
	v_cmp_ngt_f32_e32 vcc_lo, 0xc2ce8ed0, v111
	v_rndne_f32_e32 v113, v112
	v_fma_f32 v114, 0x3fb8aa3b, v111, -v112
	v_sub_f32_e32 v112, v112, v113
	v_fmac_f32_e32 v114, 0x32a5705f, v111
	v_cvt_i32_f32_e32 v113, v113
	v_add_f32_e32 v112, v112, v114
	v_exp_f32_e32 v112, v112
	v_ldexp_f32 v112, v112, v113
	v_cndmask_b32_e32 v112, 0, v112, vcc_lo
	v_cmp_nlt_f32_e32 vcc_lo, 0x42b17218, v111
	v_cndmask_b32_e32 v111, 0x7f800000, v112, vcc_lo
	v_add_f32_e32 v111, 1.0, v111
	v_rcp_f32_e32 v111, v111
	v_fma_f32 v111, v111, -2.0, 1.0
.LBB75_71:                              ;   in Loop: Header=BB75_9 Depth=1
	s_andn2_saveexec_b32 s19, s19
	s_cbranch_execz .LBB75_73
; %bb.72:                               ;   in Loop: Header=BB75_9 Depth=1
	v_mul_f32_e32 v111, v6, v6
	v_fmaak_f32 v112, s18, v111, 0x3ca908c9
	v_fmaak_f32 v112, v111, v112, 0xbd5c1c4e
	;; [unrolled: 1-line block ×4, first 2 shown]
	v_mul_f32_e64 v112, |v6|, v112
	v_fma_f32 v111, v111, v112, |v6|
.LBB75_73:                              ;   in Loop: Header=BB75_9 Depth=1
	s_or_b32 exec_lo, exec_lo, s19
	v_bfi_b32 v5, 0x7fffffff, v83, v5
	v_bfi_b32 v6, 0x7fffffff, v111, v6
	v_max_f32_e32 v83, v110, v110
	v_max_f32_e32 v82, v82, v82
	;; [unrolled: 1-line block ×3, first 2 shown]
	v_fmac_f32_e32 v99, s10, v5
	v_fmac_f32_e32 v87, s10, v6
	s_waitcnt lgkmcnt(0)
	v_max_f32_e32 v5, v79, v79
	v_max_f32_e32 v6, v7, v7
	s_mul_hi_i32 s25, s6, s8
	v_add_f32_e32 v7, 0x40051340, v99
	v_add_f32_e32 v79, 0x40051340, v87
	s_mul_i32 s24, s6, s8
	v_max_f32_e32 v2, v2, v2
	v_max_f32_e32 v1, v1, v1
	;; [unrolled: 1-line block ×3, first 2 shown]
	v_max3_f32 v79, v63, v7, v79
	v_max_f32_e32 v7, v6, v5
	v_max_f32_e32 v6, v81, v82
	;; [unrolled: 1-line block ×3, first 2 shown]
	s_lshl_b64 s[24:25], s[24:25], 2
	ds_bpermute_b32 v110, v3, v79
	v_max_f32_e32 v109, v109, v109
	v_max_f32_e32 v106, v106, v106
	;; [unrolled: 1-line block ×3, first 2 shown]
	s_add_u32 s19, s12, s24
	v_max_f32_e32 v5, v1, v2
	v_max_f32_e32 v1, v111, v104
	s_addc_u32 s24, s13, s25
	v_add_co_u32 v82, vcc_lo, s19, v13
	v_max_f32_e32 v4, v109, v83
	v_max_f32_e32 v2, v105, v106
	v_add_co_ci_u32_e64 v83, null, s24, v14, vcc_lo
	v_sub_f32_e32 v112, v73, v1
	v_max_f32_e32 v108, v108, v108
	v_sub_f32_e32 v113, v74, v2
	v_max_f32_e32 v107, v107, v107
	s_waitcnt lgkmcnt(0)
	s_barrier
	v_max_f32_e32 v81, v110, v110
	buffer_gl0_inv
	v_max_f32_e32 v3, v107, v108
	v_sub_f32_e32 v96, v96, v1
	v_sub_f32_e32 v97, v97, v1
	v_max_f32_e32 v79, v79, v81
	v_add_co_u32 v81, vcc_lo, s19, v15
	v_add_co_ci_u32_e64 v104, null, s24, v16, vcc_lo
	ds_bpermute_b32 v98, v98, v79
	v_add_co_u32 v73, vcc_lo, v82, v42
	v_add_co_ci_u32_e64 v74, null, 0, v83, vcc_lo
	v_add_co_u32 v81, vcc_lo, v81, v42
	v_add_co_ci_u32_e64 v82, null, 0, v104, vcc_lo
	s_clause 0x1
	global_load_dwordx4 v[104:107], v[73:74], off
	global_load_dwordx4 v[108:111], v[81:82], off
	v_mul_f32_e32 v83, 0x3fb8aa3b, v96
	v_mul_f32_e32 v114, 0x3fb8aa3b, v97
	v_sub_f32_e32 v88, v88, v2
	v_mul_f32_e32 v115, 0x3fb8aa3b, v112
	v_sub_f32_e32 v90, v90, v2
	v_fma_f32 v74, 0x3fb8aa3b, v96, -v83
	v_fma_f32 v81, 0x3fb8aa3b, v97, -v114
	v_rndne_f32_e32 v82, v114
	s_waitcnt lgkmcnt(0)
	v_max_f32_e32 v98, v98, v98
	v_mul_f32_e32 v116, 0x3fb8aa3b, v88
	v_fmac_f32_e32 v74, 0x32a5705f, v96
	v_rndne_f32_e32 v121, v115
	v_fmac_f32_e32 v81, 0x32a5705f, v97
	v_max_f32_e32 v73, v79, v98
	v_rndne_f32_e32 v79, v83
	v_fma_f32 v98, 0x3fb8aa3b, v112, -v115
	v_sub_f32_e32 v114, v114, v82
	v_mul_f32_e32 v117, 0x3fb8aa3b, v90
	ds_bpermute_b32 v95, v95, v73
	v_sub_f32_e32 v83, v83, v79
	v_fma_f32 v122, 0x3fb8aa3b, v88, -v116
	v_rndne_f32_e32 v123, v116
	v_fmac_f32_e32 v98, 0x32a5705f, v112
	v_sub_f32_e32 v115, v115, v121
	v_add_f32_e32 v74, v83, v74
	v_add_f32_e32 v81, v114, v81
	v_mul_f32_e32 v118, 0x3fb8aa3b, v113
	v_fma_f32 v124, 0x3fb8aa3b, v90, -v117
	v_rndne_f32_e32 v125, v117
	v_exp_f32_e32 v74, v74
	v_cvt_i32_f32_e32 v79, v79
	v_fmac_f32_e32 v122, 0x32a5705f, v88
	v_sub_f32_e32 v116, v116, v123
	v_exp_f32_e32 v81, v81
	v_fma_f32 v126, 0x3fb8aa3b, v113, -v118
	v_rndne_f32_e32 v127, v118
	v_cvt_i32_f32_e32 v82, v82
	v_fmac_f32_e32 v124, 0x32a5705f, v90
	s_waitcnt lgkmcnt(0)
	v_max_f32_e32 v95, v95, v95
	v_ldexp_f32 v74, v74, v79
	v_cmp_ngt_f32_e32 vcc_lo, 0xc2ce8ed0, v96
	v_cvt_i32_f32_e32 v121, v121
	v_fmac_f32_e32 v126, 0x32a5705f, v113
	v_max_f32_e32 v73, v73, v95
	v_sub_f32_e32 v95, v117, v125
	v_sub_f32_e32 v117, v118, v127
	v_ldexp_f32 v79, v81, v82
	v_cndmask_b32_e32 v74, 0, v74, vcc_lo
	ds_bpermute_b32 v83, v92, v73
	v_add_f32_e32 v92, v115, v98
	v_add_f32_e32 v98, v116, v122
	;; [unrolled: 1-line block ×3, first 2 shown]
	v_cmp_ngt_f32_e32 vcc_lo, 0xc2ce8ed0, v97
	v_cvt_i32_f32_e32 v123, v123
	v_exp_f32_e32 v92, v92
	v_exp_f32_e32 v98, v98
	v_add_f32_e32 v114, v117, v126
	v_exp_f32_e32 v95, v95
	v_cndmask_b32_e32 v79, 0, v79, vcc_lo
	v_cmp_ngt_f32_e32 vcc_lo, 0xc2ce8ed0, v112
	v_cvt_i32_f32_e32 v115, v125
	v_exp_f32_e32 v114, v114
	v_cvt_i32_f32_e32 v116, v127
	v_sub_f32_e32 v86, v86, v3
	v_ldexp_f32 v81, v92, v121
	v_ldexp_f32 v82, v98, v123
	v_sub_f32_e32 v89, v89, v3
	v_ldexp_f32 v92, v95, v115
	s_waitcnt lgkmcnt(0)
	v_max_f32_e32 v83, v83, v83
	v_cndmask_b32_e32 v81, 0, v81, vcc_lo
	v_cmp_ngt_f32_e32 vcc_lo, 0xc2ce8ed0, v88
	v_ldexp_f32 v95, v114, v116
	v_mul_f32_e32 v119, 0x3fb8aa3b, v86
	v_max_f32_e32 v73, v73, v83
	v_mul_f32_e32 v120, 0x3fb8aa3b, v89
	v_cndmask_b32_e32 v82, 0, v82, vcc_lo
	v_cmp_ngt_f32_e32 vcc_lo, 0xc2ce8ed0, v90
	v_fma_f32 v128, 0x3fb8aa3b, v86, -v119
	ds_bpermute_b32 v83, v91, v73
	v_rndne_f32_e32 v129, v119
	v_sub_f32_e32 v71, v71, v3
	v_cndmask_b32_e32 v91, 0, v92, vcc_lo
	v_cmp_ngt_f32_e32 vcc_lo, 0xc2ce8ed0, v113
	v_fmac_f32_e32 v128, 0x32a5705f, v86
	v_sub_f32_e32 v117, v119, v129
	v_sub_f32_e32 v69, v69, v4
	;; [unrolled: 1-line block ×3, first 2 shown]
	v_cndmask_b32_e32 v92, 0, v95, vcc_lo
	v_cmp_nlt_f32_e32 vcc_lo, 0x42b17218, v112
	v_sub_f32_e32 v64, v64, v7
	s_or_b32 s19, s6, 32
	s_mul_hi_i32 s25, s19, s8
	v_cndmask_b32_e32 v81, 0x7f800000, v81, vcc_lo
	v_cmp_nlt_f32_e32 vcc_lo, 0x42b17218, v96
	s_mul_i32 s24, s19, s8
	s_lshl_b64 s[24:25], s[24:25], 2
	v_cvt_f16_f32_e32 v96, v81
	v_cndmask_b32_e32 v74, 0x7f800000, v74, vcc_lo
	v_cmp_nlt_f32_e32 vcc_lo, 0x42b17218, v97
	s_waitcnt lgkmcnt(0)
	v_max_f32_e32 v83, v83, v83
	s_add_u32 s19, s12, s24
	s_addc_u32 s24, s13, s25
	v_cndmask_b32_e32 v95, 0x7f800000, v79, vcc_lo
	v_cmp_nlt_f32_e32 vcc_lo, 0x42b17218, v88
	v_cvt_f16_f32_e32 v88, v74
	v_add_f32_e32 v79, v74, v95
	v_cndmask_b32_e32 v82, 0x7f800000, v82, vcc_lo
	v_mul_u32_u24_sdwa v74, v96, v43 dst_sel:DWORD dst_unused:UNUSED_PAD src0_sel:WORD_0 src1_sel:DWORD
	v_cmp_nlt_f32_e32 vcc_lo, 0x42b17218, v90
	v_rndne_f32_e32 v90, v120
	v_fmac_f32_e32 v79, v8, v81
	v_max_f32_e32 v8, v73, v83
	v_pk_mul_f16 v97, v58, v74
	v_cndmask_b32_e32 v58, 0x7f800000, v91, vcc_lo
	v_cmp_nlt_f32_e32 vcc_lo, 0x42b17218, v113
	v_pk_mul_f16 v74, v59, v74
	v_add_f32_e32 v73, v117, v128
	v_fma_f32 v83, 0x3fb8aa3b, v89, -v120
	v_cvt_f16_f32_e32 v96, v82
	v_cndmask_b32_e32 v59, 0x7f800000, v92, vcc_lo
	v_add_f32_e32 v81, v82, v58
	v_exp_f32_e32 v73, v73
	v_fmac_f32_e32 v83, 0x32a5705f, v89
	v_sub_f32_e32 v91, v120, v90
	v_cvt_f16_f32_e32 v82, v59
	v_cvt_i32_f32_e32 v92, v129
	v_fmac_f32_e32 v81, v72, v59
	v_cmp_ngt_f32_e32 vcc_lo, 0xc2ce8ed0, v86
	v_add_f32_e32 v83, v91, v83
	v_mul_u32_u24_sdwa v82, v82, v43 dst_sel:DWORD dst_unused:UNUSED_PAD src0_sel:WORD_0 src1_sel:DWORD
	v_mul_f32_e32 v91, 0x3fb8aa3b, v71
	v_cvt_i32_f32_e32 v90, v90
	v_sub_f32_e32 v63, v63, v8
	v_exp_f32_e32 v59, v83
	v_pk_mul_f16 v72, v57, v82
	v_ldexp_f32 v57, v73, v92
	v_fma_f32 v73, 0x3fb8aa3b, v71, -v91
	v_rndne_f32_e32 v83, v91
	v_pk_mul_f16 v92, v56, v82
	v_cvt_f16_f32_e32 v95, v95
	v_cndmask_b32_e32 v57, 0, v57, vcc_lo
	v_fmac_f32_e32 v73, 0x32a5705f, v71
	v_sub_f32_e32 v91, v91, v83
	v_cmp_nlt_f32_e32 vcc_lo, 0x42b17218, v86
	v_ldexp_f32 v56, v59, v90
	v_cvt_i32_f32_e32 v83, v83
	v_cvt_f16_f32_e32 v58, v58
	v_add_f32_e32 v59, v91, v73
	v_cndmask_b32_e32 v57, 0x7f800000, v57, vcc_lo
	v_sub_f32_e32 v73, v94, v4
	v_cmp_ngt_f32_e32 vcc_lo, 0xc2ce8ed0, v89
	v_sub_f32_e32 v91, v93, v4
	v_exp_f32_e32 v59, v59
	v_cvt_f16_f32_e32 v86, v57
	v_mul_f32_e32 v90, 0x3fb8aa3b, v73
	v_cndmask_b32_e32 v56, 0, v56, vcc_lo
	v_cmp_nlt_f32_e32 vcc_lo, 0x42b17218, v89
	v_mul_f32_e32 v94, 0x3fb8aa3b, v91
	v_fma_f32 v89, 0x3fb8aa3b, v73, -v90
	v_rndne_f32_e32 v93, v90
	v_cndmask_b32_e32 v56, 0x7f800000, v56, vcc_lo
	v_cmp_ngt_f32_e32 vcc_lo, 0xc2ce8ed0, v71
	v_fmac_f32_e32 v89, 0x32a5705f, v73
	v_add_f32_e32 v82, v57, v56
	v_ldexp_f32 v57, v59, v83
	v_sub_f32_e32 v59, v90, v93
	v_fma_f32 v83, 0x3fb8aa3b, v91, -v94
	v_rndne_f32_e32 v90, v94
	v_cndmask_b32_e32 v57, 0, v57, vcc_lo
	v_add_f32_e32 v59, v59, v89
	v_fmac_f32_e32 v83, 0x32a5705f, v91
	v_sub_f32_e32 v94, v94, v90
	v_cmp_nlt_f32_e32 vcc_lo, 0x42b17218, v71
	v_cvt_f16_f32_e32 v71, v56
	v_exp_f32_e32 v59, v59
	v_cvt_i32_f32_e32 v90, v90
	v_add_f32_e32 v56, v94, v83
	v_cndmask_b32_e32 v57, 0x7f800000, v57, vcc_lo
	v_mul_f32_e32 v83, 0x3fb8aa3b, v69
	v_cmp_ngt_f32_e32 vcc_lo, 0xc2ce8ed0, v73
	v_exp_f32_e32 v56, v56
	v_fmac_f32_e32 v82, v70, v57
	v_cvt_f16_f32_e32 v57, v57
	v_cvt_i32_f32_e32 v70, v93
	v_fma_f32 v89, 0x3fb8aa3b, v69, -v83
	v_rndne_f32_e32 v93, v83
	v_mul_u32_u24_sdwa v57, v57, v43 dst_sel:DWORD dst_unused:UNUSED_PAD src0_sel:WORD_0 src1_sel:DWORD
	v_ldexp_f32 v59, v59, v70
	v_fmac_f32_e32 v89, 0x32a5705f, v69
	v_sub_f32_e32 v70, v83, v93
	v_pk_mul_f16 v94, v55, v57
	v_ldexp_f32 v55, v56, v90
	v_cndmask_b32_e32 v56, 0, v59, vcc_lo
	v_cmp_ngt_f32_e32 vcc_lo, 0xc2ce8ed0, v91
	v_add_f32_e32 v59, v70, v89
	v_sub_f32_e32 v70, v85, v5
	v_mul_f32_e32 v90, 0x3fb8aa3b, v84
	v_cndmask_b32_e32 v55, 0, v55, vcc_lo
	v_cmp_nlt_f32_e32 vcc_lo, 0x42b17218, v73
	v_exp_f32_e32 v59, v59
	v_pk_mul_f16 v73, v54, v57
	v_cvt_i32_f32_e32 v54, v93
	v_mul_f32_e32 v85, 0x3fb8aa3b, v70
	v_cndmask_b32_e32 v56, 0x7f800000, v56, vcc_lo
	v_cmp_nlt_f32_e32 vcc_lo, 0x42b17218, v91
	v_rndne_f32_e32 v93, v90
	v_cvt_f16_f32_e32 v57, v56
	v_cndmask_b32_e32 v55, 0x7f800000, v55, vcc_lo
	v_ldexp_f32 v54, v59, v54
	v_fma_f32 v59, 0x3fb8aa3b, v70, -v85
	v_cmp_ngt_f32_e32 vcc_lo, 0xc2ce8ed0, v69
	v_add_f32_e32 v83, v56, v55
	v_sub_f32_e32 v56, v68, v5
	v_rndne_f32_e32 v68, v85
	v_cndmask_b32_e32 v54, 0, v54, vcc_lo
	v_fmac_f32_e32 v59, 0x32a5705f, v70
	v_cmp_nlt_f32_e32 vcc_lo, 0x42b17218, v69
	v_mul_f32_e32 v89, 0x3fb8aa3b, v56
	v_sub_f32_e32 v85, v85, v68
	v_cvt_f16_f32_e32 v55, v55
	v_cndmask_b32_e32 v54, 0x7f800000, v54, vcc_lo
	v_fma_f32 v69, 0x3fb8aa3b, v56, -v89
	v_rndne_f32_e32 v91, v89
	v_add_f32_e32 v59, v85, v59
	v_fma_f32 v85, 0x3fb8aa3b, v84, -v90
	v_cvt_f16_f32_e32 v98, v54
	v_fmac_f32_e32 v69, 0x32a5705f, v56
	v_sub_f32_e32 v89, v89, v91
	v_exp_f32_e32 v59, v59
	v_fmac_f32_e32 v85, 0x32a5705f, v84
	v_sub_f32_e32 v90, v90, v93
	v_fmac_f32_e32 v83, v67, v54
	v_add_f32_e32 v69, v89, v69
	v_mul_u32_u24_sdwa v89, v98, v43 dst_sel:DWORD dst_unused:UNUSED_PAD src0_sel:WORD_0 src1_sel:DWORD
	v_cvt_i32_f32_e32 v54, v68
	v_add_f32_e32 v67, v90, v85
	v_cmp_ngt_f32_e32 vcc_lo, 0xc2ce8ed0, v70
	v_exp_f32_e32 v68, v69
	v_pk_mul_f16 v69, v52, v89
	v_ldexp_f32 v52, v59, v54
	v_pk_mul_f16 v89, v53, v89
	v_exp_f32_e32 v53, v67
	v_cvt_i32_f32_e32 v54, v91
	v_sub_f32_e32 v59, v101, v6
	v_cndmask_b32_e32 v52, 0, v52, vcc_lo
	v_cmp_nlt_f32_e32 vcc_lo, 0x42b17218, v70
	v_cvt_i32_f32_e32 v67, v93
	v_ldexp_f32 v54, v68, v54
	v_mul_f32_e32 v68, 0x3fb8aa3b, v59
	v_sub_f32_e32 v93, v102, v7
	v_cndmask_b32_e32 v52, 0x7f800000, v52, vcc_lo
	v_cmp_ngt_f32_e32 vcc_lo, 0xc2ce8ed0, v56
	v_ldexp_f32 v53, v53, v67
	v_fma_f32 v67, 0x3fb8aa3b, v59, -v68
	v_rndne_f32_e32 v70, v68
	v_mul_f32_e32 v98, 0x3fb8aa3b, v93
	v_cndmask_b32_e32 v54, 0, v54, vcc_lo
	v_cmp_ngt_f32_e32 vcc_lo, 0xc2ce8ed0, v84
	v_fmac_f32_e32 v67, 0x32a5705f, v59
	v_pack_b32_f16 v55, v71, v55
	v_rndne_f32_e32 v101, v98
	v_cndmask_b32_e32 v53, 0, v53, vcc_lo
	v_cmp_nlt_f32_e32 vcc_lo, 0x42b17218, v56
	v_sub_f32_e32 v56, v68, v70
	v_cvt_f16_f32_e32 v68, v52
	v_cndmask_b32_e32 v54, 0x7f800000, v54, vcc_lo
	v_cmp_nlt_f32_e32 vcc_lo, 0x42b17218, v84
	v_add_f32_e32 v56, v56, v67
	v_sub_f32_e32 v67, v100, v6
	v_cvt_f16_f32_e32 v85, v54
	v_cndmask_b32_e32 v53, 0x7f800000, v53, vcc_lo
	v_cmp_ngt_f32_e32 vcc_lo, 0xc2ce8ed0, v59
	v_add_f32_e32 v84, v52, v53
	v_cvt_f16_f32_e32 v90, v53
	v_mul_u32_u24_sdwa v52, v85, v43 dst_sel:DWORD dst_unused:UNUSED_PAD src0_sel:WORD_0 src1_sel:DWORD
	v_exp_f32_e32 v53, v56
	v_mul_f32_e32 v56, 0x3fb8aa3b, v67
	v_fmac_f32_e32 v84, v66, v54
	v_sub_f32_e32 v54, v65, v6
	v_pk_mul_f16 v66, v51, v52
	v_cvt_i32_f32_e32 v51, v70
	v_fma_f32 v65, 0x3fb8aa3b, v67, -v56
	v_rndne_f32_e32 v70, v56
	v_mul_f32_e32 v85, 0x3fb8aa3b, v54
	v_pk_mul_f16 v91, v50, v52
	v_ldexp_f32 v50, v53, v51
	v_fmac_f32_e32 v65, 0x32a5705f, v67
	v_sub_f32_e32 v51, v56, v70
	v_fma_f32 v52, 0x3fb8aa3b, v54, -v85
	v_rndne_f32_e32 v53, v85
	v_sub_f32_e32 v56, v103, v7
	v_cndmask_b32_e32 v50, 0, v50, vcc_lo
	v_add_f32_e32 v51, v51, v65
	v_fmac_f32_e32 v52, 0x32a5705f, v54
	v_sub_f32_e32 v65, v85, v53
	v_mul_f32_e32 v85, 0x3fb8aa3b, v56
	v_cmp_nlt_f32_e32 vcc_lo, 0x42b17218, v59
	v_exp_f32_e32 v51, v51
	v_cvt_i32_f32_e32 v70, v70
	v_add_f32_e32 v52, v65, v52
	v_fma_f32 v59, 0x3fb8aa3b, v56, -v85
	v_rndne_f32_e32 v65, v85
	v_cndmask_b32_e32 v50, 0x7f800000, v50, vcc_lo
	v_cmp_ngt_f32_e32 vcc_lo, 0xc2ce8ed0, v67
	v_exp_f32_e32 v52, v52
	v_fmac_f32_e32 v59, 0x32a5705f, v56
	v_sub_f32_e32 v85, v85, v65
	v_ldexp_f32 v51, v51, v70
	v_cvt_i32_f32_e32 v53, v53
	v_fma_f32 v70, 0x3fb8aa3b, v93, -v98
	v_cvt_i32_f32_e32 v65, v65
	v_add_f32_e32 v59, v85, v59
	v_cndmask_b32_e32 v51, 0, v51, vcc_lo
	v_cmp_nlt_f32_e32 vcc_lo, 0x42b17218, v67
	v_ldexp_f32 v52, v52, v53
	v_fmac_f32_e32 v70, 0x32a5705f, v93
	v_exp_f32_e32 v53, v59
	v_sub_f32_e32 v59, v98, v101
	v_cndmask_b32_e32 v51, 0x7f800000, v51, vcc_lo
	v_cmp_ngt_f32_e32 vcc_lo, 0xc2ce8ed0, v54
	v_cvt_f16_f32_e32 v100, v50
	v_add_f32_e32 v59, v59, v70
	v_add_f32_e32 v85, v50, v51
	v_cndmask_b32_e32 v52, 0, v52, vcc_lo
	v_cmp_nlt_f32_e32 vcc_lo, 0x42b17218, v54
	v_ldexp_f32 v50, v53, v65
	v_cvt_f16_f32_e32 v54, v51
	v_cvt_i32_f32_e32 v53, v101
	v_mul_f32_e32 v70, 0x3fb8aa3b, v64
	v_cndmask_b32_e32 v65, 0x7f800000, v52, vcc_lo
	v_exp_f32_e32 v52, v59
	v_cmp_ngt_f32_e32 vcc_lo, 0xc2ce8ed0, v56
	v_rndne_f32_e32 v103, v70
	v_cvt_f16_f32_e32 v51, v65
	v_fmac_f32_e32 v85, v62, v65
	v_cndmask_b32_e32 v50, 0, v50, vcc_lo
	v_cmp_nlt_f32_e32 vcc_lo, 0x42b17218, v56
	v_sub_f32_e32 v56, v87, v8
	v_mul_u32_u24_sdwa v67, v51, v43 dst_sel:DWORD dst_unused:UNUSED_PAD src0_sel:WORD_0 src1_sel:DWORD
	v_ldexp_f32 v51, v52, v53
	v_cndmask_b32_e32 v59, 0x7f800000, v50, vcc_lo
	v_sub_f32_e32 v50, v99, v8
	v_cmp_ngt_f32_e32 vcc_lo, 0xc2ce8ed0, v93
	v_mul_f32_e32 v98, 0x3fb8aa3b, v56
	v_fma_f32 v99, 0x3fb8aa3b, v64, -v70
	v_sub_f32_e32 v70, v70, v103
	v_mul_f32_e32 v53, 0x3fb8aa3b, v50
	v_cndmask_b32_e32 v51, 0, v51, vcc_lo
	v_cmp_nlt_f32_e32 vcc_lo, 0x42b17218, v93
	v_fma_f32 v101, 0x3fb8aa3b, v56, -v98
	v_rndne_f32_e32 v102, v98
	v_fma_f32 v87, 0x3fb8aa3b, v50, -v53
	v_fmac_f32_e32 v99, 0x32a5705f, v64
	v_cndmask_b32_e32 v93, 0x7f800000, v51, vcc_lo
	v_rndne_f32_e32 v51, v53
	v_fmac_f32_e32 v101, 0x32a5705f, v56
	v_fmac_f32_e32 v87, 0x32a5705f, v50
	v_sub_f32_e32 v98, v98, v102
	v_cvt_i32_f32_e32 v102, v102
	v_sub_f32_e32 v53, v53, v51
	v_cvt_i32_f32_e32 v51, v51
	v_cmp_ngt_f32_e32 vcc_lo, 0xc2ce8ed0, v50
	v_add_f32_e32 v98, v98, v101
	v_add_f32_e32 v70, v70, v99
	;; [unrolled: 1-line block ×3, first 2 shown]
	v_mul_f32_e32 v87, 0x3fb8aa3b, v63
	v_cvt_f16_f32_e32 v52, v59
	v_exp_f32_e32 v98, v98
	v_exp_f32_e32 v70, v70
	;; [unrolled: 1-line block ×3, first 2 shown]
	v_fma_f32 v101, 0x3fb8aa3b, v63, -v87
	v_rndne_f32_e32 v112, v87
	v_cvt_f16_f32_e32 v99, v93
	v_pk_mul_f16 v48, v48, v67
	v_pk_mul_f16 v49, v49, v67
	v_fmac_f32_e32 v101, 0x32a5705f, v63
	v_sub_f32_e32 v87, v87, v112
	v_ldexp_f32 v98, v98, v102
	v_ldexp_f32 v51, v53, v51
	v_add_f32_e32 v53, v87, v101
	v_cvt_i32_f32_e32 v87, v103
	v_cndmask_b32_e32 v51, 0, v51, vcc_lo
	v_cmp_ngt_f32_e32 vcc_lo, 0xc2ce8ed0, v56
	v_exp_f32_e32 v53, v53
	v_cndmask_b32_e32 v98, 0, v98, vcc_lo
	v_cmp_nlt_f32_e32 vcc_lo, 0x42b17218, v50
	v_cvt_i32_f32_e32 v50, v112
	v_cndmask_b32_e32 v101, 0x7f800000, v51, vcc_lo
	v_cmp_nlt_f32_e32 vcc_lo, 0x42b17218, v56
	v_ldexp_f32 v51, v70, v87
	v_ldexp_f32 v50, v53, v50
	v_cvt_f16_f32_e32 v56, v101
	v_cndmask_b32_e32 v70, 0x7f800000, v98, vcc_lo
	v_cmp_ngt_f32_e32 vcc_lo, 0xc2ce8ed0, v64
	v_pack_b32_f16 v53, v52, v56
	v_pack_b32_f16 v56, v90, v54
	v_cndmask_b32_e32 v87, 0, v51, vcc_lo
	v_cmp_ngt_f32_e32 vcc_lo, 0xc2ce8ed0, v63
	v_pack_b32_f16 v54, v95, v58
	v_cvt_f16_f32_e32 v98, v70
	v_pack_b32_f16 v52, v68, v100
	v_pack_b32_f16 v51, v86, v57
	v_cndmask_b32_e32 v102, 0, v50, vcc_lo
	v_cmp_nlt_f32_e32 vcc_lo, 0x42b17218, v64
	v_pack_b32_f16 v50, v88, v96
	v_pack_b32_f16 v57, v99, v98
	ds_write_b128 v41, v[50:53]
	ds_write_b128 v41, v[54:57] offset:512
	s_waitcnt vmcnt(1)
	ds_write_b128 v37, v[104:107]
	s_waitcnt vmcnt(0)
	ds_write_b128 v38, v[108:111]
	v_cndmask_b32_e32 v58, 0x7f800000, v87, vcc_lo
	v_cmp_nlt_f32_e32 vcc_lo, 0x42b17218, v63
	s_waitcnt lgkmcnt(0)
	s_barrier
	buffer_gl0_inv
	v_cvt_f16_f32_e32 v54, v58
	v_cndmask_b32_e32 v63, 0x7f800000, v102, vcc_lo
	ds_read_b128 v[50:53], v36
	v_add_f32_e32 v87, v59, v93
	v_add_f32_e32 v86, v101, v70
	v_mul_u32_u24_sdwa v59, v54, v43 dst_sel:DWORD dst_unused:UNUSED_PAD src0_sel:WORD_0 src1_sel:DWORD
	v_cvt_f16_f32_e32 v62, v63
	ds_read2_b64 v[54:57], v39 offset1:32
	v_fmac_f32_e32 v87, v61, v58
	v_fmac_f32_e32 v86, v60, v63
	v_pk_mul_f16 v67, v46, v59
	v_mul_u32_u24_sdwa v62, v62, v43 dst_sel:DWORD dst_unused:UNUSED_PAD src0_sel:WORD_0 src1_sel:DWORD
	v_pk_mul_f16 v68, v47, v59
	v_add_co_u32 v144, vcc_lo, s19, v13
	v_add_co_ci_u32_e64 v145, null, s24, v14, vcc_lo
	v_pk_mul_f16 v70, v45, v62
	v_pk_mul_f16 v71, v44, v62
	ds_read_b128 v[44:47], v36 offset:16
	ds_read_b128 v[58:61], v36 offset:32
	;; [unrolled: 1-line block ×3, first 2 shown]
	v_add_co_u32 v146, vcc_lo, s19, v15
	s_waitcnt lgkmcnt(4)
	v_mul_u32_u24_sdwa v88, v50, v43 dst_sel:DWORD dst_unused:UNUSED_PAD src0_sel:WORD_0 src1_sel:DWORD
	v_mul_u32_u24_sdwa v50, v50, v43 dst_sel:DWORD dst_unused:UNUSED_PAD src0_sel:WORD_1 src1_sel:DWORD
	v_mul_u32_u24_sdwa v90, v51, v43 dst_sel:DWORD dst_unused:UNUSED_PAD src0_sel:WORD_0 src1_sel:DWORD
	v_mul_u32_u24_sdwa v51, v51, v43 dst_sel:DWORD dst_unused:UNUSED_PAD src0_sel:WORD_1 src1_sel:DWORD
	;; [unrolled: 2-line block ×4, first 2 shown]
	s_waitcnt lgkmcnt(3)
	v_pk_fma_f16 v96, v54, v88, v97
	v_pk_fma_f16 v72, v54, v50, v72
	;; [unrolled: 1-line block ×16, first 2 shown]
	s_waitcnt lgkmcnt(2)
	v_mul_u32_u24_sdwa v55, v44, v43 dst_sel:DWORD dst_unused:UNUSED_PAD src0_sel:WORD_0 src1_sel:DWORD
	v_mul_u32_u24_sdwa v68, v44, v43 dst_sel:DWORD dst_unused:UNUSED_PAD src0_sel:WORD_1 src1_sel:DWORD
	v_mul_u32_u24_sdwa v71, v45, v43 dst_sel:DWORD dst_unused:UNUSED_PAD src0_sel:WORD_0 src1_sel:DWORD
	v_mul_u32_u24_sdwa v88, v45, v43 dst_sel:DWORD dst_unused:UNUSED_PAD src0_sel:WORD_1 src1_sel:DWORD
	;; [unrolled: 2-line block ×4, first 2 shown]
	ds_read2_b64 v[44:47], v39 offset0:64 offset1:96
	v_pk_fma_f16 v93, v56, v55, v96
	v_pk_fma_f16 v72, v56, v68, v72
	;; [unrolled: 1-line block ×16, first 2 shown]
	s_waitcnt lgkmcnt(2)
	v_mul_u32_u24_sdwa v57, v58, v43 dst_sel:DWORD dst_unused:UNUSED_PAD src0_sel:WORD_0 src1_sel:DWORD
	v_mul_u32_u24_sdwa v58, v58, v43 dst_sel:DWORD dst_unused:UNUSED_PAD src0_sel:WORD_1 src1_sel:DWORD
	v_mul_u32_u24_sdwa v70, v59, v43 dst_sel:DWORD dst_unused:UNUSED_PAD src0_sel:WORD_0 src1_sel:DWORD
	v_mul_u32_u24_sdwa v59, v59, v43 dst_sel:DWORD dst_unused:UNUSED_PAD src0_sel:WORD_1 src1_sel:DWORD
	;; [unrolled: 2-line block ×4, first 2 shown]
	s_waitcnt lgkmcnt(0)
	v_pk_fma_f16 v74, v44, v57, v93
	v_pk_fma_f16 v72, v44, v58, v72
	;; [unrolled: 1-line block ×16, first 2 shown]
	v_mul_u32_u24_sdwa v61, v62, v43 dst_sel:DWORD dst_unused:UNUSED_PAD src0_sel:WORD_0 src1_sel:DWORD
	v_mul_u32_u24_sdwa v62, v62, v43 dst_sel:DWORD dst_unused:UNUSED_PAD src0_sel:WORD_1 src1_sel:DWORD
	v_mul_u32_u24_sdwa v71, v63, v43 dst_sel:DWORD dst_unused:UNUSED_PAD src0_sel:WORD_0 src1_sel:DWORD
	v_mul_u32_u24_sdwa v63, v63, v43 dst_sel:DWORD dst_unused:UNUSED_PAD src0_sel:WORD_1 src1_sel:DWORD
	;; [unrolled: 2-line block ×3, first 2 shown]
	v_mul_u32_u24_sdwa v90, v65, v43 dst_sel:DWORD dst_unused:UNUSED_PAD src0_sel:WORD_0 src1_sel:DWORD
	ds_read_b128 v[48:51], v36 offset:64
	v_mul_u32_u24_sdwa v65, v65, v43 dst_sel:DWORD dst_unused:UNUSED_PAD src0_sel:WORD_1 src1_sel:DWORD
	v_pk_fma_f16 v74, v46, v61, v74
	v_pk_fma_f16 v72, v46, v62, v72
	;; [unrolled: 1-line block ×6, first 2 shown]
	ds_read2_b64 v[52:55], v39 offset0:128 offset1:160
	v_pk_fma_f16 v67, v46, v90, v67
	v_pk_fma_f16 v91, v46, v65, v44
	;; [unrolled: 1-line block ×10, first 2 shown]
	ds_read_b128 v[44:47], v36 offset:80
	s_waitcnt lgkmcnt(2)
	v_mul_u32_u24_sdwa v64, v48, v43 dst_sel:DWORD dst_unused:UNUSED_PAD src0_sel:WORD_0 src1_sel:DWORD
	v_mul_u32_u24_sdwa v48, v48, v43 dst_sel:DWORD dst_unused:UNUSED_PAD src0_sel:WORD_1 src1_sel:DWORD
	v_mul_u32_u24_sdwa v65, v49, v43 dst_sel:DWORD dst_unused:UNUSED_PAD src0_sel:WORD_0 src1_sel:DWORD
	v_mul_u32_u24_sdwa v49, v49, v43 dst_sel:DWORD dst_unused:UNUSED_PAD src0_sel:WORD_1 src1_sel:DWORD
	;; [unrolled: 2-line block ×4, first 2 shown]
	s_waitcnt lgkmcnt(1)
	v_pk_fma_f16 v71, v52, v64, v74
	v_pk_fma_f16 v72, v52, v48, v72
	;; [unrolled: 1-line block ×16, first 2 shown]
	s_waitcnt lgkmcnt(0)
	v_mul_u32_u24_sdwa v63, v44, v43 dst_sel:DWORD dst_unused:UNUSED_PAD src0_sel:WORD_0 src1_sel:DWORD
	v_mul_u32_u24_sdwa v64, v44, v43 dst_sel:DWORD dst_unused:UNUSED_PAD src0_sel:WORD_1 src1_sel:DWORD
	v_mul_u32_u24_sdwa v65, v45, v43 dst_sel:DWORD dst_unused:UNUSED_PAD src0_sel:WORD_0 src1_sel:DWORD
	v_mul_u32_u24_sdwa v68, v45, v43 dst_sel:DWORD dst_unused:UNUSED_PAD src0_sel:WORD_1 src1_sel:DWORD
	;; [unrolled: 2-line block ×3, first 2 shown]
	v_mul_u32_u24_sdwa v89, v47, v43 dst_sel:DWORD dst_unused:UNUSED_PAD src0_sel:WORD_0 src1_sel:DWORD
	ds_read_b128 v[48:51], v36 offset:96
	v_mul_u32_u24_sdwa v90, v47, v43 dst_sel:DWORD dst_unused:UNUSED_PAD src0_sel:WORD_1 src1_sel:DWORD
	v_pk_fma_f16 v71, v54, v63, v71
	v_pk_fma_f16 v72, v54, v64, v72
	;; [unrolled: 1-line block ×6, first 2 shown]
	ds_read2_b64 v[44:47], v39 offset0:192 offset1:224
	v_pk_fma_f16 v67, v54, v89, v67
	v_pk_fma_f16 v91, v54, v90, v52
	;; [unrolled: 1-line block ×10, first 2 shown]
	ds_read_b128 v[52:55], v36 offset:112
	s_waitcnt lgkmcnt(2)
	v_mul_u32_u24_sdwa v64, v48, v43 dst_sel:DWORD dst_unused:UNUSED_PAD src0_sel:WORD_0 src1_sel:DWORD
	v_mul_u32_u24_sdwa v48, v48, v43 dst_sel:DWORD dst_unused:UNUSED_PAD src0_sel:WORD_1 src1_sel:DWORD
	v_mul_u32_u24_sdwa v65, v49, v43 dst_sel:DWORD dst_unused:UNUSED_PAD src0_sel:WORD_0 src1_sel:DWORD
	v_mul_u32_u24_sdwa v49, v49, v43 dst_sel:DWORD dst_unused:UNUSED_PAD src0_sel:WORD_1 src1_sel:DWORD
	;; [unrolled: 2-line block ×4, first 2 shown]
	s_waitcnt lgkmcnt(1)
	v_pk_fma_f16 v71, v44, v64, v71
	v_pk_fma_f16 v72, v44, v48, v72
	v_pk_fma_f16 v73, v44, v65, v73
	v_pk_fma_f16 v69, v44, v49, v69
	v_pk_fma_f16 v66, v44, v68, v66
	v_pk_fma_f16 v74, v44, v50, v74
	v_pk_fma_f16 v67, v44, v70, v67
	v_pk_fma_f16 v44, v44, v51, v91
	v_pk_fma_f16 v57, v45, v64, v57
	v_pk_fma_f16 v58, v45, v48, v58
	v_pk_fma_f16 v56, v45, v65, v56
	v_pk_fma_f16 v59, v45, v49, v59
	v_pk_fma_f16 v61, v45, v68, v61
	v_pk_fma_f16 v60, v45, v50, v60
	v_pk_fma_f16 v62, v45, v70, v62
	v_pk_fma_f16 v63, v45, v51, v63
	s_waitcnt lgkmcnt(0)
	v_mul_u32_u24_sdwa v64, v52, v43 dst_sel:DWORD dst_unused:UNUSED_PAD src0_sel:WORD_0 src1_sel:DWORD
	v_mul_u32_u24_sdwa v65, v52, v43 dst_sel:DWORD dst_unused:UNUSED_PAD src0_sel:WORD_1 src1_sel:DWORD
	v_mul_u32_u24_sdwa v68, v53, v43 dst_sel:DWORD dst_unused:UNUSED_PAD src0_sel:WORD_0 src1_sel:DWORD
	v_mul_u32_u24_sdwa v70, v53, v43 dst_sel:DWORD dst_unused:UNUSED_PAD src0_sel:WORD_1 src1_sel:DWORD
	;; [unrolled: 2-line block ×4, first 2 shown]
	ds_read_b128 v[48:51], v36 offset:128
	v_add_nc_u32_e32 v45, 0x800, v39
	v_pk_fma_f16 v71, v46, v64, v71
	v_pk_fma_f16 v72, v46, v65, v72
	;; [unrolled: 1-line block ×6, first 2 shown]
	ds_read2_b64 v[52:55], v45 offset1:32
	v_pk_fma_f16 v67, v46, v90, v67
	v_pk_fma_f16 v44, v46, v91, v44
	;; [unrolled: 1-line block ×6, first 2 shown]
	ds_read_b128 v[56:59], v36 offset:144
	v_pk_fma_f16 v61, v47, v88, v61
	v_pk_fma_f16 v60, v47, v89, v60
	;; [unrolled: 1-line block ×4, first 2 shown]
	s_waitcnt lgkmcnt(2)
	v_mul_u32_u24_sdwa v63, v48, v43 dst_sel:DWORD dst_unused:UNUSED_PAD src0_sel:WORD_0 src1_sel:DWORD
	v_mul_u32_u24_sdwa v48, v48, v43 dst_sel:DWORD dst_unused:UNUSED_PAD src0_sel:WORD_1 src1_sel:DWORD
	v_mul_u32_u24_sdwa v70, v49, v43 dst_sel:DWORD dst_unused:UNUSED_PAD src0_sel:WORD_0 src1_sel:DWORD
	v_mul_u32_u24_sdwa v49, v49, v43 dst_sel:DWORD dst_unused:UNUSED_PAD src0_sel:WORD_1 src1_sel:DWORD
	v_mul_u32_u24_sdwa v88, v50, v43 dst_sel:DWORD dst_unused:UNUSED_PAD src0_sel:WORD_0 src1_sel:DWORD
	v_mul_u32_u24_sdwa v50, v50, v43 dst_sel:DWORD dst_unused:UNUSED_PAD src0_sel:WORD_1 src1_sel:DWORD
	v_mul_u32_u24_sdwa v89, v51, v43 dst_sel:DWORD dst_unused:UNUSED_PAD src0_sel:WORD_0 src1_sel:DWORD
	v_mul_u32_u24_sdwa v51, v51, v43 dst_sel:DWORD dst_unused:UNUSED_PAD src0_sel:WORD_1 src1_sel:DWORD
	s_waitcnt lgkmcnt(1)
	v_pk_fma_f16 v71, v52, v63, v71
	v_pk_fma_f16 v72, v52, v48, v72
	v_pk_fma_f16 v73, v52, v70, v73
	v_pk_fma_f16 v69, v52, v49, v69
	v_pk_fma_f16 v66, v52, v88, v66
	v_pk_fma_f16 v74, v52, v50, v74
	v_pk_fma_f16 v67, v52, v89, v67
	v_pk_fma_f16 v44, v52, v51, v44
	v_pk_fma_f16 v63, v53, v63, v46
	v_pk_fma_f16 v64, v53, v48, v64
	v_pk_fma_f16 v65, v53, v70, v65
	v_pk_fma_f16 v68, v53, v49, v68
	v_pk_fma_f16 v61, v53, v88, v61
	v_pk_fma_f16 v60, v53, v50, v60
	v_pk_fma_f16 v62, v53, v89, v62
	v_pk_fma_f16 v70, v53, v51, v47
	s_waitcnt lgkmcnt(0)
	v_mul_u32_u24_sdwa v88, v56, v43 dst_sel:DWORD dst_unused:UNUSED_PAD src0_sel:WORD_0 src1_sel:DWORD
	v_mul_u32_u24_sdwa v56, v56, v43 dst_sel:DWORD dst_unused:UNUSED_PAD src0_sel:WORD_1 src1_sel:DWORD
	v_mul_u32_u24_sdwa v89, v57, v43 dst_sel:DWORD dst_unused:UNUSED_PAD src0_sel:WORD_0 src1_sel:DWORD
	v_mul_u32_u24_sdwa v57, v57, v43 dst_sel:DWORD dst_unused:UNUSED_PAD src0_sel:WORD_1 src1_sel:DWORD
	v_mul_u32_u24_sdwa v90, v58, v43 dst_sel:DWORD dst_unused:UNUSED_PAD src0_sel:WORD_0 src1_sel:DWORD
	v_mul_u32_u24_sdwa v58, v58, v43 dst_sel:DWORD dst_unused:UNUSED_PAD src0_sel:WORD_1 src1_sel:DWORD
	v_mul_u32_u24_sdwa v91, v59, v43 dst_sel:DWORD dst_unused:UNUSED_PAD src0_sel:WORD_0 src1_sel:DWORD
	ds_read_b128 v[46:49], v36 offset:160
	v_mul_u32_u24_sdwa v59, v59, v43 dst_sel:DWORD dst_unused:UNUSED_PAD src0_sel:WORD_1 src1_sel:DWORD
	v_pk_fma_f16 v71, v54, v88, v71
	v_pk_fma_f16 v72, v54, v56, v72
	v_pk_fma_f16 v73, v54, v89, v73
	v_pk_fma_f16 v69, v54, v57, v69
	v_pk_fma_f16 v66, v54, v90, v66
	v_pk_fma_f16 v74, v54, v58, v74
	ds_read2_b64 v[50:53], v45 offset0:64 offset1:96
	v_pk_fma_f16 v67, v54, v91, v67
	v_pk_fma_f16 v44, v54, v59, v44
	v_pk_fma_f16 v63, v55, v88, v63
	v_pk_fma_f16 v64, v55, v56, v64
	v_pk_fma_f16 v65, v55, v89, v65
	v_pk_fma_f16 v68, v55, v57, v68
	v_pk_fma_f16 v61, v55, v90, v61
	v_pk_fma_f16 v58, v55, v58, v60
	v_pk_fma_f16 v60, v55, v91, v62
	v_pk_fma_f16 v59, v55, v59, v70
	ds_read_b128 v[54:57], v36 offset:176
	s_waitcnt lgkmcnt(2)
	v_mul_u32_u24_sdwa v62, v46, v43 dst_sel:DWORD dst_unused:UNUSED_PAD src0_sel:WORD_0 src1_sel:DWORD
	v_mul_u32_u24_sdwa v46, v46, v43 dst_sel:DWORD dst_unused:UNUSED_PAD src0_sel:WORD_1 src1_sel:DWORD
	v_mul_u32_u24_sdwa v70, v47, v43 dst_sel:DWORD dst_unused:UNUSED_PAD src0_sel:WORD_0 src1_sel:DWORD
	v_mul_u32_u24_sdwa v47, v47, v43 dst_sel:DWORD dst_unused:UNUSED_PAD src0_sel:WORD_1 src1_sel:DWORD
	v_mul_u32_u24_sdwa v88, v48, v43 dst_sel:DWORD dst_unused:UNUSED_PAD src0_sel:WORD_0 src1_sel:DWORD
	v_mul_u32_u24_sdwa v48, v48, v43 dst_sel:DWORD dst_unused:UNUSED_PAD src0_sel:WORD_1 src1_sel:DWORD
	v_mul_u32_u24_sdwa v89, v49, v43 dst_sel:DWORD dst_unused:UNUSED_PAD src0_sel:WORD_0 src1_sel:DWORD
	v_mul_u32_u24_sdwa v49, v49, v43 dst_sel:DWORD dst_unused:UNUSED_PAD src0_sel:WORD_1 src1_sel:DWORD
	s_waitcnt lgkmcnt(1)
	v_pk_fma_f16 v71, v50, v62, v71
	v_pk_fma_f16 v72, v50, v46, v72
	v_pk_fma_f16 v73, v50, v70, v73
	v_pk_fma_f16 v69, v50, v47, v69
	v_pk_fma_f16 v66, v50, v88, v66
	v_pk_fma_f16 v74, v50, v48, v74
	v_pk_fma_f16 v67, v50, v89, v67
	v_pk_fma_f16 v44, v50, v49, v44
	v_pk_fma_f16 v50, v51, v62, v63
	v_pk_fma_f16 v62, v51, v46, v64
	v_pk_fma_f16 v63, v51, v70, v65
	v_pk_fma_f16 v64, v51, v47, v68
	v_pk_fma_f16 v61, v51, v88, v61
	v_pk_fma_f16 v58, v51, v48, v58
	v_pk_fma_f16 v60, v51, v89, v60
	v_pk_fma_f16 v51, v51, v49, v59
	s_waitcnt lgkmcnt(0)
	v_mul_u32_u24_sdwa v59, v54, v43 dst_sel:DWORD dst_unused:UNUSED_PAD src0_sel:WORD_0 src1_sel:DWORD
	v_mul_u32_u24_sdwa v65, v54, v43 dst_sel:DWORD dst_unused:UNUSED_PAD src0_sel:WORD_1 src1_sel:DWORD
	v_mul_u32_u24_sdwa v68, v55, v43 dst_sel:DWORD dst_unused:UNUSED_PAD src0_sel:WORD_0 src1_sel:DWORD
	v_mul_u32_u24_sdwa v70, v55, v43 dst_sel:DWORD dst_unused:UNUSED_PAD src0_sel:WORD_1 src1_sel:DWORD
	v_mul_u32_u24_sdwa v88, v56, v43 dst_sel:DWORD dst_unused:UNUSED_PAD src0_sel:WORD_0 src1_sel:DWORD
	v_mul_u32_u24_sdwa v89, v56, v43 dst_sel:DWORD dst_unused:UNUSED_PAD src0_sel:WORD_1 src1_sel:DWORD
	v_mul_u32_u24_sdwa v90, v57, v43 dst_sel:DWORD dst_unused:UNUSED_PAD src0_sel:WORD_0 src1_sel:DWORD
	ds_read_b128 v[46:49], v36 offset:192
	v_mul_u32_u24_sdwa v91, v57, v43 dst_sel:DWORD dst_unused:UNUSED_PAD src0_sel:WORD_1 src1_sel:DWORD
	v_pk_fma_f16 v71, v52, v59, v71
	v_pk_fma_f16 v72, v52, v65, v72
	v_pk_fma_f16 v73, v52, v68, v73
	v_pk_fma_f16 v69, v52, v70, v69
	v_pk_fma_f16 v66, v52, v88, v66
	v_pk_fma_f16 v74, v52, v89, v74
	ds_read2_b64 v[54:57], v45 offset0:128 offset1:160
	v_pk_fma_f16 v67, v52, v90, v67
	v_pk_fma_f16 v44, v52, v91, v44
	v_pk_fma_f16 v59, v53, v59, v50
	v_pk_fma_f16 v62, v53, v65, v62
	v_pk_fma_f16 v63, v53, v68, v63
	v_pk_fma_f16 v64, v53, v70, v64
	v_pk_fma_f16 v61, v53, v88, v61
	v_pk_fma_f16 v58, v53, v89, v58
	v_pk_fma_f16 v60, v53, v90, v60
	v_pk_fma_f16 v65, v53, v91, v51
	ds_read_b128 v[50:53], v36 offset:208
	;; [unrolled: 54-line block ×3, first 2 shown]
	s_waitcnt lgkmcnt(2)
	v_mul_u32_u24_sdwa v68, v46, v43 dst_sel:DWORD dst_unused:UNUSED_PAD src0_sel:WORD_0 src1_sel:DWORD
	v_mul_u32_u24_sdwa v46, v46, v43 dst_sel:DWORD dst_unused:UNUSED_PAD src0_sel:WORD_1 src1_sel:DWORD
	v_mul_u32_u24_sdwa v70, v47, v43 dst_sel:DWORD dst_unused:UNUSED_PAD src0_sel:WORD_0 src1_sel:DWORD
	v_mul_u32_u24_sdwa v47, v47, v43 dst_sel:DWORD dst_unused:UNUSED_PAD src0_sel:WORD_1 src1_sel:DWORD
	;; [unrolled: 2-line block ×4, first 2 shown]
	s_waitcnt lgkmcnt(1)
	v_pk_fma_f16 v71, v50, v68, v71
	v_pk_fma_f16 v72, v50, v46, v72
	;; [unrolled: 1-line block ×16, first 2 shown]
	s_waitcnt lgkmcnt(0)
	v_mul_u32_u24_sdwa v65, v54, v43 dst_sel:DWORD dst_unused:UNUSED_PAD src0_sel:WORD_0 src1_sel:DWORD
	v_mul_u32_u24_sdwa v68, v54, v43 dst_sel:DWORD dst_unused:UNUSED_PAD src0_sel:WORD_1 src1_sel:DWORD
	v_mul_u32_u24_sdwa v70, v55, v43 dst_sel:DWORD dst_unused:UNUSED_PAD src0_sel:WORD_0 src1_sel:DWORD
	v_mul_u32_u24_sdwa v88, v55, v43 dst_sel:DWORD dst_unused:UNUSED_PAD src0_sel:WORD_1 src1_sel:DWORD
	;; [unrolled: 2-line block ×4, first 2 shown]
	ds_read_b128 v[47:50], v36 offset:256
	v_add_nc_u32_e32 v46, 0x1000, v39
	v_pk_fma_f16 v71, v52, v65, v71
	v_pk_fma_f16 v72, v52, v68, v72
	v_pk_fma_f16 v73, v52, v70, v73
	v_pk_fma_f16 v69, v52, v88, v69
	v_pk_fma_f16 v66, v52, v89, v66
	v_pk_fma_f16 v74, v52, v90, v74
	ds_read2_b64 v[54:57], v46 offset1:32
	v_pk_fma_f16 v67, v52, v91, v67
	v_pk_fma_f16 v44, v52, v92, v44
	;; [unrolled: 1-line block ×8, first 2 shown]
	ds_read_b128 v[58:61], v36 offset:272
	v_pk_fma_f16 v63, v53, v88, v63
	v_pk_fma_f16 v51, v53, v92, v51
	s_waitcnt lgkmcnt(2)
	v_mul_u32_u24_sdwa v53, v47, v43 dst_sel:DWORD dst_unused:UNUSED_PAD src0_sel:WORD_0 src1_sel:DWORD
	v_mul_u32_u24_sdwa v47, v47, v43 dst_sel:DWORD dst_unused:UNUSED_PAD src0_sel:WORD_1 src1_sel:DWORD
	v_mul_u32_u24_sdwa v88, v48, v43 dst_sel:DWORD dst_unused:UNUSED_PAD src0_sel:WORD_0 src1_sel:DWORD
	v_mul_u32_u24_sdwa v48, v48, v43 dst_sel:DWORD dst_unused:UNUSED_PAD src0_sel:WORD_1 src1_sel:DWORD
	;; [unrolled: 2-line block ×4, first 2 shown]
	s_waitcnt lgkmcnt(1)
	v_pk_fma_f16 v71, v54, v53, v71
	v_pk_fma_f16 v72, v54, v47, v72
	;; [unrolled: 1-line block ×9, first 2 shown]
	s_waitcnt lgkmcnt(0)
	v_mul_u32_u24_sdwa v88, v61, v43 dst_sel:DWORD dst_unused:UNUSED_PAD src0_sel:WORD_0 src1_sel:DWORD
	v_mul_u32_u24_sdwa v61, v61, v43 dst_sel:DWORD dst_unused:UNUSED_PAD src0_sel:WORD_1 src1_sel:DWORD
	v_add_co_ci_u32_e64 v147, null, s24, v16, vcc_lo
	v_add_co_u32 v144, vcc_lo, v144, v42
	v_add_co_ci_u32_e64 v145, null, 0, v145, vcc_lo
	v_add_co_u32 v148, vcc_lo, v146, v42
	v_pk_fma_f16 v52, v55, v53, v52
	v_pk_fma_f16 v53, v55, v47, v64
	;; [unrolled: 1-line block ×7, first 2 shown]
	v_mul_u32_u24_sdwa v55, v58, v43 dst_sel:DWORD dst_unused:UNUSED_PAD src0_sel:WORD_0 src1_sel:DWORD
	v_mul_u32_u24_sdwa v58, v58, v43 dst_sel:DWORD dst_unused:UNUSED_PAD src0_sel:WORD_1 src1_sel:DWORD
	v_mul_u32_u24_sdwa v68, v59, v43 dst_sel:DWORD dst_unused:UNUSED_PAD src0_sel:WORD_0 src1_sel:DWORD
	v_mul_u32_u24_sdwa v59, v59, v43 dst_sel:DWORD dst_unused:UNUSED_PAD src0_sel:WORD_1 src1_sel:DWORD
	;; [unrolled: 2-line block ×3, first 2 shown]
	v_pk_fma_f16 v159, v56, v61, v44
	v_add_nc_u32_e32 v44, 0x1800, v39
	v_add_co_ci_u32_e64 v149, null, 0, v147, vcc_lo
	ds_read_b128 v[47:50], v36 offset:288
	v_pk_fma_f16 v152, v56, v55, v71
	v_pk_fma_f16 v153, v56, v58, v72
	v_pk_fma_f16 v154, v56, v68, v73
	v_pk_fma_f16 v155, v56, v59, v69
	v_pk_fma_f16 v156, v56, v70, v66
	v_pk_fma_f16 v157, v56, v60, v74
	v_pk_fma_f16 v158, v56, v88, v67
	v_pk_fma_f16 v160, v57, v55, v52
	v_pk_fma_f16 v161, v57, v58, v53
	v_pk_fma_f16 v162, v57, v68, v54
	v_pk_fma_f16 v163, v57, v59, v62
	v_pk_fma_f16 v164, v57, v70, v63
	v_pk_fma_f16 v165, v57, v60, v64
	v_pk_fma_f16 v166, v57, v88, v65
	v_pk_fma_f16 v167, v57, v61, v51
	ds_read2_b64 v[51:54], v46 offset0:64 offset1:96
	ds_read_b128 v[55:58], v36 offset:304
	ds_read2_b64 v[59:62], v46 offset0:128 offset1:160
	ds_read_b128 v[63:66], v36 offset:320
	ds_read_b128 v[67:70], v36 offset:336
	ds_read2_b64 v[71:74], v46 offset0:192 offset1:224
	ds_read_b128 v[88:91], v36 offset:352
	ds_read_b128 v[92:95], v36 offset:368
	ds_read2_b64 v[96:99], v44 offset1:32
	ds_read_b128 v[100:103], v36 offset:384
	ds_read_b128 v[104:107], v36 offset:400
	ds_read2_b64 v[108:111], v44 offset0:64 offset1:96
	ds_read_b128 v[112:115], v36 offset:416
	ds_read_b128 v[116:119], v36 offset:432
	ds_read2_b64 v[120:123], v44 offset0:128 offset1:160
	;; [unrolled: 3-line block ×3, first 2 shown]
	ds_read_b128 v[136:139], v36 offset:480
	ds_read_b128 v[140:143], v36 offset:496
	s_waitcnt lgkmcnt(0)
	s_barrier
	buffer_gl0_inv
	s_clause 0x1
	global_load_dwordx4 v[144:147], v[144:145], off
	global_load_dwordx4 v[148:151], v[148:149], off
	v_mul_u32_u24_sdwa v168, v47, v43 dst_sel:DWORD dst_unused:UNUSED_PAD src0_sel:WORD_0 src1_sel:DWORD
	v_mul_u32_u24_sdwa v47, v47, v43 dst_sel:DWORD dst_unused:UNUSED_PAD src0_sel:WORD_1 src1_sel:DWORD
	v_mul_u32_u24_sdwa v169, v48, v43 dst_sel:DWORD dst_unused:UNUSED_PAD src0_sel:WORD_0 src1_sel:DWORD
	v_mul_u32_u24_sdwa v48, v48, v43 dst_sel:DWORD dst_unused:UNUSED_PAD src0_sel:WORD_1 src1_sel:DWORD
	;; [unrolled: 2-line block ×4, first 2 shown]
	s_waitcnt vmcnt(1)
	ds_write_b128 v37, v[144:147]
	s_waitcnt vmcnt(0)
	ds_write_b128 v38, v[148:151]
	v_pk_fma_f16 v152, v51, v168, v152
	v_pk_fma_f16 v153, v51, v47, v153
	v_pk_fma_f16 v154, v51, v169, v154
	v_pk_fma_f16 v155, v51, v48, v155
	v_pk_fma_f16 v156, v51, v170, v156
	v_pk_fma_f16 v157, v51, v49, v157
	v_pk_fma_f16 v158, v51, v171, v158
	v_pk_fma_f16 v51, v51, v50, v159
	v_pk_fma_f16 v159, v52, v168, v160
	v_pk_fma_f16 v47, v52, v47, v161
	v_pk_fma_f16 v160, v52, v169, v162
	v_pk_fma_f16 v48, v52, v48, v163
	v_pk_fma_f16 v161, v52, v170, v164
	v_pk_fma_f16 v49, v52, v49, v165
	v_pk_fma_f16 v162, v52, v171, v166
	v_pk_fma_f16 v50, v52, v50, v167
	v_mul_u32_u24_sdwa v52, v55, v43 dst_sel:DWORD dst_unused:UNUSED_PAD src0_sel:WORD_0 src1_sel:DWORD
	v_mul_u32_u24_sdwa v55, v55, v43 dst_sel:DWORD dst_unused:UNUSED_PAD src0_sel:WORD_1 src1_sel:DWORD
	v_mul_u32_u24_sdwa v163, v56, v43 dst_sel:DWORD dst_unused:UNUSED_PAD src0_sel:WORD_0 src1_sel:DWORD
	v_mul_u32_u24_sdwa v56, v56, v43 dst_sel:DWORD dst_unused:UNUSED_PAD src0_sel:WORD_1 src1_sel:DWORD
	v_mul_u32_u24_sdwa v164, v57, v43 dst_sel:DWORD dst_unused:UNUSED_PAD src0_sel:WORD_0 src1_sel:DWORD
	v_mul_u32_u24_sdwa v57, v57, v43 dst_sel:DWORD dst_unused:UNUSED_PAD src0_sel:WORD_1 src1_sel:DWORD
	v_mul_u32_u24_sdwa v165, v58, v43 dst_sel:DWORD dst_unused:UNUSED_PAD src0_sel:WORD_0 src1_sel:DWORD
	v_mul_u32_u24_sdwa v58, v58, v43 dst_sel:DWORD dst_unused:UNUSED_PAD src0_sel:WORD_1 src1_sel:DWORD
	v_pk_fma_f16 v152, v53, v52, v152
	v_pk_fma_f16 v153, v53, v55, v153
	v_pk_fma_f16 v154, v53, v163, v154
	v_pk_fma_f16 v155, v53, v56, v155
	v_pk_fma_f16 v156, v53, v164, v156
	v_pk_fma_f16 v157, v53, v57, v157
	v_pk_fma_f16 v158, v53, v165, v158
	v_pk_fma_f16 v51, v53, v58, v51
	v_pk_fma_f16 v52, v54, v52, v159
	v_pk_fma_f16 v47, v54, v55, v47
	v_pk_fma_f16 v53, v54, v163, v160
	v_pk_fma_f16 v48, v54, v56, v48
	v_pk_fma_f16 v55, v54, v164, v161
	v_pk_fma_f16 v49, v54, v57, v49
	v_pk_fma_f16 v56, v54, v165, v162
	v_pk_fma_f16 v50, v54, v58, v50
	v_mul_u32_u24_sdwa v54, v63, v43 dst_sel:DWORD dst_unused:UNUSED_PAD src0_sel:WORD_0 src1_sel:DWORD
	v_mul_u32_u24_sdwa v57, v63, v43 dst_sel:DWORD dst_unused:UNUSED_PAD src0_sel:WORD_1 src1_sel:DWORD
	v_mul_u32_u24_sdwa v58, v64, v43 dst_sel:DWORD dst_unused:UNUSED_PAD src0_sel:WORD_0 src1_sel:DWORD
	v_mul_u32_u24_sdwa v63, v64, v43 dst_sel:DWORD dst_unused:UNUSED_PAD src0_sel:WORD_1 src1_sel:DWORD
	v_mul_u32_u24_sdwa v64, v65, v43 dst_sel:DWORD dst_unused:UNUSED_PAD src0_sel:WORD_0 src1_sel:DWORD
	v_mul_u32_u24_sdwa v65, v65, v43 dst_sel:DWORD dst_unused:UNUSED_PAD src0_sel:WORD_1 src1_sel:DWORD
	v_mul_u32_u24_sdwa v159, v66, v43 dst_sel:DWORD dst_unused:UNUSED_PAD src0_sel:WORD_0 src1_sel:DWORD
	v_mul_u32_u24_sdwa v66, v66, v43 dst_sel:DWORD dst_unused:UNUSED_PAD src0_sel:WORD_1 src1_sel:DWORD
	;; [unrolled: 24-line block ×4, first 2 shown]
	v_pk_fma_f16 v64, v71, v56, v66
	v_pk_fma_f16 v65, v71, v57, v67
	;; [unrolled: 1-line block ×13, first 2 shown]
	v_mul_u32_u24_sdwa v57, v92, v43 dst_sel:DWORD dst_unused:UNUSED_PAD src0_sel:WORD_1 src1_sel:DWORD
	v_mul_u32_u24_sdwa v59, v93, v43 dst_sel:DWORD dst_unused:UNUSED_PAD src0_sel:WORD_1 src1_sel:DWORD
	;; [unrolled: 1-line block ×3, first 2 shown]
	v_mul_u32_u24_sdwa v62, v95, v43 dst_sel:DWORD dst_unused:UNUSED_PAD src0_sel:WORD_0 src1_sel:DWORD
	v_mul_u32_u24_sdwa v63, v95, v43 dst_sel:DWORD dst_unused:UNUSED_PAD src0_sel:WORD_1 src1_sel:DWORD
	v_pk_fma_f16 v52, v72, v56, v52
	v_pk_fma_f16 v53, v72, v58, v53
	v_pk_fma_f16 v54, v72, v60, v54
	v_mul_u32_u24_sdwa v56, v92, v43 dst_sel:DWORD dst_unused:UNUSED_PAD src0_sel:WORD_0 src1_sel:DWORD
	v_mul_u32_u24_sdwa v58, v93, v43 dst_sel:DWORD dst_unused:UNUSED_PAD src0_sel:WORD_0 src1_sel:DWORD
	v_mul_u32_u24_sdwa v60, v94, v43 dst_sel:DWORD dst_unused:UNUSED_PAD src0_sel:WORD_0 src1_sel:DWORD
	v_pk_fma_f16 v65, v73, v57, v65
	v_pk_fma_f16 v67, v73, v59, v67
	v_pk_fma_f16 v69, v73, v61, v69
	v_pk_fma_f16 v70, v73, v62, v70
	v_pk_fma_f16 v51, v73, v63, v51
	v_pk_fma_f16 v47, v74, v57, v47
	v_pk_fma_f16 v48, v74, v59, v48
	v_pk_fma_f16 v49, v74, v61, v49
	v_pk_fma_f16 v55, v74, v62, v55
	v_pk_fma_f16 v50, v74, v63, v50
	v_mul_u32_u24_sdwa v57, v100, v43 dst_sel:DWORD dst_unused:UNUSED_PAD src0_sel:WORD_1 src1_sel:DWORD
	v_mul_u32_u24_sdwa v59, v101, v43 dst_sel:DWORD dst_unused:UNUSED_PAD src0_sel:WORD_1 src1_sel:DWORD
	v_mul_u32_u24_sdwa v61, v102, v43 dst_sel:DWORD dst_unused:UNUSED_PAD src0_sel:WORD_1 src1_sel:DWORD
	v_mul_u32_u24_sdwa v62, v103, v43 dst_sel:DWORD dst_unused:UNUSED_PAD src0_sel:WORD_0 src1_sel:DWORD
	v_mul_u32_u24_sdwa v63, v103, v43 dst_sel:DWORD dst_unused:UNUSED_PAD src0_sel:WORD_1 src1_sel:DWORD
	v_pk_fma_f16 v64, v73, v56, v64
	v_pk_fma_f16 v66, v73, v58, v66
	v_pk_fma_f16 v68, v73, v60, v68
	v_pk_fma_f16 v52, v74, v56, v52
	v_pk_fma_f16 v53, v74, v58, v53
	v_pk_fma_f16 v54, v74, v60, v54
	v_mul_u32_u24_sdwa v56, v100, v43 dst_sel:DWORD dst_unused:UNUSED_PAD src0_sel:WORD_0 src1_sel:DWORD
	v_mul_u32_u24_sdwa v58, v101, v43 dst_sel:DWORD dst_unused:UNUSED_PAD src0_sel:WORD_0 src1_sel:DWORD
	v_mul_u32_u24_sdwa v60, v102, v43 dst_sel:DWORD dst_unused:UNUSED_PAD src0_sel:WORD_0 src1_sel:DWORD
	v_pk_fma_f16 v65, v96, v57, v65
	v_pk_fma_f16 v67, v96, v59, v67
	v_pk_fma_f16 v69, v96, v61, v69
	v_pk_fma_f16 v70, v96, v62, v70
	v_pk_fma_f16 v51, v96, v63, v51
	v_pk_fma_f16 v47, v97, v57, v47
	v_pk_fma_f16 v48, v97, v59, v48
	v_pk_fma_f16 v49, v97, v61, v49
	v_pk_fma_f16 v55, v97, v62, v55
	v_pk_fma_f16 v50, v97, v63, v50
	v_mul_u32_u24_sdwa v57, v104, v43 dst_sel:DWORD dst_unused:UNUSED_PAD src0_sel:WORD_1 src1_sel:DWORD
	v_mul_u32_u24_sdwa v59, v105, v43 dst_sel:DWORD dst_unused:UNUSED_PAD src0_sel:WORD_1 src1_sel:DWORD
	v_mul_u32_u24_sdwa v61, v106, v43 dst_sel:DWORD dst_unused:UNUSED_PAD src0_sel:WORD_1 src1_sel:DWORD
	v_mul_u32_u24_sdwa v62, v107, v43 dst_sel:DWORD dst_unused:UNUSED_PAD src0_sel:WORD_0 src1_sel:DWORD
	v_mul_u32_u24_sdwa v63, v107, v43 dst_sel:DWORD dst_unused:UNUSED_PAD src0_sel:WORD_1 src1_sel:DWORD
	v_pk_fma_f16 v64, v96, v56, v64
	v_pk_fma_f16 v66, v96, v58, v66
	v_pk_fma_f16 v68, v96, v60, v68
	;; [unrolled: 24-line block ×7, first 2 shown]
	v_pk_fma_f16 v52, v123, v56, v52
	v_pk_fma_f16 v53, v123, v58, v53
	;; [unrolled: 1-line block ×3, first 2 shown]
	v_mul_u32_u24_sdwa v56, v136, v43 dst_sel:DWORD dst_unused:UNUSED_PAD src0_sel:WORD_0 src1_sel:DWORD
	v_mul_u32_u24_sdwa v58, v137, v43 dst_sel:DWORD dst_unused:UNUSED_PAD src0_sel:WORD_0 src1_sel:DWORD
	;; [unrolled: 1-line block ×3, first 2 shown]
	v_pk_fma_f16 v65, v132, v57, v65
	v_pk_fma_f16 v67, v132, v59, v67
	;; [unrolled: 1-line block ×10, first 2 shown]
	v_mul_u32_u24_sdwa v90, v143, v43 dst_sel:DWORD dst_unused:UNUSED_PAD src0_sel:WORD_1 src1_sel:DWORD
	s_waitcnt lgkmcnt(0)
	s_barrier
	buffer_gl0_inv
	ds_read_b128 v[47:50], v36 offset:512
	v_pk_fma_f16 v64, v132, v56, v64
	v_pk_fma_f16 v66, v132, v58, v66
	;; [unrolled: 1-line block ×7, first 2 shown]
	ds_read2_b64 v[51:54], v39 offset1:32
	v_mul_u32_u24_sdwa v63, v140, v43 dst_sel:DWORD dst_unused:UNUSED_PAD src0_sel:WORD_0 src1_sel:DWORD
	v_mul_u32_u24_sdwa v71, v140, v43 dst_sel:DWORD dst_unused:UNUSED_PAD src0_sel:WORD_1 src1_sel:DWORD
	v_mul_u32_u24_sdwa v72, v141, v43 dst_sel:DWORD dst_unused:UNUSED_PAD src0_sel:WORD_0 src1_sel:DWORD
	v_mul_u32_u24_sdwa v73, v141, v43 dst_sel:DWORD dst_unused:UNUSED_PAD src0_sel:WORD_1 src1_sel:DWORD
	;; [unrolled: 2-line block ×3, first 2 shown]
	v_mul_u32_u24_sdwa v89, v143, v43 dst_sel:DWORD dst_unused:UNUSED_PAD src0_sel:WORD_0 src1_sel:DWORD
	v_pk_fma_f16 v91, v134, v63, v64
	v_pk_fma_f16 v92, v134, v71, v65
	;; [unrolled: 1-line block ×15, first 2 shown]
	ds_read_b128 v[55:58], v36 offset:528
	ds_read_b128 v[59:62], v36 offset:544
	;; [unrolled: 1-line block ×3, first 2 shown]
	s_waitcnt lgkmcnt(4)
	v_mul_u32_u24_sdwa v96, v47, v43 dst_sel:DWORD dst_unused:UNUSED_PAD src0_sel:WORD_0 src1_sel:DWORD
	v_mul_u32_u24_sdwa v47, v47, v43 dst_sel:DWORD dst_unused:UNUSED_PAD src0_sel:WORD_1 src1_sel:DWORD
	v_mul_u32_u24_sdwa v97, v48, v43 dst_sel:DWORD dst_unused:UNUSED_PAD src0_sel:WORD_0 src1_sel:DWORD
	v_mul_u32_u24_sdwa v48, v48, v43 dst_sel:DWORD dst_unused:UNUSED_PAD src0_sel:WORD_1 src1_sel:DWORD
	;; [unrolled: 2-line block ×4, first 2 shown]
	s_waitcnt lgkmcnt(3)
	v_pk_fma_f16 v91, v51, v96, v91
	v_pk_fma_f16 v92, v51, v47, v92
	;; [unrolled: 1-line block ×16, first 2 shown]
	ds_read2_b64 v[47:50], v39 offset0:64 offset1:96
	s_waitcnt lgkmcnt(3)
	v_mul_u32_u24_sdwa v90, v55, v43 dst_sel:DWORD dst_unused:UNUSED_PAD src0_sel:WORD_0 src1_sel:DWORD
	v_mul_u32_u24_sdwa v55, v55, v43 dst_sel:DWORD dst_unused:UNUSED_PAD src0_sel:WORD_1 src1_sel:DWORD
	v_mul_u32_u24_sdwa v95, v56, v43 dst_sel:DWORD dst_unused:UNUSED_PAD src0_sel:WORD_0 src1_sel:DWORD
	v_mul_u32_u24_sdwa v56, v56, v43 dst_sel:DWORD dst_unused:UNUSED_PAD src0_sel:WORD_1 src1_sel:DWORD
	;; [unrolled: 2-line block ×4, first 2 shown]
	v_pk_fma_f16 v91, v53, v90, v91
	v_pk_fma_f16 v92, v53, v55, v92
	;; [unrolled: 1-line block ×16, first 2 shown]
	s_waitcnt lgkmcnt(2)
	v_mul_u32_u24_sdwa v54, v59, v43 dst_sel:DWORD dst_unused:UNUSED_PAD src0_sel:WORD_0 src1_sel:DWORD
	v_mul_u32_u24_sdwa v58, v59, v43 dst_sel:DWORD dst_unused:UNUSED_PAD src0_sel:WORD_1 src1_sel:DWORD
	v_mul_u32_u24_sdwa v59, v60, v43 dst_sel:DWORD dst_unused:UNUSED_PAD src0_sel:WORD_0 src1_sel:DWORD
	v_mul_u32_u24_sdwa v60, v60, v43 dst_sel:DWORD dst_unused:UNUSED_PAD src0_sel:WORD_1 src1_sel:DWORD
	;; [unrolled: 2-line block ×4, first 2 shown]
	s_waitcnt lgkmcnt(0)
	v_pk_fma_f16 v89, v47, v54, v91
	v_pk_fma_f16 v90, v47, v58, v92
	;; [unrolled: 1-line block ×16, first 2 shown]
	v_mul_u32_u24_sdwa v62, v63, v43 dst_sel:DWORD dst_unused:UNUSED_PAD src0_sel:WORD_0 src1_sel:DWORD
	v_mul_u32_u24_sdwa v63, v63, v43 dst_sel:DWORD dst_unused:UNUSED_PAD src0_sel:WORD_1 src1_sel:DWORD
	v_mul_u32_u24_sdwa v73, v64, v43 dst_sel:DWORD dst_unused:UNUSED_PAD src0_sel:WORD_0 src1_sel:DWORD
	v_mul_u32_u24_sdwa v64, v64, v43 dst_sel:DWORD dst_unused:UNUSED_PAD src0_sel:WORD_1 src1_sel:DWORD
	;; [unrolled: 2-line block ×3, first 2 shown]
	v_mul_u32_u24_sdwa v88, v66, v43 dst_sel:DWORD dst_unused:UNUSED_PAD src0_sel:WORD_0 src1_sel:DWORD
	ds_read_b128 v[51:54], v36 offset:576
	v_mul_u32_u24_sdwa v66, v66, v43 dst_sel:DWORD dst_unused:UNUSED_PAD src0_sel:WORD_1 src1_sel:DWORD
	v_pk_fma_f16 v89, v49, v62, v89
	v_pk_fma_f16 v90, v49, v63, v90
	;; [unrolled: 1-line block ×6, first 2 shown]
	ds_read2_b64 v[55:58], v39 offset0:128 offset1:160
	v_pk_fma_f16 v70, v49, v88, v70
	v_pk_fma_f16 v94, v49, v66, v47
	;; [unrolled: 1-line block ×10, first 2 shown]
	ds_read_b128 v[47:50], v36 offset:592
	s_waitcnt lgkmcnt(2)
	v_mul_u32_u24_sdwa v71, v51, v43 dst_sel:DWORD dst_unused:UNUSED_PAD src0_sel:WORD_0 src1_sel:DWORD
	v_mul_u32_u24_sdwa v51, v51, v43 dst_sel:DWORD dst_unused:UNUSED_PAD src0_sel:WORD_1 src1_sel:DWORD
	v_mul_u32_u24_sdwa v72, v52, v43 dst_sel:DWORD dst_unused:UNUSED_PAD src0_sel:WORD_0 src1_sel:DWORD
	v_mul_u32_u24_sdwa v52, v52, v43 dst_sel:DWORD dst_unused:UNUSED_PAD src0_sel:WORD_1 src1_sel:DWORD
	;; [unrolled: 2-line block ×4, first 2 shown]
	s_waitcnt lgkmcnt(1)
	v_pk_fma_f16 v88, v55, v71, v89
	v_pk_fma_f16 v89, v55, v51, v90
	;; [unrolled: 1-line block ×16, first 2 shown]
	s_waitcnt lgkmcnt(0)
	v_mul_u32_u24_sdwa v66, v47, v43 dst_sel:DWORD dst_unused:UNUSED_PAD src0_sel:WORD_0 src1_sel:DWORD
	v_mul_u32_u24_sdwa v71, v47, v43 dst_sel:DWORD dst_unused:UNUSED_PAD src0_sel:WORD_1 src1_sel:DWORD
	v_mul_u32_u24_sdwa v72, v48, v43 dst_sel:DWORD dst_unused:UNUSED_PAD src0_sel:WORD_0 src1_sel:DWORD
	v_mul_u32_u24_sdwa v73, v48, v43 dst_sel:DWORD dst_unused:UNUSED_PAD src0_sel:WORD_1 src1_sel:DWORD
	;; [unrolled: 2-line block ×3, first 2 shown]
	v_mul_u32_u24_sdwa v92, v50, v43 dst_sel:DWORD dst_unused:UNUSED_PAD src0_sel:WORD_0 src1_sel:DWORD
	ds_read_b128 v[51:54], v36 offset:608
	v_mul_u32_u24_sdwa v93, v50, v43 dst_sel:DWORD dst_unused:UNUSED_PAD src0_sel:WORD_1 src1_sel:DWORD
	v_pk_fma_f16 v88, v57, v66, v88
	v_pk_fma_f16 v89, v57, v71, v89
	;; [unrolled: 1-line block ×6, first 2 shown]
	ds_read2_b64 v[47:50], v39 offset0:192 offset1:224
	v_pk_fma_f16 v70, v57, v92, v70
	v_pk_fma_f16 v94, v57, v93, v55
	;; [unrolled: 1-line block ×10, first 2 shown]
	ds_read_b128 v[55:58], v36 offset:624
	s_waitcnt lgkmcnt(2)
	v_mul_u32_u24_sdwa v71, v51, v43 dst_sel:DWORD dst_unused:UNUSED_PAD src0_sel:WORD_0 src1_sel:DWORD
	v_mul_u32_u24_sdwa v51, v51, v43 dst_sel:DWORD dst_unused:UNUSED_PAD src0_sel:WORD_1 src1_sel:DWORD
	v_mul_u32_u24_sdwa v72, v52, v43 dst_sel:DWORD dst_unused:UNUSED_PAD src0_sel:WORD_0 src1_sel:DWORD
	v_mul_u32_u24_sdwa v52, v52, v43 dst_sel:DWORD dst_unused:UNUSED_PAD src0_sel:WORD_1 src1_sel:DWORD
	;; [unrolled: 2-line block ×4, first 2 shown]
	s_waitcnt lgkmcnt(1)
	v_pk_fma_f16 v88, v47, v71, v88
	v_pk_fma_f16 v89, v47, v51, v89
	;; [unrolled: 1-line block ×16, first 2 shown]
	s_waitcnt lgkmcnt(0)
	v_mul_u32_u24_sdwa v66, v55, v43 dst_sel:DWORD dst_unused:UNUSED_PAD src0_sel:WORD_0 src1_sel:DWORD
	v_mul_u32_u24_sdwa v71, v55, v43 dst_sel:DWORD dst_unused:UNUSED_PAD src0_sel:WORD_1 src1_sel:DWORD
	v_mul_u32_u24_sdwa v72, v56, v43 dst_sel:DWORD dst_unused:UNUSED_PAD src0_sel:WORD_0 src1_sel:DWORD
	v_mul_u32_u24_sdwa v73, v56, v43 dst_sel:DWORD dst_unused:UNUSED_PAD src0_sel:WORD_1 src1_sel:DWORD
	;; [unrolled: 2-line block ×3, first 2 shown]
	v_mul_u32_u24_sdwa v92, v58, v43 dst_sel:DWORD dst_unused:UNUSED_PAD src0_sel:WORD_0 src1_sel:DWORD
	ds_read_b128 v[51:54], v36 offset:640
	v_mul_u32_u24_sdwa v93, v58, v43 dst_sel:DWORD dst_unused:UNUSED_PAD src0_sel:WORD_1 src1_sel:DWORD
	v_pk_fma_f16 v88, v49, v66, v88
	v_pk_fma_f16 v89, v49, v71, v89
	;; [unrolled: 1-line block ×6, first 2 shown]
	ds_read2_b64 v[55:58], v45 offset1:32
	v_pk_fma_f16 v70, v49, v92, v70
	v_pk_fma_f16 v94, v49, v93, v47
	v_pk_fma_f16 v62, v50, v66, v62
	v_pk_fma_f16 v63, v50, v71, v63
	v_pk_fma_f16 v59, v50, v72, v59
	v_pk_fma_f16 v60, v50, v73, v60
	v_pk_fma_f16 v64, v50, v74, v64
	v_pk_fma_f16 v61, v50, v91, v61
	v_pk_fma_f16 v65, v50, v92, v65
	v_pk_fma_f16 v66, v50, v93, v48
	ds_read_b128 v[47:50], v36 offset:656
	s_waitcnt lgkmcnt(2)
	v_mul_u32_u24_sdwa v71, v51, v43 dst_sel:DWORD dst_unused:UNUSED_PAD src0_sel:WORD_0 src1_sel:DWORD
	v_mul_u32_u24_sdwa v51, v51, v43 dst_sel:DWORD dst_unused:UNUSED_PAD src0_sel:WORD_1 src1_sel:DWORD
	v_mul_u32_u24_sdwa v72, v52, v43 dst_sel:DWORD dst_unused:UNUSED_PAD src0_sel:WORD_0 src1_sel:DWORD
	v_mul_u32_u24_sdwa v52, v52, v43 dst_sel:DWORD dst_unused:UNUSED_PAD src0_sel:WORD_1 src1_sel:DWORD
	v_mul_u32_u24_sdwa v73, v53, v43 dst_sel:DWORD dst_unused:UNUSED_PAD src0_sel:WORD_0 src1_sel:DWORD
	v_mul_u32_u24_sdwa v53, v53, v43 dst_sel:DWORD dst_unused:UNUSED_PAD src0_sel:WORD_1 src1_sel:DWORD
	v_mul_u32_u24_sdwa v74, v54, v43 dst_sel:DWORD dst_unused:UNUSED_PAD src0_sel:WORD_0 src1_sel:DWORD
	v_mul_u32_u24_sdwa v54, v54, v43 dst_sel:DWORD dst_unused:UNUSED_PAD src0_sel:WORD_1 src1_sel:DWORD
	s_waitcnt lgkmcnt(1)
	v_pk_fma_f16 v88, v55, v71, v88
	v_pk_fma_f16 v89, v55, v51, v89
	v_pk_fma_f16 v90, v55, v72, v90
	v_pk_fma_f16 v67, v55, v52, v67
	v_pk_fma_f16 v68, v55, v73, v68
	v_pk_fma_f16 v69, v55, v53, v69
	v_pk_fma_f16 v70, v55, v74, v70
	v_pk_fma_f16 v55, v55, v54, v94
	v_pk_fma_f16 v62, v56, v71, v62
	v_pk_fma_f16 v63, v56, v51, v63
	v_pk_fma_f16 v59, v56, v72, v59
	v_pk_fma_f16 v60, v56, v52, v60
	v_pk_fma_f16 v64, v56, v73, v64
	v_pk_fma_f16 v61, v56, v53, v61
	v_pk_fma_f16 v65, v56, v74, v65
	v_pk_fma_f16 v56, v56, v54, v66
	s_waitcnt lgkmcnt(0)
	v_mul_u32_u24_sdwa v66, v47, v43 dst_sel:DWORD dst_unused:UNUSED_PAD src0_sel:WORD_0 src1_sel:DWORD
	v_mul_u32_u24_sdwa v71, v47, v43 dst_sel:DWORD dst_unused:UNUSED_PAD src0_sel:WORD_1 src1_sel:DWORD
	v_mul_u32_u24_sdwa v72, v48, v43 dst_sel:DWORD dst_unused:UNUSED_PAD src0_sel:WORD_0 src1_sel:DWORD
	v_mul_u32_u24_sdwa v73, v48, v43 dst_sel:DWORD dst_unused:UNUSED_PAD src0_sel:WORD_1 src1_sel:DWORD
	v_mul_u32_u24_sdwa v74, v49, v43 dst_sel:DWORD dst_unused:UNUSED_PAD src0_sel:WORD_0 src1_sel:DWORD
	v_mul_u32_u24_sdwa v91, v49, v43 dst_sel:DWORD dst_unused:UNUSED_PAD src0_sel:WORD_1 src1_sel:DWORD
	v_mul_u32_u24_sdwa v92, v50, v43 dst_sel:DWORD dst_unused:UNUSED_PAD src0_sel:WORD_0 src1_sel:DWORD
	ds_read_b128 v[51:54], v36 offset:672
	v_mul_u32_u24_sdwa v93, v50, v43 dst_sel:DWORD dst_unused:UNUSED_PAD src0_sel:WORD_1 src1_sel:DWORD
	v_pk_fma_f16 v88, v57, v66, v88
	v_pk_fma_f16 v89, v57, v71, v89
	v_pk_fma_f16 v90, v57, v72, v90
	v_pk_fma_f16 v67, v57, v73, v67
	v_pk_fma_f16 v68, v57, v74, v68
	v_pk_fma_f16 v69, v57, v91, v69
	ds_read2_b64 v[47:50], v45 offset0:64 offset1:96
	v_pk_fma_f16 v70, v57, v92, v70
	v_pk_fma_f16 v94, v57, v93, v55
	v_pk_fma_f16 v62, v58, v66, v62
	v_pk_fma_f16 v63, v58, v71, v63
	v_pk_fma_f16 v59, v58, v72, v59
	v_pk_fma_f16 v60, v58, v73, v60
	v_pk_fma_f16 v64, v58, v74, v64
	v_pk_fma_f16 v61, v58, v91, v61
	v_pk_fma_f16 v65, v58, v92, v65
	v_pk_fma_f16 v66, v58, v93, v56
	ds_read_b128 v[55:58], v36 offset:688
	s_waitcnt lgkmcnt(2)
	v_mul_u32_u24_sdwa v71, v51, v43 dst_sel:DWORD dst_unused:UNUSED_PAD src0_sel:WORD_0 src1_sel:DWORD
	v_mul_u32_u24_sdwa v51, v51, v43 dst_sel:DWORD dst_unused:UNUSED_PAD src0_sel:WORD_1 src1_sel:DWORD
	v_mul_u32_u24_sdwa v72, v52, v43 dst_sel:DWORD dst_unused:UNUSED_PAD src0_sel:WORD_0 src1_sel:DWORD
	v_mul_u32_u24_sdwa v52, v52, v43 dst_sel:DWORD dst_unused:UNUSED_PAD src0_sel:WORD_1 src1_sel:DWORD
	v_mul_u32_u24_sdwa v73, v53, v43 dst_sel:DWORD dst_unused:UNUSED_PAD src0_sel:WORD_0 src1_sel:DWORD
	v_mul_u32_u24_sdwa v53, v53, v43 dst_sel:DWORD dst_unused:UNUSED_PAD src0_sel:WORD_1 src1_sel:DWORD
	v_mul_u32_u24_sdwa v74, v54, v43 dst_sel:DWORD dst_unused:UNUSED_PAD src0_sel:WORD_0 src1_sel:DWORD
	v_mul_u32_u24_sdwa v54, v54, v43 dst_sel:DWORD dst_unused:UNUSED_PAD src0_sel:WORD_1 src1_sel:DWORD
	s_waitcnt lgkmcnt(1)
	v_pk_fma_f16 v88, v47, v71, v88
	v_pk_fma_f16 v89, v47, v51, v89
	v_pk_fma_f16 v90, v47, v72, v90
	v_pk_fma_f16 v67, v47, v52, v67
	v_pk_fma_f16 v68, v47, v73, v68
	v_pk_fma_f16 v69, v47, v53, v69
	v_pk_fma_f16 v70, v47, v74, v70
	v_pk_fma_f16 v47, v47, v54, v94
	v_pk_fma_f16 v62, v48, v71, v62
	v_pk_fma_f16 v63, v48, v51, v63
	v_pk_fma_f16 v59, v48, v72, v59
	v_pk_fma_f16 v60, v48, v52, v60
	v_pk_fma_f16 v64, v48, v73, v64
	v_pk_fma_f16 v61, v48, v53, v61
	v_pk_fma_f16 v65, v48, v74, v65
	v_pk_fma_f16 v48, v48, v54, v66
	s_waitcnt lgkmcnt(0)
	v_mul_u32_u24_sdwa v66, v55, v43 dst_sel:DWORD dst_unused:UNUSED_PAD src0_sel:WORD_0 src1_sel:DWORD
	v_mul_u32_u24_sdwa v71, v55, v43 dst_sel:DWORD dst_unused:UNUSED_PAD src0_sel:WORD_1 src1_sel:DWORD
	v_mul_u32_u24_sdwa v72, v56, v43 dst_sel:DWORD dst_unused:UNUSED_PAD src0_sel:WORD_0 src1_sel:DWORD
	v_mul_u32_u24_sdwa v73, v56, v43 dst_sel:DWORD dst_unused:UNUSED_PAD src0_sel:WORD_1 src1_sel:DWORD
	v_mul_u32_u24_sdwa v74, v57, v43 dst_sel:DWORD dst_unused:UNUSED_PAD src0_sel:WORD_0 src1_sel:DWORD
	v_mul_u32_u24_sdwa v91, v57, v43 dst_sel:DWORD dst_unused:UNUSED_PAD src0_sel:WORD_1 src1_sel:DWORD
	v_mul_u32_u24_sdwa v92, v58, v43 dst_sel:DWORD dst_unused:UNUSED_PAD src0_sel:WORD_0 src1_sel:DWORD
	ds_read_b128 v[51:54], v36 offset:704
	v_mul_u32_u24_sdwa v93, v58, v43 dst_sel:DWORD dst_unused:UNUSED_PAD src0_sel:WORD_1 src1_sel:DWORD
	v_pk_fma_f16 v88, v49, v66, v88
	v_pk_fma_f16 v89, v49, v71, v89
	v_pk_fma_f16 v90, v49, v72, v90
	v_pk_fma_f16 v67, v49, v73, v67
	v_pk_fma_f16 v68, v49, v74, v68
	v_pk_fma_f16 v69, v49, v91, v69
	ds_read2_b64 v[55:58], v45 offset0:128 offset1:160
	;; [unrolled: 54-line block ×3, first 2 shown]
	v_pk_fma_f16 v45, v57, v92, v70
	v_pk_fma_f16 v70, v57, v93, v55
	;; [unrolled: 1-line block ×10, first 2 shown]
	ds_read_b128 v[55:58], v36 offset:752
	s_waitcnt lgkmcnt(2)
	v_mul_u32_u24_sdwa v71, v51, v43 dst_sel:DWORD dst_unused:UNUSED_PAD src0_sel:WORD_0 src1_sel:DWORD
	v_mul_u32_u24_sdwa v51, v51, v43 dst_sel:DWORD dst_unused:UNUSED_PAD src0_sel:WORD_1 src1_sel:DWORD
	v_mul_u32_u24_sdwa v72, v52, v43 dst_sel:DWORD dst_unused:UNUSED_PAD src0_sel:WORD_0 src1_sel:DWORD
	v_mul_u32_u24_sdwa v52, v52, v43 dst_sel:DWORD dst_unused:UNUSED_PAD src0_sel:WORD_1 src1_sel:DWORD
	;; [unrolled: 2-line block ×4, first 2 shown]
	s_waitcnt lgkmcnt(1)
	v_pk_fma_f16 v88, v47, v71, v88
	v_pk_fma_f16 v89, v47, v51, v89
	;; [unrolled: 1-line block ×16, first 2 shown]
	s_waitcnt lgkmcnt(0)
	v_mul_u32_u24_sdwa v66, v55, v43 dst_sel:DWORD dst_unused:UNUSED_PAD src0_sel:WORD_0 src1_sel:DWORD
	v_mul_u32_u24_sdwa v70, v55, v43 dst_sel:DWORD dst_unused:UNUSED_PAD src0_sel:WORD_1 src1_sel:DWORD
	v_mul_u32_u24_sdwa v71, v56, v43 dst_sel:DWORD dst_unused:UNUSED_PAD src0_sel:WORD_0 src1_sel:DWORD
	v_mul_u32_u24_sdwa v72, v56, v43 dst_sel:DWORD dst_unused:UNUSED_PAD src0_sel:WORD_1 src1_sel:DWORD
	;; [unrolled: 2-line block ×3, first 2 shown]
	v_mul_u32_u24_sdwa v91, v58, v43 dst_sel:DWORD dst_unused:UNUSED_PAD src0_sel:WORD_0 src1_sel:DWORD
	ds_read_b128 v[51:54], v36 offset:768
	v_mul_u32_u24_sdwa v92, v58, v43 dst_sel:DWORD dst_unused:UNUSED_PAD src0_sel:WORD_1 src1_sel:DWORD
	v_pk_fma_f16 v88, v49, v66, v88
	v_pk_fma_f16 v89, v49, v70, v89
	;; [unrolled: 1-line block ×6, first 2 shown]
	ds_read2_b64 v[55:58], v46 offset1:32
	v_pk_fma_f16 v45, v49, v91, v45
	v_pk_fma_f16 v93, v49, v92, v47
	v_pk_fma_f16 v62, v50, v66, v62
	v_pk_fma_f16 v63, v50, v70, v63
	v_pk_fma_f16 v59, v50, v71, v59
	v_pk_fma_f16 v60, v50, v72, v60
	v_pk_fma_f16 v64, v50, v73, v64
	v_pk_fma_f16 v61, v50, v74, v61
	v_pk_fma_f16 v65, v50, v91, v65
	v_pk_fma_f16 v66, v50, v92, v48
	ds_read_b128 v[47:50], v36 offset:784
	s_waitcnt lgkmcnt(2)
	v_mul_u32_u24_sdwa v70, v51, v43 dst_sel:DWORD dst_unused:UNUSED_PAD src0_sel:WORD_0 src1_sel:DWORD
	v_mul_u32_u24_sdwa v51, v51, v43 dst_sel:DWORD dst_unused:UNUSED_PAD src0_sel:WORD_1 src1_sel:DWORD
	v_mul_u32_u24_sdwa v71, v52, v43 dst_sel:DWORD dst_unused:UNUSED_PAD src0_sel:WORD_0 src1_sel:DWORD
	v_mul_u32_u24_sdwa v52, v52, v43 dst_sel:DWORD dst_unused:UNUSED_PAD src0_sel:WORD_1 src1_sel:DWORD
	v_mul_u32_u24_sdwa v72, v53, v43 dst_sel:DWORD dst_unused:UNUSED_PAD src0_sel:WORD_0 src1_sel:DWORD
	v_mul_u32_u24_sdwa v53, v53, v43 dst_sel:DWORD dst_unused:UNUSED_PAD src0_sel:WORD_1 src1_sel:DWORD
	v_mul_u32_u24_sdwa v73, v54, v43 dst_sel:DWORD dst_unused:UNUSED_PAD src0_sel:WORD_0 src1_sel:DWORD
	v_mul_u32_u24_sdwa v54, v54, v43 dst_sel:DWORD dst_unused:UNUSED_PAD src0_sel:WORD_1 src1_sel:DWORD
	s_waitcnt lgkmcnt(1)
	v_pk_fma_f16 v74, v55, v70, v88
	v_pk_fma_f16 v88, v55, v51, v89
	v_pk_fma_f16 v89, v55, v71, v90
	v_pk_fma_f16 v67, v55, v52, v67
	v_pk_fma_f16 v68, v55, v72, v68
	v_pk_fma_f16 v69, v55, v53, v69
	v_pk_fma_f16 v45, v55, v73, v45
	v_pk_fma_f16 v55, v55, v54, v93
	v_pk_fma_f16 v62, v56, v70, v62
	v_pk_fma_f16 v63, v56, v51, v63
	v_pk_fma_f16 v59, v56, v71, v59
	v_pk_fma_f16 v60, v56, v52, v60
	v_pk_fma_f16 v64, v56, v72, v64
	v_pk_fma_f16 v61, v56, v53, v61
	v_pk_fma_f16 v65, v56, v73, v65
	v_pk_fma_f16 v56, v56, v54, v66
	s_waitcnt lgkmcnt(0)
	v_mul_u32_u24_sdwa v66, v47, v43 dst_sel:DWORD dst_unused:UNUSED_PAD src0_sel:WORD_0 src1_sel:DWORD
	v_mul_u32_u24_sdwa v70, v47, v43 dst_sel:DWORD dst_unused:UNUSED_PAD src0_sel:WORD_1 src1_sel:DWORD
	v_mul_u32_u24_sdwa v71, v48, v43 dst_sel:DWORD dst_unused:UNUSED_PAD src0_sel:WORD_0 src1_sel:DWORD
	v_mul_u32_u24_sdwa v72, v48, v43 dst_sel:DWORD dst_unused:UNUSED_PAD src0_sel:WORD_1 src1_sel:DWORD
	v_mul_u32_u24_sdwa v73, v49, v43 dst_sel:DWORD dst_unused:UNUSED_PAD src0_sel:WORD_0 src1_sel:DWORD
	v_mul_u32_u24_sdwa v90, v49, v43 dst_sel:DWORD dst_unused:UNUSED_PAD src0_sel:WORD_1 src1_sel:DWORD
	v_mul_u32_u24_sdwa v91, v50, v43 dst_sel:DWORD dst_unused:UNUSED_PAD src0_sel:WORD_0 src1_sel:DWORD
	ds_read_b128 v[51:54], v36 offset:800
	v_mul_u32_u24_sdwa v92, v50, v43 dst_sel:DWORD dst_unused:UNUSED_PAD src0_sel:WORD_1 src1_sel:DWORD
	v_pk_fma_f16 v74, v57, v66, v74
	v_pk_fma_f16 v88, v57, v70, v88
	v_pk_fma_f16 v89, v57, v71, v89
	v_pk_fma_f16 v67, v57, v72, v67
	v_pk_fma_f16 v68, v57, v73, v68
	v_pk_fma_f16 v69, v57, v90, v69
	ds_read2_b64 v[47:50], v46 offset0:64 offset1:96
	v_pk_fma_f16 v45, v57, v91, v45
	v_pk_fma_f16 v93, v57, v92, v55
	v_pk_fma_f16 v62, v58, v66, v62
	v_pk_fma_f16 v63, v58, v70, v63
	v_pk_fma_f16 v59, v58, v71, v59
	v_pk_fma_f16 v60, v58, v72, v60
	v_pk_fma_f16 v64, v58, v73, v64
	v_pk_fma_f16 v61, v58, v90, v61
	v_pk_fma_f16 v65, v58, v91, v65
	v_pk_fma_f16 v66, v58, v92, v56
	ds_read_b128 v[55:58], v36 offset:816
	s_waitcnt lgkmcnt(2)
	v_mul_u32_u24_sdwa v70, v51, v43 dst_sel:DWORD dst_unused:UNUSED_PAD src0_sel:WORD_0 src1_sel:DWORD
	v_mul_u32_u24_sdwa v51, v51, v43 dst_sel:DWORD dst_unused:UNUSED_PAD src0_sel:WORD_1 src1_sel:DWORD
	v_mul_u32_u24_sdwa v71, v52, v43 dst_sel:DWORD dst_unused:UNUSED_PAD src0_sel:WORD_0 src1_sel:DWORD
	v_mul_u32_u24_sdwa v52, v52, v43 dst_sel:DWORD dst_unused:UNUSED_PAD src0_sel:WORD_1 src1_sel:DWORD
	v_mul_u32_u24_sdwa v72, v53, v43 dst_sel:DWORD dst_unused:UNUSED_PAD src0_sel:WORD_0 src1_sel:DWORD
	v_mul_u32_u24_sdwa v53, v53, v43 dst_sel:DWORD dst_unused:UNUSED_PAD src0_sel:WORD_1 src1_sel:DWORD
	v_mul_u32_u24_sdwa v73, v54, v43 dst_sel:DWORD dst_unused:UNUSED_PAD src0_sel:WORD_0 src1_sel:DWORD
	v_mul_u32_u24_sdwa v54, v54, v43 dst_sel:DWORD dst_unused:UNUSED_PAD src0_sel:WORD_1 src1_sel:DWORD
	s_waitcnt lgkmcnt(1)
	v_pk_fma_f16 v74, v47, v70, v74
	v_pk_fma_f16 v88, v47, v51, v88
	v_pk_fma_f16 v89, v47, v71, v89
	v_pk_fma_f16 v67, v47, v52, v67
	v_pk_fma_f16 v68, v47, v72, v68
	v_pk_fma_f16 v69, v47, v53, v69
	v_pk_fma_f16 v45, v47, v73, v45
	v_pk_fma_f16 v47, v47, v54, v93
	v_pk_fma_f16 v62, v48, v70, v62
	v_pk_fma_f16 v63, v48, v51, v63
	v_pk_fma_f16 v59, v48, v71, v59
	v_pk_fma_f16 v60, v48, v52, v60
	v_pk_fma_f16 v64, v48, v72, v64
	v_pk_fma_f16 v61, v48, v53, v61
	v_pk_fma_f16 v65, v48, v73, v65
	v_pk_fma_f16 v48, v48, v54, v66
	s_waitcnt lgkmcnt(0)
	v_mul_u32_u24_sdwa v66, v55, v43 dst_sel:DWORD dst_unused:UNUSED_PAD src0_sel:WORD_0 src1_sel:DWORD
	v_mul_u32_u24_sdwa v70, v55, v43 dst_sel:DWORD dst_unused:UNUSED_PAD src0_sel:WORD_1 src1_sel:DWORD
	v_mul_u32_u24_sdwa v71, v56, v43 dst_sel:DWORD dst_unused:UNUSED_PAD src0_sel:WORD_0 src1_sel:DWORD
	v_mul_u32_u24_sdwa v72, v56, v43 dst_sel:DWORD dst_unused:UNUSED_PAD src0_sel:WORD_1 src1_sel:DWORD
	v_mul_u32_u24_sdwa v73, v57, v43 dst_sel:DWORD dst_unused:UNUSED_PAD src0_sel:WORD_0 src1_sel:DWORD
	v_mul_u32_u24_sdwa v90, v57, v43 dst_sel:DWORD dst_unused:UNUSED_PAD src0_sel:WORD_1 src1_sel:DWORD
	v_mul_u32_u24_sdwa v91, v58, v43 dst_sel:DWORD dst_unused:UNUSED_PAD src0_sel:WORD_0 src1_sel:DWORD
	ds_read_b128 v[51:54], v36 offset:832
	v_mul_u32_u24_sdwa v92, v58, v43 dst_sel:DWORD dst_unused:UNUSED_PAD src0_sel:WORD_1 src1_sel:DWORD
	v_pk_fma_f16 v74, v49, v66, v74
	v_pk_fma_f16 v88, v49, v70, v88
	v_pk_fma_f16 v89, v49, v71, v89
	v_pk_fma_f16 v67, v49, v72, v67
	v_pk_fma_f16 v68, v49, v73, v68
	v_pk_fma_f16 v69, v49, v90, v69
	ds_read2_b64 v[55:58], v46 offset0:128 offset1:160
	v_pk_fma_f16 v45, v49, v91, v45
	v_pk_fma_f16 v93, v49, v92, v47
	v_pk_fma_f16 v62, v50, v66, v62
	v_pk_fma_f16 v63, v50, v70, v63
	v_pk_fma_f16 v59, v50, v71, v59
	v_pk_fma_f16 v60, v50, v72, v60
	v_pk_fma_f16 v64, v50, v73, v64
	v_pk_fma_f16 v61, v50, v90, v61
	v_pk_fma_f16 v65, v50, v91, v65
	v_pk_fma_f16 v66, v50, v92, v48
	ds_read_b128 v[47:50], v36 offset:848
	s_waitcnt lgkmcnt(2)
	v_mul_u32_u24_sdwa v70, v51, v43 dst_sel:DWORD dst_unused:UNUSED_PAD src0_sel:WORD_0 src1_sel:DWORD
	v_mul_u32_u24_sdwa v51, v51, v43 dst_sel:DWORD dst_unused:UNUSED_PAD src0_sel:WORD_1 src1_sel:DWORD
	v_mul_u32_u24_sdwa v71, v52, v43 dst_sel:DWORD dst_unused:UNUSED_PAD src0_sel:WORD_0 src1_sel:DWORD
	v_mul_u32_u24_sdwa v52, v52, v43 dst_sel:DWORD dst_unused:UNUSED_PAD src0_sel:WORD_1 src1_sel:DWORD
	v_mul_u32_u24_sdwa v72, v53, v43 dst_sel:DWORD dst_unused:UNUSED_PAD src0_sel:WORD_0 src1_sel:DWORD
	v_mul_u32_u24_sdwa v53, v53, v43 dst_sel:DWORD dst_unused:UNUSED_PAD src0_sel:WORD_1 src1_sel:DWORD
	v_mul_u32_u24_sdwa v73, v54, v43 dst_sel:DWORD dst_unused:UNUSED_PAD src0_sel:WORD_0 src1_sel:DWORD
	v_mul_u32_u24_sdwa v54, v54, v43 dst_sel:DWORD dst_unused:UNUSED_PAD src0_sel:WORD_1 src1_sel:DWORD
	s_waitcnt lgkmcnt(1)
	v_pk_fma_f16 v74, v55, v70, v74
	v_pk_fma_f16 v88, v55, v51, v88
	v_pk_fma_f16 v89, v55, v71, v89
	v_pk_fma_f16 v67, v55, v52, v67
	v_pk_fma_f16 v68, v55, v72, v68
	v_pk_fma_f16 v69, v55, v53, v69
	v_pk_fma_f16 v90, v55, v73, v45
	v_pk_fma_f16 v55, v55, v54, v93
	v_pk_fma_f16 v62, v56, v70, v62
	v_pk_fma_f16 v63, v56, v51, v63
	v_pk_fma_f16 v59, v56, v71, v59
	v_pk_fma_f16 v60, v56, v52, v60
	v_pk_fma_f16 v64, v56, v72, v64
	v_pk_fma_f16 v61, v56, v53, v61
	v_pk_fma_f16 v65, v56, v73, v65
	v_pk_fma_f16 v56, v56, v54, v66
	s_waitcnt lgkmcnt(0)
	v_mul_u32_u24_sdwa v66, v47, v43 dst_sel:DWORD dst_unused:UNUSED_PAD src0_sel:WORD_0 src1_sel:DWORD
	v_mul_u32_u24_sdwa v70, v47, v43 dst_sel:DWORD dst_unused:UNUSED_PAD src0_sel:WORD_1 src1_sel:DWORD
	v_mul_u32_u24_sdwa v71, v48, v43 dst_sel:DWORD dst_unused:UNUSED_PAD src0_sel:WORD_0 src1_sel:DWORD
	v_mul_u32_u24_sdwa v72, v48, v43 dst_sel:DWORD dst_unused:UNUSED_PAD src0_sel:WORD_1 src1_sel:DWORD
	v_mul_u32_u24_sdwa v73, v49, v43 dst_sel:DWORD dst_unused:UNUSED_PAD src0_sel:WORD_0 src1_sel:DWORD
	v_mul_u32_u24_sdwa v49, v49, v43 dst_sel:DWORD dst_unused:UNUSED_PAD src0_sel:WORD_1 src1_sel:DWORD
	v_mul_u32_u24_sdwa v91, v50, v43 dst_sel:DWORD dst_unused:UNUSED_PAD src0_sel:WORD_0 src1_sel:DWORD
	ds_read_b128 v[51:54], v36 offset:864
	v_mul_u32_u24_sdwa v50, v50, v43 dst_sel:DWORD dst_unused:UNUSED_PAD src0_sel:WORD_1 src1_sel:DWORD
	v_pk_fma_f16 v74, v57, v66, v74
	v_pk_fma_f16 v88, v57, v70, v88
	v_pk_fma_f16 v89, v57, v71, v89
	v_pk_fma_f16 v67, v57, v72, v67
	v_pk_fma_f16 v68, v57, v73, v68
	v_pk_fma_f16 v69, v57, v49, v69
	ds_read2_b64 v[45:48], v46 offset0:192 offset1:224
	v_pk_fma_f16 v90, v57, v91, v90
	v_pk_fma_f16 v92, v57, v50, v55
	;; [unrolled: 1-line block ×10, first 2 shown]
	ds_read_b128 v[55:58], v36 offset:880
	s_waitcnt lgkmcnt(2)
	v_mul_u32_u24_sdwa v65, v51, v43 dst_sel:DWORD dst_unused:UNUSED_PAD src0_sel:WORD_0 src1_sel:DWORD
	v_mul_u32_u24_sdwa v51, v51, v43 dst_sel:DWORD dst_unused:UNUSED_PAD src0_sel:WORD_1 src1_sel:DWORD
	v_mul_u32_u24_sdwa v66, v52, v43 dst_sel:DWORD dst_unused:UNUSED_PAD src0_sel:WORD_0 src1_sel:DWORD
	v_mul_u32_u24_sdwa v52, v52, v43 dst_sel:DWORD dst_unused:UNUSED_PAD src0_sel:WORD_1 src1_sel:DWORD
	;; [unrolled: 2-line block ×4, first 2 shown]
	s_waitcnt lgkmcnt(1)
	v_pk_fma_f16 v72, v45, v65, v74
	v_pk_fma_f16 v73, v45, v51, v88
	;; [unrolled: 1-line block ×16, first 2 shown]
	s_waitcnt lgkmcnt(0)
	v_mul_u32_u24_sdwa v66, v55, v43 dst_sel:DWORD dst_unused:UNUSED_PAD src0_sel:WORD_0 src1_sel:DWORD
	v_mul_u32_u24_sdwa v70, v55, v43 dst_sel:DWORD dst_unused:UNUSED_PAD src0_sel:WORD_1 src1_sel:DWORD
	v_mul_u32_u24_sdwa v71, v56, v43 dst_sel:DWORD dst_unused:UNUSED_PAD src0_sel:WORD_0 src1_sel:DWORD
	v_mul_u32_u24_sdwa v89, v56, v43 dst_sel:DWORD dst_unused:UNUSED_PAD src0_sel:WORD_1 src1_sel:DWORD
	;; [unrolled: 2-line block ×3, first 2 shown]
	v_mul_u32_u24_sdwa v91, v58, v43 dst_sel:DWORD dst_unused:UNUSED_PAD src0_sel:WORD_0 src1_sel:DWORD
	ds_read_b128 v[49:52], v36 offset:896
	v_mul_u32_u24_sdwa v58, v58, v43 dst_sel:DWORD dst_unused:UNUSED_PAD src0_sel:WORD_1 src1_sel:DWORD
	v_pk_fma_f16 v72, v47, v66, v72
	v_pk_fma_f16 v73, v47, v70, v73
	;; [unrolled: 1-line block ×6, first 2 shown]
	ds_read2_b64 v[53:56], v44 offset1:32
	v_pk_fma_f16 v88, v47, v91, v88
	v_pk_fma_f16 v92, v47, v58, v45
	v_pk_fma_f16 v62, v48, v66, v62
	v_pk_fma_f16 v63, v48, v70, v63
	v_pk_fma_f16 v59, v48, v71, v59
	v_pk_fma_f16 v60, v48, v89, v60
	v_pk_fma_f16 v64, v48, v90, v64
	v_pk_fma_f16 v57, v48, v57, v65
	v_pk_fma_f16 v61, v48, v91, v61
	v_pk_fma_f16 v58, v48, v58, v46
	ds_read_b128 v[45:48], v36 offset:912
	s_waitcnt lgkmcnt(2)
	v_mul_u32_u24_sdwa v65, v49, v43 dst_sel:DWORD dst_unused:UNUSED_PAD src0_sel:WORD_0 src1_sel:DWORD
	v_mul_u32_u24_sdwa v49, v49, v43 dst_sel:DWORD dst_unused:UNUSED_PAD src0_sel:WORD_1 src1_sel:DWORD
	v_mul_u32_u24_sdwa v66, v50, v43 dst_sel:DWORD dst_unused:UNUSED_PAD src0_sel:WORD_0 src1_sel:DWORD
	v_mul_u32_u24_sdwa v50, v50, v43 dst_sel:DWORD dst_unused:UNUSED_PAD src0_sel:WORD_1 src1_sel:DWORD
	v_mul_u32_u24_sdwa v70, v51, v43 dst_sel:DWORD dst_unused:UNUSED_PAD src0_sel:WORD_0 src1_sel:DWORD
	v_mul_u32_u24_sdwa v51, v51, v43 dst_sel:DWORD dst_unused:UNUSED_PAD src0_sel:WORD_1 src1_sel:DWORD
	v_mul_u32_u24_sdwa v71, v52, v43 dst_sel:DWORD dst_unused:UNUSED_PAD src0_sel:WORD_0 src1_sel:DWORD
	v_mul_u32_u24_sdwa v52, v52, v43 dst_sel:DWORD dst_unused:UNUSED_PAD src0_sel:WORD_1 src1_sel:DWORD
	s_waitcnt lgkmcnt(1)
	v_pk_fma_f16 v72, v53, v65, v72
	v_pk_fma_f16 v73, v53, v49, v73
	v_pk_fma_f16 v74, v53, v66, v74
	v_pk_fma_f16 v67, v53, v50, v67
	v_pk_fma_f16 v68, v53, v70, v68
	v_pk_fma_f16 v69, v53, v51, v69
	v_pk_fma_f16 v88, v53, v71, v88
	v_pk_fma_f16 v53, v53, v52, v92
	v_pk_fma_f16 v62, v54, v65, v62
	v_pk_fma_f16 v63, v54, v49, v63
	v_pk_fma_f16 v59, v54, v66, v59
	v_pk_fma_f16 v60, v54, v50, v60
	v_pk_fma_f16 v64, v54, v70, v64
	v_pk_fma_f16 v57, v54, v51, v57
	v_pk_fma_f16 v61, v54, v71, v61
	v_pk_fma_f16 v54, v54, v52, v58
	s_waitcnt lgkmcnt(0)
	v_mul_u32_u24_sdwa v58, v45, v43 dst_sel:DWORD dst_unused:UNUSED_PAD src0_sel:WORD_0 src1_sel:DWORD
	v_mul_u32_u24_sdwa v65, v45, v43 dst_sel:DWORD dst_unused:UNUSED_PAD src0_sel:WORD_1 src1_sel:DWORD
	v_mul_u32_u24_sdwa v66, v46, v43 dst_sel:DWORD dst_unused:UNUSED_PAD src0_sel:WORD_0 src1_sel:DWORD
	v_mul_u32_u24_sdwa v70, v46, v43 dst_sel:DWORD dst_unused:UNUSED_PAD src0_sel:WORD_1 src1_sel:DWORD
	v_mul_u32_u24_sdwa v71, v47, v43 dst_sel:DWORD dst_unused:UNUSED_PAD src0_sel:WORD_0 src1_sel:DWORD
	v_mul_u32_u24_sdwa v89, v47, v43 dst_sel:DWORD dst_unused:UNUSED_PAD src0_sel:WORD_1 src1_sel:DWORD
	v_mul_u32_u24_sdwa v90, v48, v43 dst_sel:DWORD dst_unused:UNUSED_PAD src0_sel:WORD_0 src1_sel:DWORD
	ds_read_b128 v[49:52], v36 offset:928
	v_mul_u32_u24_sdwa v91, v48, v43 dst_sel:DWORD dst_unused:UNUSED_PAD src0_sel:WORD_1 src1_sel:DWORD
	v_pk_fma_f16 v72, v55, v58, v72
	v_pk_fma_f16 v73, v55, v65, v73
	v_pk_fma_f16 v74, v55, v66, v74
	v_pk_fma_f16 v67, v55, v70, v67
	v_pk_fma_f16 v68, v55, v71, v68
	v_pk_fma_f16 v69, v55, v89, v69
	ds_read2_b64 v[45:48], v44 offset0:64 offset1:96
	v_pk_fma_f16 v88, v55, v90, v88
	v_pk_fma_f16 v92, v55, v91, v53
	v_pk_fma_f16 v58, v56, v58, v62
	v_pk_fma_f16 v62, v56, v65, v63
	v_pk_fma_f16 v59, v56, v66, v59
	v_pk_fma_f16 v60, v56, v70, v60
	v_pk_fma_f16 v63, v56, v71, v64
	v_pk_fma_f16 v57, v56, v89, v57
	v_pk_fma_f16 v61, v56, v90, v61
	v_pk_fma_f16 v64, v56, v91, v54
	ds_read_b128 v[53:56], v36 offset:944
	s_waitcnt lgkmcnt(2)
	v_mul_u32_u24_sdwa v65, v49, v43 dst_sel:DWORD dst_unused:UNUSED_PAD src0_sel:WORD_0 src1_sel:DWORD
	v_mul_u32_u24_sdwa v49, v49, v43 dst_sel:DWORD dst_unused:UNUSED_PAD src0_sel:WORD_1 src1_sel:DWORD
	v_mul_u32_u24_sdwa v66, v50, v43 dst_sel:DWORD dst_unused:UNUSED_PAD src0_sel:WORD_0 src1_sel:DWORD
	v_mul_u32_u24_sdwa v50, v50, v43 dst_sel:DWORD dst_unused:UNUSED_PAD src0_sel:WORD_1 src1_sel:DWORD
	v_mul_u32_u24_sdwa v70, v51, v43 dst_sel:DWORD dst_unused:UNUSED_PAD src0_sel:WORD_0 src1_sel:DWORD
	v_mul_u32_u24_sdwa v51, v51, v43 dst_sel:DWORD dst_unused:UNUSED_PAD src0_sel:WORD_1 src1_sel:DWORD
	v_mul_u32_u24_sdwa v71, v52, v43 dst_sel:DWORD dst_unused:UNUSED_PAD src0_sel:WORD_0 src1_sel:DWORD
	v_mul_u32_u24_sdwa v52, v52, v43 dst_sel:DWORD dst_unused:UNUSED_PAD src0_sel:WORD_1 src1_sel:DWORD
	s_waitcnt lgkmcnt(1)
	v_pk_fma_f16 v72, v45, v65, v72
	v_pk_fma_f16 v73, v45, v49, v73
	v_pk_fma_f16 v74, v45, v66, v74
	v_pk_fma_f16 v67, v45, v50, v67
	v_pk_fma_f16 v68, v45, v70, v68
	v_pk_fma_f16 v69, v45, v51, v69
	v_pk_fma_f16 v88, v45, v71, v88
	v_pk_fma_f16 v45, v45, v52, v92
	v_pk_fma_f16 v58, v46, v65, v58
	v_pk_fma_f16 v62, v46, v49, v62
	v_pk_fma_f16 v59, v46, v66, v59
	v_pk_fma_f16 v60, v46, v50, v60
	v_pk_fma_f16 v63, v46, v70, v63
	v_pk_fma_f16 v57, v46, v51, v57
	v_pk_fma_f16 v61, v46, v71, v61
	v_pk_fma_f16 v46, v46, v52, v64
	s_waitcnt lgkmcnt(0)
	v_mul_u32_u24_sdwa v64, v53, v43 dst_sel:DWORD dst_unused:UNUSED_PAD src0_sel:WORD_0 src1_sel:DWORD
	v_mul_u32_u24_sdwa v65, v53, v43 dst_sel:DWORD dst_unused:UNUSED_PAD src0_sel:WORD_1 src1_sel:DWORD
	v_mul_u32_u24_sdwa v66, v54, v43 dst_sel:DWORD dst_unused:UNUSED_PAD src0_sel:WORD_0 src1_sel:DWORD
	v_mul_u32_u24_sdwa v70, v54, v43 dst_sel:DWORD dst_unused:UNUSED_PAD src0_sel:WORD_1 src1_sel:DWORD
	v_mul_u32_u24_sdwa v71, v55, v43 dst_sel:DWORD dst_unused:UNUSED_PAD src0_sel:WORD_0 src1_sel:DWORD
	v_mul_u32_u24_sdwa v89, v55, v43 dst_sel:DWORD dst_unused:UNUSED_PAD src0_sel:WORD_1 src1_sel:DWORD
	v_mul_u32_u24_sdwa v90, v56, v43 dst_sel:DWORD dst_unused:UNUSED_PAD src0_sel:WORD_0 src1_sel:DWORD
	ds_read_b128 v[49:52], v36 offset:960
	v_mul_u32_u24_sdwa v91, v56, v43 dst_sel:DWORD dst_unused:UNUSED_PAD src0_sel:WORD_1 src1_sel:DWORD
	v_pk_fma_f16 v72, v47, v64, v72
	v_pk_fma_f16 v73, v47, v65, v73
	v_pk_fma_f16 v74, v47, v66, v74
	v_pk_fma_f16 v67, v47, v70, v67
	v_pk_fma_f16 v68, v47, v71, v68
	v_pk_fma_f16 v69, v47, v89, v69
	ds_read2_b64 v[53:56], v44 offset0:128 offset1:160
	v_pk_fma_f16 v88, v47, v90, v88
	v_pk_fma_f16 v92, v47, v91, v45
	v_pk_fma_f16 v58, v48, v64, v58
	v_pk_fma_f16 v62, v48, v65, v62
	v_pk_fma_f16 v59, v48, v66, v59
	v_pk_fma_f16 v60, v48, v70, v60
	v_pk_fma_f16 v63, v48, v71, v63
	v_pk_fma_f16 v57, v48, v89, v57
	v_pk_fma_f16 v61, v48, v90, v61
	v_pk_fma_f16 v64, v48, v91, v46
	ds_read_b128 v[45:48], v36 offset:976
	s_waitcnt lgkmcnt(2)
	v_mul_u32_u24_sdwa v65, v49, v43 dst_sel:DWORD dst_unused:UNUSED_PAD src0_sel:WORD_0 src1_sel:DWORD
	v_mul_u32_u24_sdwa v49, v49, v43 dst_sel:DWORD dst_unused:UNUSED_PAD src0_sel:WORD_1 src1_sel:DWORD
	v_mul_u32_u24_sdwa v66, v50, v43 dst_sel:DWORD dst_unused:UNUSED_PAD src0_sel:WORD_0 src1_sel:DWORD
	v_mul_u32_u24_sdwa v50, v50, v43 dst_sel:DWORD dst_unused:UNUSED_PAD src0_sel:WORD_1 src1_sel:DWORD
	v_mul_u32_u24_sdwa v70, v51, v43 dst_sel:DWORD dst_unused:UNUSED_PAD src0_sel:WORD_0 src1_sel:DWORD
	v_mul_u32_u24_sdwa v51, v51, v43 dst_sel:DWORD dst_unused:UNUSED_PAD src0_sel:WORD_1 src1_sel:DWORD
	v_mul_u32_u24_sdwa v71, v52, v43 dst_sel:DWORD dst_unused:UNUSED_PAD src0_sel:WORD_0 src1_sel:DWORD
	v_mul_u32_u24_sdwa v52, v52, v43 dst_sel:DWORD dst_unused:UNUSED_PAD src0_sel:WORD_1 src1_sel:DWORD
	s_waitcnt lgkmcnt(1)
	v_pk_fma_f16 v72, v53, v65, v72
	v_pk_fma_f16 v73, v53, v49, v73
	v_pk_fma_f16 v74, v53, v66, v74
	v_pk_fma_f16 v67, v53, v50, v67
	v_pk_fma_f16 v68, v53, v70, v68
	v_pk_fma_f16 v69, v53, v51, v69
	v_pk_fma_f16 v88, v53, v71, v88
	v_pk_fma_f16 v53, v53, v52, v92
	v_pk_fma_f16 v65, v54, v65, v58
	v_pk_fma_f16 v62, v54, v49, v62
	v_pk_fma_f16 v66, v54, v66, v59
	v_pk_fma_f16 v89, v54, v50, v60
	v_pk_fma_f16 v63, v54, v70, v63
	v_pk_fma_f16 v70, v54, v51, v57
	v_pk_fma_f16 v61, v54, v71, v61
	v_pk_fma_f16 v54, v54, v52, v64
	s_waitcnt lgkmcnt(0)
	v_mul_u32_u24_sdwa v64, v45, v43 dst_sel:DWORD dst_unused:UNUSED_PAD src0_sel:WORD_0 src1_sel:DWORD
	v_mul_u32_u24_sdwa v45, v45, v43 dst_sel:DWORD dst_unused:UNUSED_PAD src0_sel:WORD_1 src1_sel:DWORD
	v_mul_u32_u24_sdwa v71, v46, v43 dst_sel:DWORD dst_unused:UNUSED_PAD src0_sel:WORD_0 src1_sel:DWORD
	v_mul_u32_u24_sdwa v46, v46, v43 dst_sel:DWORD dst_unused:UNUSED_PAD src0_sel:WORD_1 src1_sel:DWORD
	v_mul_u32_u24_sdwa v90, v47, v43 dst_sel:DWORD dst_unused:UNUSED_PAD src0_sel:WORD_0 src1_sel:DWORD
	v_mul_u32_u24_sdwa v47, v47, v43 dst_sel:DWORD dst_unused:UNUSED_PAD src0_sel:WORD_1 src1_sel:DWORD
	v_mul_u32_u24_sdwa v91, v48, v43 dst_sel:DWORD dst_unused:UNUSED_PAD src0_sel:WORD_0 src1_sel:DWORD
	ds_read_b128 v[49:52], v36 offset:992
	v_mul_u32_u24_sdwa v48, v48, v43 dst_sel:DWORD dst_unused:UNUSED_PAD src0_sel:WORD_1 src1_sel:DWORD
	v_pk_fma_f16 v72, v55, v64, v72
	v_pk_fma_f16 v73, v55, v45, v73
	v_pk_fma_f16 v74, v55, v71, v74
	v_pk_fma_f16 v67, v55, v46, v67
	v_pk_fma_f16 v68, v55, v90, v68
	v_pk_fma_f16 v69, v55, v47, v69
	ds_read2_b64 v[57:60], v44 offset0:192 offset1:224
	v_pk_fma_f16 v88, v55, v91, v88
	v_pk_fma_f16 v53, v55, v48, v53
	v_pk_fma_f16 v55, v56, v64, v65
	v_pk_fma_f16 v62, v56, v45, v62
	v_pk_fma_f16 v64, v56, v71, v66
	v_pk_fma_f16 v65, v56, v46, v89
	v_pk_fma_f16 v66, v56, v47, v70
	ds_read_b128 v[44:47], v36 offset:1008
	s_waitcnt lgkmcnt(0)
	s_barrier
	buffer_gl0_inv
	s_load_dword s19, s[0:1], 0x4
	v_pk_fma_f16 v63, v56, v90, v63
	v_pk_fma_f16 v61, v56, v91, v61
	;; [unrolled: 1-line block ×3, first 2 shown]
	v_mul_u32_u24_sdwa v54, v49, v43 dst_sel:DWORD dst_unused:UNUSED_PAD src0_sel:WORD_0 src1_sel:DWORD
	v_mul_u32_u24_sdwa v49, v49, v43 dst_sel:DWORD dst_unused:UNUSED_PAD src0_sel:WORD_1 src1_sel:DWORD
	v_mul_u32_u24_sdwa v56, v50, v43 dst_sel:DWORD dst_unused:UNUSED_PAD src0_sel:WORD_0 src1_sel:DWORD
	v_mul_u32_u24_sdwa v50, v50, v43 dst_sel:DWORD dst_unused:UNUSED_PAD src0_sel:WORD_1 src1_sel:DWORD
	;; [unrolled: 2-line block ×4, first 2 shown]
	v_pk_fma_f16 v72, v57, v54, v72
	v_pk_fma_f16 v73, v57, v49, v73
	;; [unrolled: 1-line block ×16, first 2 shown]
	v_mul_u32_u24_sdwa v56, v44, v43 dst_sel:DWORD dst_unused:UNUSED_PAD src0_sel:WORD_0 src1_sel:DWORD
	v_mul_u32_u24_sdwa v44, v44, v43 dst_sel:DWORD dst_unused:UNUSED_PAD src0_sel:WORD_1 src1_sel:DWORD
	v_mul_u32_u24_sdwa v66, v45, v43 dst_sel:DWORD dst_unused:UNUSED_PAD src0_sel:WORD_0 src1_sel:DWORD
	v_mul_u32_u24_sdwa v70, v45, v43 dst_sel:DWORD dst_unused:UNUSED_PAD src0_sel:WORD_1 src1_sel:DWORD
	;; [unrolled: 2-line block ×4, first 2 shown]
	s_waitcnt lgkmcnt(0)
	s_lshl_b32 s19, s19, 6
	v_pk_fma_f16 v58, v59, v56, v72
	v_pk_fma_f16 v57, v59, v44, v73
	;; [unrolled: 1-line block ×16, first 2 shown]
	s_add_i32 s6, s19, s6
	s_cmp_ge_i32 s6, s34
	s_cbranch_scc1 .LBB75_75
; %bb.74:                               ;   in Loop: Header=BB75_9 Depth=1
	v_mov_b32_e32 v73, v1
	v_mov_b32_e32 v74, v2
	;; [unrolled: 1-line block ×16, first 2 shown]
	s_branch .LBB75_9
.LBB75_75:
	v_mov_b32_e32 v9, v19
.LBB75_76:
	v_cmp_lt_i32_e32 vcc_lo, v80, v18
	s_cmp_lg_u64 s[16:17], 0
	s_cselect_b32 s0, -1, 0
	s_cmp_eq_u32 s28, 0
	v_cndmask_b32_e32 v10, v9, v80, vcc_lo
	v_cmp_lt_i32_e32 vcc_lo, v78, v18
	s_cselect_b32 s1, -1, 0
	s_and_b32 s0, s1, s0
	v_lshlrev_b32_e32 v10, 2, v10
	v_cndmask_b32_e32 v19, v9, v78, vcc_lo
	v_cmp_lt_i32_e32 vcc_lo, v77, v18
	ds_bpermute_b32 v11, v10, v79
	ds_bpermute_b32 v12, v10, v81
	;; [unrolled: 1-line block ×8, first 2 shown]
	v_lshlrev_b32_e32 v19, 2, v19
	v_cndmask_b32_e32 v38, v9, v77, vcc_lo
	v_cmp_lt_i32_e32 vcc_lo, v76, v18
	v_lshlrev_b32_e32 v38, 2, v38
	s_waitcnt lgkmcnt(7)
	v_add_f32_e32 v11, v79, v11
	s_waitcnt lgkmcnt(6)
	v_add_f32_e32 v12, v81, v12
	;; [unrolled: 2-line block ×8, first 2 shown]
	ds_bpermute_b32 v20, v19, v11
	ds_bpermute_b32 v21, v19, v12
	;; [unrolled: 1-line block ×8, first 2 shown]
	s_waitcnt lgkmcnt(7)
	v_add_f32_e32 v11, v11, v20
	s_waitcnt lgkmcnt(6)
	v_add_f32_e32 v12, v12, v21
	;; [unrolled: 2-line block ×8, first 2 shown]
	ds_bpermute_b32 v19, v38, v11
	ds_bpermute_b32 v20, v38, v12
	;; [unrolled: 1-line block ×8, first 2 shown]
	v_cndmask_b32_e32 v38, v9, v76, vcc_lo
	v_cmp_lt_i32_e32 vcc_lo, v75, v18
	v_lshlrev_b32_e32 v38, 2, v38
	v_cndmask_b32_e32 v9, v9, v75, vcc_lo
	s_and_b32 vcc_lo, exec_lo, s0
	v_lshlrev_b32_e32 v9, 2, v9
	s_waitcnt lgkmcnt(7)
	v_add_f32_e32 v11, v11, v19
	s_waitcnt lgkmcnt(6)
	v_add_f32_e32 v12, v12, v20
	;; [unrolled: 2-line block ×8, first 2 shown]
	ds_bpermute_b32 v19, v38, v11
	ds_bpermute_b32 v20, v38, v12
	;; [unrolled: 1-line block ×8, first 2 shown]
	s_waitcnt lgkmcnt(7)
	v_add_f32_e32 v11, v11, v19
	s_waitcnt lgkmcnt(6)
	v_add_f32_e32 v12, v12, v20
	;; [unrolled: 2-line block ×8, first 2 shown]
	ds_bpermute_b32 v10, v9, v11
	ds_bpermute_b32 v19, v9, v12
	;; [unrolled: 1-line block ×8, first 2 shown]
	s_waitcnt lgkmcnt(7)
	v_add_f32_e32 v9, v11, v10
	s_waitcnt lgkmcnt(6)
	v_add_f32_e32 v10, v12, v19
	;; [unrolled: 2-line block ×8, first 2 shown]
	s_cbranch_vccz .LBB75_79
; %bb.77:
	s_ashr_i32 s31, s30, 31
	v_mov_b32_e32 v17, 0
	s_lshl_b64 s[0:1], s[30:31], 2
	v_max_f32_e32 v18, v2, v2
	s_add_u32 s0, s16, s0
	s_addc_u32 s1, s17, s1
	v_max_f32_e32 v19, v3, v3
	global_load_dwordx4 v[37:40], v17, s[0:1]
	v_max_f32_e32 v17, v1, v1
	v_max_f32_e32 v20, v4, v4
	;; [unrolled: 1-line block ×6, first 2 shown]
	v_mov_b32_e32 v36, 0x10001
	s_waitcnt vmcnt(0)
	v_max_f32_e32 v24, v37, v37
	v_max_f32_e32 v41, v38, v38
	;; [unrolled: 1-line block ×12, first 2 shown]
	v_sub_f32_e32 v41, v1, v17
	v_sub_f32_e32 v43, v2, v18
	;; [unrolled: 1-line block ×8, first 2 shown]
	v_mov_b32_e32 v1, v17
	v_sub_f32_e32 v42, v37, v17
	v_mov_b32_e32 v2, v18
	v_mov_b32_e32 v3, v19
	;; [unrolled: 1-line block ×7, first 2 shown]
	v_mul_f32_e32 v17, 0x3fb8aa3b, v41
	v_sub_f32_e32 v60, v38, v18
	v_mul_f32_e32 v18, 0x3fb8aa3b, v42
	v_sub_f32_e32 v62, v39, v19
	v_mul_f32_e32 v19, 0x3fb8aa3b, v43
	v_fma_f32 v77, 0x3fb8aa3b, v41, -v17
	v_rndne_f32_e32 v78, v17
	v_fma_f32 v79, 0x3fb8aa3b, v42, -v18
	v_rndne_f32_e32 v80, v18
	v_sub_f32_e32 v64, v40, v20
	v_fmac_f32_e32 v77, 0x32a5705f, v41
	v_sub_f32_e32 v17, v17, v78
	v_mul_f32_e32 v20, 0x3fb8aa3b, v60
	v_fma_f32 v81, 0x3fb8aa3b, v43, -v19
	v_rndne_f32_e32 v82, v19
	v_fmac_f32_e32 v79, 0x32a5705f, v42
	v_sub_f32_e32 v18, v18, v80
	v_add_f32_e32 v17, v17, v77
	v_sub_f32_e32 v37, v37, v21
	v_mul_f32_e32 v21, 0x3fb8aa3b, v61
	v_fma_f32 v83, 0x3fb8aa3b, v60, -v20
	v_rndne_f32_e32 v84, v20
	v_fmac_f32_e32 v81, 0x32a5705f, v43
	v_sub_f32_e32 v19, v19, v82
	v_add_f32_e32 v18, v18, v79
	v_exp_f32_e32 v17, v17
	v_sub_f32_e32 v38, v38, v22
	v_mul_f32_e32 v22, 0x3fb8aa3b, v62
	v_fma_f32 v85, 0x3fb8aa3b, v61, -v21
	v_rndne_f32_e32 v86, v21
	v_cvt_i32_f32_e32 v78, v78
	v_fmac_f32_e32 v83, 0x32a5705f, v60
	v_sub_f32_e32 v20, v20, v84
	v_add_f32_e32 v19, v19, v81
	v_exp_f32_e32 v18, v18
	v_sub_f32_e32 v39, v39, v23
	v_mul_f32_e32 v23, 0x3fb8aa3b, v63
	v_fma_f32 v87, 0x3fb8aa3b, v62, -v22
	v_rndne_f32_e32 v88, v22
	v_cvt_i32_f32_e32 v80, v80
	v_fmac_f32_e32 v85, 0x32a5705f, v61
	v_sub_f32_e32 v21, v21, v86
	v_add_f32_e32 v20, v20, v83
	v_exp_f32_e32 v19, v19
	v_ldexp_f32 v17, v17, v78
	v_cmp_ngt_f32_e32 vcc_lo, 0xc2ce8ed0, v41
	v_sub_f32_e32 v40, v40, v24
	v_mul_f32_e32 v24, 0x3fb8aa3b, v64
	v_fma_f32 v89, 0x3fb8aa3b, v63, -v23
	v_rndne_f32_e32 v90, v23
	v_cvt_i32_f32_e32 v82, v82
	v_fmac_f32_e32 v87, 0x32a5705f, v62
	v_sub_f32_e32 v22, v22, v88
	v_add_f32_e32 v21, v21, v85
	v_exp_f32_e32 v20, v20
	v_ldexp_f32 v18, v18, v80
	v_cndmask_b32_e32 v17, 0, v17, vcc_lo
	v_cmp_ngt_f32_e32 vcc_lo, 0xc2ce8ed0, v42
	v_mul_f32_e32 v69, 0x3fb8aa3b, v65
	v_fma_f32 v91, 0x3fb8aa3b, v64, -v24
	v_rndne_f32_e32 v92, v24
	v_cvt_i32_f32_e32 v84, v84
	v_fmac_f32_e32 v89, 0x32a5705f, v63
	v_sub_f32_e32 v23, v23, v90
	v_add_f32_e32 v22, v22, v87
	v_exp_f32_e32 v21, v21
	v_ldexp_f32 v19, v19, v82
	v_cndmask_b32_e32 v18, 0, v18, vcc_lo
	v_cmp_ngt_f32_e32 vcc_lo, 0xc2ce8ed0, v43
	;; [unrolled: 11-line block ×9, first 2 shown]
	v_fma_f32 v107, 0x3fb8aa3b, v40, -v76
	v_rndne_f32_e32 v108, v76
	v_cvt_i32_f32_e32 v100, v100
	v_fmac_f32_e32 v105, 0x32a5705f, v68
	v_sub_f32_e32 v75, v75, v106
	v_add_f32_e32 v74, v74, v103
	v_exp_f32_e32 v73, v73
	v_ldexp_f32 v71, v71, v98
	v_cndmask_b32_e32 v70, 0, v70, vcc_lo
	v_cmp_ngt_f32_e32 vcc_lo, 0xc2ce8ed0, v66
	v_cvt_i32_f32_e32 v102, v102
	v_fmac_f32_e32 v107, 0x32a5705f, v40
	v_sub_f32_e32 v76, v76, v108
	v_add_f32_e32 v75, v75, v105
	v_exp_f32_e32 v74, v74
	v_ldexp_f32 v72, v72, v100
	v_cndmask_b32_e32 v71, 0, v71, vcc_lo
	v_cmp_ngt_f32_e32 vcc_lo, 0xc2ce8ed0, v38
	v_cvt_i32_f32_e32 v104, v104
	v_add_f32_e32 v76, v76, v107
	v_exp_f32_e32 v75, v75
	v_ldexp_f32 v73, v73, v102
	v_cndmask_b32_e32 v72, 0, v72, vcc_lo
	v_cmp_ngt_f32_e32 vcc_lo, 0xc2ce8ed0, v67
	v_cvt_i32_f32_e32 v106, v106
	v_exp_f32_e32 v76, v76
	v_ldexp_f32 v74, v74, v104
	v_cvt_i32_f32_e32 v108, v108
	v_cndmask_b32_e32 v73, 0, v73, vcc_lo
	v_cmp_ngt_f32_e32 vcc_lo, 0xc2ce8ed0, v39
	v_ldexp_f32 v75, v75, v106
	v_cndmask_b32_e32 v74, 0, v74, vcc_lo
	v_cmp_ngt_f32_e32 vcc_lo, 0xc2ce8ed0, v68
	v_ldexp_f32 v76, v76, v108
	v_cndmask_b32_e32 v75, 0, v75, vcc_lo
	v_cmp_ngt_f32_e32 vcc_lo, 0xc2ce8ed0, v40
	v_cndmask_b32_e32 v76, 0, v76, vcc_lo
	v_cmp_nlt_f32_e32 vcc_lo, 0x42b17218, v41
	v_cndmask_b32_e32 v41, 0x7f800000, v17, vcc_lo
	v_cmp_nlt_f32_e32 vcc_lo, 0x42b17218, v42
	;; [unrolled: 2-line block ×3, first 2 shown]
	v_fmac_f32_e32 v17, v9, v41
	v_cndmask_b32_e32 v42, 0x7f800000, v19, vcc_lo
	v_cmp_nlt_f32_e32 vcc_lo, 0x42b17218, v60
	v_cvt_f16_f32_e32 v9, v41
	v_cndmask_b32_e32 v18, 0x7f800000, v20, vcc_lo
	v_cmp_nlt_f32_e32 vcc_lo, 0x42b17218, v61
	v_fmac_f32_e32 v18, v10, v42
	v_cndmask_b32_e32 v43, 0x7f800000, v21, vcc_lo
	v_cmp_nlt_f32_e32 vcc_lo, 0x42b17218, v62
	v_cvt_f16_f32_e32 v10, v42
	v_cndmask_b32_e32 v19, 0x7f800000, v22, vcc_lo
	v_cmp_nlt_f32_e32 vcc_lo, 0x42b17218, v63
	;; [unrolled: 6-line block ×5, first 2 shown]
	v_mul_u32_u24_sdwa v41, v13, v36 dst_sel:DWORD dst_unused:UNUSED_PAD src0_sel:WORD_0 src1_sel:DWORD
	v_mov_b32_e32 v13, v21
	v_fmac_f32_e32 v22, v14, v37
	v_cndmask_b32_e32 v38, 0x7f800000, v73, vcc_lo
	v_cmp_nlt_f32_e32 vcc_lo, 0x42b17218, v39
	v_cvt_f16_f32_e32 v14, v37
	v_mul_u32_u24_sdwa v37, v9, v36 dst_sel:DWORD dst_unused:UNUSED_PAD src0_sel:WORD_0 src1_sel:DWORD
	v_mov_b32_e32 v9, v17
	v_pk_mul_f16 v51, v51, v41
	v_cndmask_b32_e32 v23, 0x7f800000, v74, vcc_lo
	v_cmp_nlt_f32_e32 vcc_lo, 0x42b17218, v68
	v_mul_u32_u24_sdwa v42, v14, v36 dst_sel:DWORD dst_unused:UNUSED_PAD src0_sel:WORD_0 src1_sel:DWORD
	v_mov_b32_e32 v14, v22
	v_pk_mul_f16 v58, v58, v37
	v_fmac_f32_e32 v23, v15, v38
	v_cndmask_b32_e32 v39, 0x7f800000, v75, vcc_lo
	v_cmp_nlt_f32_e32 vcc_lo, 0x42b17218, v40
	v_cvt_f16_f32_e32 v15, v38
	v_mul_u32_u24_sdwa v38, v10, v36 dst_sel:DWORD dst_unused:UNUSED_PAD src0_sel:WORD_0 src1_sel:DWORD
	v_mul_u32_u24_sdwa v40, v12, v36 dst_sel:DWORD dst_unused:UNUSED_PAD src0_sel:WORD_0 src1_sel:DWORD
	v_mov_b32_e32 v10, v18
	v_cndmask_b32_e32 v24, 0x7f800000, v76, vcc_lo
	v_mul_u32_u24_sdwa v43, v15, v36 dst_sel:DWORD dst_unused:UNUSED_PAD src0_sel:WORD_0 src1_sel:DWORD
	v_mov_b32_e32 v12, v20
	v_mov_b32_e32 v15, v23
	v_pk_mul_f16 v59, v59, v37
	v_fmac_f32_e32 v24, v16, v39
	v_cvt_f16_f32_e32 v16, v39
	v_mul_u32_u24_sdwa v39, v11, v36 dst_sel:DWORD dst_unused:UNUSED_PAD src0_sel:WORD_0 src1_sel:DWORD
	v_mov_b32_e32 v11, v19
	v_pk_mul_f16 v57, v57, v38
	v_pk_mul_f16 v56, v56, v38
	v_mul_u32_u24_sdwa v16, v16, v36 dst_sel:DWORD dst_unused:UNUSED_PAD src0_sel:WORD_0 src1_sel:DWORD
	v_pk_mul_f16 v55, v55, v39
	v_pk_mul_f16 v54, v54, v39
	;; [unrolled: 1-line block ×11, first 2 shown]
	v_mov_b32_e32 v16, v24
	s_mov_b32 s0, exec_lo
	v_cmpx_gt_i32_e64 s2, v26
	s_cbranch_execnz .LBB75_80
.LBB75_78:
	s_endpgm
.LBB75_79:
	v_mov_b32_e32 v24, v16
	v_mov_b32_e32 v23, v15
	;; [unrolled: 1-line block ×8, first 2 shown]
	s_mov_b32 s0, exec_lo
	v_cmpx_gt_i32_e64 s2, v26
	s_cbranch_execz .LBB75_78
.LBB75_80:
	s_load_dword s1, s[4:5], 0xd4
	v_mov_b32_e32 v37, 1.0
	s_waitcnt lgkmcnt(0)
	s_cmp_lg_u32 s1, 1
	s_cselect_b32 s6, -1, 0
	s_cmp_eq_u32 s1, 1
	s_cselect_b32 s4, -1, 0
	s_and_b32 vcc_lo, exec_lo, s6
	s_cbranch_vccnz .LBB75_82
; %bb.81:
	v_div_scale_f32 v26, null, v9, v9, 1.0
	v_rcp_f32_e32 v36, v26
	v_fma_f32 v37, -v26, v36, 1.0
	v_fmac_f32_e32 v36, v37, v36
	v_div_scale_f32 v37, vcc_lo, 1.0, v9, 1.0
	v_mul_f32_e32 v38, v37, v36
	v_fma_f32 v39, -v26, v38, v37
	v_fmac_f32_e32 v38, v39, v36
	v_fma_f32 v26, -v26, v38, v37
	v_div_fmas_f32 v26, v26, v36, v38
	v_div_fixup_f32 v37, v26, v9, 1.0
.LBB75_82:
	s_mul_i32 s5, s7, s2
	v_mov_b32_e32 v39, 0
	s_add_i32 s5, s5, s14
	v_cmp_eq_u32_e32 vcc_lo, 0, v0
	v_add_nc_u32_e32 v9, s5, v25
	v_cvt_f32_f16_e32 v0, v58
	v_cvt_f32_f16_sdwa v41, v59 dst_sel:DWORD dst_unused:UNUSED_PAD src0_sel:WORD_1
	s_and_b32 s7, vcc_lo, s6
	v_mul_lo_u32 v36, v9, s3
	v_mul_f32_e32 v41, v37, v41
	v_add_nc_u32_e32 v9, s30, v36
	v_mad_u64_u32 v[25:26], null, s1, v9, s[28:29]
	v_cvt_f32_f16_sdwa v9, v58 dst_sel:DWORD dst_unused:UNUSED_PAD src0_sel:WORD_1
	v_cvt_f32_f16_e32 v26, v59
	v_mul_f32_e32 v40, v37, v26
	v_lshl_add_u32 v38, v25, 7, v35
	v_lshlrev_b64 v[42:43], 2, v[38:39]
	v_mul_f32_e32 v38, v37, v0
	v_mul_f32_e32 v39, v37, v9
	v_add_co_u32 v42, s0, s20, v42
	v_add_co_ci_u32_e64 v43, null, s21, v43, s0
	global_store_dwordx4 v[42:43], v[38:41], off
	s_and_saveexec_b32 s0, s7
	s_cbranch_execz .LBB75_84
; %bb.83:
	v_ashrrev_i32_e32 v26, 31, v25
	v_mov_b32_e32 v0, v1
	v_mov_b32_e32 v1, v17
	v_lshlrev_b64 v[25:26], 3, v[25:26]
	v_add_co_u32 v25, vcc_lo, s22, v25
	v_add_co_ci_u32_e64 v26, null, s23, v26, vcc_lo
	global_store_dwordx2 v[25:26], v[0:1], off
.LBB75_84:
	s_or_b32 exec_lo, exec_lo, s0
	v_cndmask_b32_e64 v9, 0, 1, s4
	v_mov_b32_e32 v17, 1.0
	s_andn2_b32 vcc_lo, exec_lo, s4
	s_cbranch_vccnz .LBB75_86
; %bb.85:
	v_div_scale_f32 v0, null, v10, v10, 1.0
	v_rcp_f32_e32 v1, v0
	v_fma_f32 v17, -v0, v1, 1.0
	v_fmac_f32_e32 v1, v17, v1
	v_div_scale_f32 v17, vcc_lo, 1.0, v10, 1.0
	v_mul_f32_e32 v25, v17, v1
	v_fma_f32 v26, -v0, v25, v17
	v_fmac_f32_e32 v25, v26, v1
	v_fma_f32 v0, -v0, v25, v17
	v_div_fmas_f32 v0, v0, v1, v25
	v_div_fixup_f32 v17, v0, v10, 1.0
.LBB75_86:
	s_add_i32 s6, s30, 1
	v_mov_b32_e32 v26, 0
	v_add_nc_u32_e32 v0, s6, v36
	v_cvt_f32_f16_sdwa v10, v57 dst_sel:DWORD dst_unused:UNUSED_PAD src0_sel:WORD_1
	v_cvt_f32_f16_e32 v39, v56
	v_cvt_f32_f16_sdwa v40, v56 dst_sel:DWORD dst_unused:UNUSED_PAD src0_sel:WORD_1
	v_mad_u64_u32 v[0:1], null, s1, v0, s[28:29]
	v_cvt_f32_f16_e32 v1, v57
	v_mul_f32_e32 v38, v17, v10
	v_mul_f32_e32 v39, v17, v39
	;; [unrolled: 1-line block ×4, first 2 shown]
	v_lshl_add_u32 v25, v0, 7, v35
	v_lshlrev_b64 v[25:26], 2, v[25:26]
	v_add_co_u32 v25, vcc_lo, s20, v25
	v_add_co_ci_u32_e64 v26, null, s21, v26, vcc_lo
	global_store_dwordx4 v[25:26], v[37:40], off
	s_and_saveexec_b32 s0, s7
	s_cbranch_execz .LBB75_88
; %bb.87:
	v_ashrrev_i32_e32 v1, 31, v0
	v_mov_b32_e32 v17, v2
	v_lshlrev_b64 v[0:1], 3, v[0:1]
	v_add_co_u32 v0, vcc_lo, s22, v0
	v_add_co_ci_u32_e64 v1, null, s23, v1, vcc_lo
	global_store_dwordx2 v[0:1], v[17:18], off
.LBB75_88:
	s_or_b32 exec_lo, exec_lo, s0
	v_cmp_ne_u32_e32 vcc_lo, 1, v9
	v_mov_b32_e32 v2, 1.0
	s_cbranch_vccnz .LBB75_90
; %bb.89:
	v_div_scale_f32 v0, null, v11, v11, 1.0
	v_rcp_f32_e32 v1, v0
	v_fma_f32 v2, -v0, v1, 1.0
	v_fmac_f32_e32 v1, v2, v1
	v_div_scale_f32 v2, vcc_lo, 1.0, v11, 1.0
	v_mul_f32_e32 v10, v2, v1
	v_fma_f32 v17, -v0, v10, v2
	v_fmac_f32_e32 v10, v17, v1
	v_fma_f32 v0, -v0, v10, v2
	v_div_fmas_f32 v0, v0, v1, v10
	v_div_fixup_f32 v2, v0, v11, 1.0
.LBB75_90:
	s_add_i32 s4, s30, 2
	v_mov_b32_e32 v11, 0
	v_add_nc_u32_e32 v0, s4, v36
	v_cvt_f32_f16_sdwa v17, v55 dst_sel:DWORD dst_unused:UNUSED_PAD src0_sel:WORD_1
	v_cvt_f32_f16_e32 v18, v54
	v_cvt_f32_f16_sdwa v25, v54 dst_sel:DWORD dst_unused:UNUSED_PAD src0_sel:WORD_1
	v_mad_u64_u32 v[0:1], null, s1, v0, s[28:29]
	v_cvt_f32_f16_e32 v1, v55
	v_mul_f32_e32 v38, v2, v17
	v_mul_f32_e32 v39, v2, v18
	;; [unrolled: 1-line block ×4, first 2 shown]
	v_lshl_add_u32 v10, v0, 7, v35
	v_lshlrev_b64 v[10:11], 2, v[10:11]
	v_add_co_u32 v1, vcc_lo, s20, v10
	v_add_co_ci_u32_e64 v2, null, s21, v11, vcc_lo
	global_store_dwordx4 v[1:2], v[37:40], off
	s_and_saveexec_b32 s0, s7
	s_cbranch_execz .LBB75_92
; %bb.91:
	v_ashrrev_i32_e32 v1, 31, v0
	v_mov_b32_e32 v18, v3
	v_lshlrev_b64 v[0:1], 3, v[0:1]
	v_add_co_u32 v0, vcc_lo, s22, v0
	v_add_co_ci_u32_e64 v1, null, s23, v1, vcc_lo
	global_store_dwordx2 v[0:1], v[18:19], off
.LBB75_92:
	s_or_b32 exec_lo, exec_lo, s0
	v_cmp_ne_u32_e32 vcc_lo, 1, v9
	v_mov_b32_e32 v2, 1.0
	s_cbranch_vccnz .LBB75_94
; %bb.93:
	v_div_scale_f32 v0, null, v12, v12, 1.0
	v_rcp_f32_e32 v1, v0
	v_fma_f32 v2, -v0, v1, 1.0
	v_fmac_f32_e32 v1, v2, v1
	v_div_scale_f32 v2, vcc_lo, 1.0, v12, 1.0
	v_mul_f32_e32 v3, v2, v1
	v_fma_f32 v10, -v0, v3, v2
	v_fmac_f32_e32 v3, v10, v1
	v_fma_f32 v0, -v0, v3, v2
	v_div_fmas_f32 v0, v0, v1, v3
	v_div_fixup_f32 v2, v0, v12, 1.0
.LBB75_94:
	s_add_i32 s0, s30, 3
	v_mov_b32_e32 v11, 0
	v_add_nc_u32_e32 v0, s0, v36
	v_cvt_f32_f16_sdwa v3, v52 dst_sel:DWORD dst_unused:UNUSED_PAD src0_sel:WORD_1
	v_cvt_f32_f16_e32 v12, v53
	v_cvt_f32_f16_sdwa v17, v53 dst_sel:DWORD dst_unused:UNUSED_PAD src0_sel:WORD_1
	v_mad_u64_u32 v[0:1], null, s1, v0, s[28:29]
	v_cvt_f32_f16_e32 v1, v52
	v_mul_f32_e32 v37, v2, v3
	v_mul_f32_e32 v38, v2, v12
	;; [unrolled: 1-line block ×4, first 2 shown]
	v_lshl_add_u32 v10, v0, 7, v35
	v_lshlrev_b64 v[10:11], 2, v[10:11]
	v_add_co_u32 v1, vcc_lo, s20, v10
	v_add_co_ci_u32_e64 v2, null, s21, v11, vcc_lo
	global_store_dwordx4 v[1:2], v[36:39], off
	s_and_saveexec_b32 s8, s7
	s_cbranch_execz .LBB75_96
; %bb.95:
	v_ashrrev_i32_e32 v1, 31, v0
	v_mov_b32_e32 v19, v4
	v_lshlrev_b64 v[0:1], 3, v[0:1]
	v_add_co_u32 v0, vcc_lo, s22, v0
	v_add_co_ci_u32_e64 v1, null, s23, v1, vcc_lo
	global_store_dwordx2 v[0:1], v[19:20], off
.LBB75_96:
	s_or_b32 exec_lo, exec_lo, s8
	v_cmp_gt_i32_e32 vcc_lo, s2, v34
	s_and_b32 exec_lo, exec_lo, vcc_lo
	s_cbranch_execz .LBB75_78
; %bb.97:
	v_cmp_ne_u32_e32 vcc_lo, 1, v9
	v_mov_b32_e32 v2, 1.0
	s_cbranch_vccnz .LBB75_99
; %bb.98:
	v_div_scale_f32 v0, null, v13, v13, 1.0
	v_rcp_f32_e32 v1, v0
	v_fma_f32 v2, -v0, v1, 1.0
	v_fmac_f32_e32 v1, v2, v1
	v_div_scale_f32 v2, vcc_lo, 1.0, v13, 1.0
	v_mul_f32_e32 v3, v2, v1
	v_fma_f32 v4, -v0, v3, v2
	v_fmac_f32_e32 v3, v4, v1
	v_fma_f32 v0, -v0, v3, v2
	v_div_fmas_f32 v0, v0, v1, v3
	v_div_fixup_f32 v2, v0, v13, 1.0
.LBB75_99:
	v_add_nc_u32_e32 v0, s5, v32
	v_mov_b32_e32 v4, 0
	v_cvt_f32_f16_sdwa v11, v51 dst_sel:DWORD dst_unused:UNUSED_PAD src0_sel:WORD_1
	v_cvt_f32_f16_e32 v12, v50
	v_cvt_f32_f16_sdwa v13, v50 dst_sel:DWORD dst_unused:UNUSED_PAD src0_sel:WORD_1
	v_mad_u64_u32 v[0:1], null, v0, s3, s[30:31]
	v_mul_f32_e32 v11, v2, v11
	v_mul_f32_e32 v12, v2, v12
	;; [unrolled: 1-line block ×3, first 2 shown]
	v_mad_u64_u32 v[0:1], null, s1, v0, s[28:29]
	v_cvt_f32_f16_e32 v1, v51
	v_mul_f32_e32 v10, v2, v1
	v_lshl_add_u32 v3, v0, 7, v35
	v_lshlrev_b64 v[3:4], 2, v[3:4]
	v_add_co_u32 v1, vcc_lo, s20, v3
	v_add_co_ci_u32_e64 v2, null, s21, v4, vcc_lo
	global_store_dwordx4 v[1:2], v[10:13], off
	s_and_saveexec_b32 s8, s7
	s_cbranch_execz .LBB75_101
; %bb.100:
	v_ashrrev_i32_e32 v1, 31, v0
	v_mov_b32_e32 v20, v5
	v_lshlrev_b64 v[0:1], 3, v[0:1]
	v_add_co_u32 v0, vcc_lo, s22, v0
	v_add_co_ci_u32_e64 v1, null, s23, v1, vcc_lo
	global_store_dwordx2 v[0:1], v[20:21], off
.LBB75_101:
	s_or_b32 exec_lo, exec_lo, s8
	v_cmp_gt_i32_e32 vcc_lo, s2, v33
	s_and_b32 exec_lo, exec_lo, vcc_lo
	s_cbranch_execz .LBB75_78
; %bb.102:
	v_cmp_ne_u32_e32 vcc_lo, 1, v9
	v_mov_b32_e32 v2, 1.0
	s_cbranch_vccnz .LBB75_104
; %bb.103:
	v_div_scale_f32 v0, null, v14, v14, 1.0
	v_rcp_f32_e32 v1, v0
	v_fma_f32 v2, -v0, v1, 1.0
	v_fmac_f32_e32 v1, v2, v1
	v_div_scale_f32 v2, vcc_lo, 1.0, v14, 1.0
	v_mul_f32_e32 v3, v2, v1
	v_fma_f32 v4, -v0, v3, v2
	v_fmac_f32_e32 v3, v4, v1
	v_fma_f32 v0, -v0, v3, v2
	v_div_fmas_f32 v0, v0, v1, v3
	v_div_fixup_f32 v2, v0, v14, 1.0
.LBB75_104:
	v_add_nc_u32_e32 v0, s5, v30
	v_mov_b32_e32 v4, 0
	v_cvt_f32_f16_sdwa v5, v48 dst_sel:DWORD dst_unused:UNUSED_PAD src0_sel:WORD_1
	v_cvt_f32_f16_e32 v12, v49
	v_cvt_f32_f16_sdwa v13, v49 dst_sel:DWORD dst_unused:UNUSED_PAD src0_sel:WORD_1
	v_mad_u64_u32 v[0:1], null, v0, s3, s[6:7]
	v_mul_f32_e32 v11, v2, v5
	v_mul_f32_e32 v12, v2, v12
	;; [unrolled: 1-line block ×3, first 2 shown]
	v_mad_u64_u32 v[0:1], null, s1, v0, s[28:29]
	v_cvt_f32_f16_e32 v1, v48
	v_mul_f32_e32 v10, v2, v1
	v_lshl_add_u32 v3, v0, 7, v35
	v_lshlrev_b64 v[3:4], 2, v[3:4]
	v_add_co_u32 v1, vcc_lo, s20, v3
	v_add_co_ci_u32_e64 v2, null, s21, v4, vcc_lo
	global_store_dwordx4 v[1:2], v[10:13], off
	s_and_saveexec_b32 s6, s7
	s_cbranch_execz .LBB75_106
; %bb.105:
	v_ashrrev_i32_e32 v1, 31, v0
	v_mov_b32_e32 v21, v6
	v_lshlrev_b64 v[0:1], 3, v[0:1]
	v_add_co_u32 v0, vcc_lo, s22, v0
	v_add_co_ci_u32_e64 v1, null, s23, v1, vcc_lo
	global_store_dwordx2 v[0:1], v[21:22], off
.LBB75_106:
	s_or_b32 exec_lo, exec_lo, s6
	v_cmp_gt_i32_e32 vcc_lo, s2, v31
	s_and_b32 exec_lo, exec_lo, vcc_lo
	s_cbranch_execz .LBB75_78
; %bb.107:
	v_cmp_ne_u32_e32 vcc_lo, 1, v9
	v_mov_b32_e32 v2, 1.0
	s_cbranch_vccnz .LBB75_109
; %bb.108:
	v_div_scale_f32 v0, null, v15, v15, 1.0
	v_rcp_f32_e32 v1, v0
	v_fma_f32 v2, -v0, v1, 1.0
	v_fmac_f32_e32 v1, v2, v1
	v_div_scale_f32 v2, vcc_lo, 1.0, v15, 1.0
	v_mul_f32_e32 v3, v2, v1
	v_fma_f32 v4, -v0, v3, v2
	v_fmac_f32_e32 v3, v4, v1
	v_fma_f32 v0, -v0, v3, v2
	v_div_fmas_f32 v0, v0, v1, v3
	v_div_fixup_f32 v2, v0, v15, 1.0
.LBB75_109:
	v_add_nc_u32_e32 v0, s5, v28
	v_mov_b32_e32 v4, 0
	v_cvt_f32_f16_sdwa v5, v46 dst_sel:DWORD dst_unused:UNUSED_PAD src0_sel:WORD_1
	v_cvt_f32_f16_e32 v6, v47
	v_cvt_f32_f16_sdwa v12, v47 dst_sel:DWORD dst_unused:UNUSED_PAD src0_sel:WORD_1
	v_mad_u64_u32 v[0:1], null, v0, s3, s[4:5]
	v_mad_u64_u32 v[0:1], null, s1, v0, s[28:29]
	v_cvt_f32_f16_e32 v1, v46
	v_lshl_add_u32 v3, v0, 7, v35
	v_lshlrev_b64 v[10:11], 2, v[3:4]
	v_mul_f32_e32 v3, v2, v1
	v_mul_f32_e32 v4, v2, v5
	;; [unrolled: 1-line block ×4, first 2 shown]
	v_add_co_u32 v1, vcc_lo, s20, v10
	v_add_co_ci_u32_e64 v2, null, s21, v11, vcc_lo
	global_store_dwordx4 v[1:2], v[3:6], off
	s_and_saveexec_b32 s4, s7
	s_cbranch_execz .LBB75_111
; %bb.110:
	v_ashrrev_i32_e32 v1, 31, v0
	v_mov_b32_e32 v22, v7
	v_lshlrev_b64 v[0:1], 3, v[0:1]
	v_add_co_u32 v0, vcc_lo, s22, v0
	v_add_co_ci_u32_e64 v1, null, s23, v1, vcc_lo
	global_store_dwordx2 v[0:1], v[22:23], off
.LBB75_111:
	s_or_b32 exec_lo, exec_lo, s4
	v_cmp_gt_i32_e32 vcc_lo, s2, v29
	s_and_b32 exec_lo, exec_lo, vcc_lo
	s_cbranch_execz .LBB75_78
; %bb.112:
	v_cmp_ne_u32_e32 vcc_lo, 1, v9
	v_mov_b32_e32 v2, 1.0
	s_cbranch_vccnz .LBB75_114
; %bb.113:
	v_div_scale_f32 v0, null, v16, v16, 1.0
	v_rcp_f32_e32 v1, v0
	v_fma_f32 v2, -v0, v1, 1.0
	v_fmac_f32_e32 v1, v2, v1
	v_div_scale_f32 v2, vcc_lo, 1.0, v16, 1.0
	v_mul_f32_e32 v3, v2, v1
	v_fma_f32 v4, -v0, v3, v2
	v_fmac_f32_e32 v3, v4, v1
	v_fma_f32 v0, -v0, v3, v2
	v_div_fmas_f32 v0, v0, v1, v3
	v_div_fixup_f32 v2, v0, v16, 1.0
.LBB75_114:
	v_add_nc_u32_e32 v0, s5, v27
	v_mov_b32_e32 v4, 0
	v_cvt_f32_f16_sdwa v5, v45 dst_sel:DWORD dst_unused:UNUSED_PAD src0_sel:WORD_1
	v_cvt_f32_f16_e32 v6, v44
	v_cvt_f32_f16_sdwa v7, v44 dst_sel:DWORD dst_unused:UNUSED_PAD src0_sel:WORD_1
	v_mad_u64_u32 v[0:1], null, v0, s3, s[0:1]
	v_mad_u64_u32 v[0:1], null, s1, v0, s[28:29]
	v_cvt_f32_f16_e32 v1, v45
	v_lshl_add_u32 v3, v0, 7, v35
	v_lshlrev_b64 v[9:10], 2, v[3:4]
	v_mul_f32_e32 v3, v2, v1
	v_mul_f32_e32 v4, v2, v5
	;; [unrolled: 1-line block ×4, first 2 shown]
	v_add_co_u32 v1, vcc_lo, s20, v9
	v_add_co_ci_u32_e64 v2, null, s21, v10, vcc_lo
	global_store_dwordx4 v[1:2], v[3:6], off
	s_and_b32 exec_lo, exec_lo, s7
	s_cbranch_execz .LBB75_78
; %bb.115:
	v_ashrrev_i32_e32 v1, 31, v0
	v_mov_b32_e32 v23, v8
	v_lshlrev_b64 v[0:1], 3, v[0:1]
	v_add_co_u32 v0, vcc_lo, s22, v0
	v_add_co_ci_u32_e64 v1, null, s23, v1, vcc_lo
	global_store_dwordx2 v[0:1], v[23:24], off
	s_endpgm
	.section	.rodata,"a",@progbits
	.p2align	6, 0x0
	.amdhsa_kernel _ZL15flash_attn_tileILi128ELi128ELi16ELi4ELb1EEvPKcS1_S1_S1_S1_PKiPfP15HIP_vector_typeIfLj2EEffffjfiS5_IjLj3EEiiiiiiiiiiiliiliiiiil
		.amdhsa_group_segment_fixed_size 33792
		.amdhsa_private_segment_fixed_size 0
		.amdhsa_kernarg_size 464
		.amdhsa_user_sgpr_count 6
		.amdhsa_user_sgpr_private_segment_buffer 1
		.amdhsa_user_sgpr_dispatch_ptr 0
		.amdhsa_user_sgpr_queue_ptr 0
		.amdhsa_user_sgpr_kernarg_segment_ptr 1
		.amdhsa_user_sgpr_dispatch_id 0
		.amdhsa_user_sgpr_flat_scratch_init 0
		.amdhsa_user_sgpr_private_segment_size 0
		.amdhsa_wavefront_size32 1
		.amdhsa_uses_dynamic_stack 0
		.amdhsa_system_sgpr_private_segment_wavefront_offset 0
		.amdhsa_system_sgpr_workgroup_id_x 1
		.amdhsa_system_sgpr_workgroup_id_y 1
		.amdhsa_system_sgpr_workgroup_id_z 1
		.amdhsa_system_sgpr_workgroup_info 0
		.amdhsa_system_vgpr_workitem_id 1
		.amdhsa_next_free_vgpr 172
		.amdhsa_next_free_sgpr 43
		.amdhsa_reserve_vcc 1
		.amdhsa_reserve_flat_scratch 0
		.amdhsa_float_round_mode_32 0
		.amdhsa_float_round_mode_16_64 0
		.amdhsa_float_denorm_mode_32 3
		.amdhsa_float_denorm_mode_16_64 3
		.amdhsa_dx10_clamp 1
		.amdhsa_ieee_mode 1
		.amdhsa_fp16_overflow 0
		.amdhsa_workgroup_processor_mode 1
		.amdhsa_memory_ordered 1
		.amdhsa_forward_progress 1
		.amdhsa_shared_vgpr_count 0
		.amdhsa_exception_fp_ieee_invalid_op 0
		.amdhsa_exception_fp_denorm_src 0
		.amdhsa_exception_fp_ieee_div_zero 0
		.amdhsa_exception_fp_ieee_overflow 0
		.amdhsa_exception_fp_ieee_underflow 0
		.amdhsa_exception_fp_ieee_inexact 0
		.amdhsa_exception_int_div_zero 0
	.end_amdhsa_kernel
	.section	.text._ZL15flash_attn_tileILi128ELi128ELi16ELi4ELb1EEvPKcS1_S1_S1_S1_PKiPfP15HIP_vector_typeIfLj2EEffffjfiS5_IjLj3EEiiiiiiiiiiiliiliiiiil,"axG",@progbits,_ZL15flash_attn_tileILi128ELi128ELi16ELi4ELb1EEvPKcS1_S1_S1_S1_PKiPfP15HIP_vector_typeIfLj2EEffffjfiS5_IjLj3EEiiiiiiiiiiiliiliiiiil,comdat
.Lfunc_end75:
	.size	_ZL15flash_attn_tileILi128ELi128ELi16ELi4ELb1EEvPKcS1_S1_S1_S1_PKiPfP15HIP_vector_typeIfLj2EEffffjfiS5_IjLj3EEiiiiiiiiiiiliiliiiiil, .Lfunc_end75-_ZL15flash_attn_tileILi128ELi128ELi16ELi4ELb1EEvPKcS1_S1_S1_S1_PKiPfP15HIP_vector_typeIfLj2EEffffjfiS5_IjLj3EEiiiiiiiiiiiliiliiiiil
                                        ; -- End function
	.set _ZL15flash_attn_tileILi128ELi128ELi16ELi4ELb1EEvPKcS1_S1_S1_S1_PKiPfP15HIP_vector_typeIfLj2EEffffjfiS5_IjLj3EEiiiiiiiiiiiliiliiiiil.num_vgpr, 172
	.set _ZL15flash_attn_tileILi128ELi128ELi16ELi4ELb1EEvPKcS1_S1_S1_S1_PKiPfP15HIP_vector_typeIfLj2EEffffjfiS5_IjLj3EEiiiiiiiiiiiliiliiiiil.num_agpr, 0
	.set _ZL15flash_attn_tileILi128ELi128ELi16ELi4ELb1EEvPKcS1_S1_S1_S1_PKiPfP15HIP_vector_typeIfLj2EEffffjfiS5_IjLj3EEiiiiiiiiiiiliiliiiiil.numbered_sgpr, 43
	.set _ZL15flash_attn_tileILi128ELi128ELi16ELi4ELb1EEvPKcS1_S1_S1_S1_PKiPfP15HIP_vector_typeIfLj2EEffffjfiS5_IjLj3EEiiiiiiiiiiiliiliiiiil.num_named_barrier, 0
	.set _ZL15flash_attn_tileILi128ELi128ELi16ELi4ELb1EEvPKcS1_S1_S1_S1_PKiPfP15HIP_vector_typeIfLj2EEffffjfiS5_IjLj3EEiiiiiiiiiiiliiliiiiil.private_seg_size, 0
	.set _ZL15flash_attn_tileILi128ELi128ELi16ELi4ELb1EEvPKcS1_S1_S1_S1_PKiPfP15HIP_vector_typeIfLj2EEffffjfiS5_IjLj3EEiiiiiiiiiiiliiliiiiil.uses_vcc, 1
	.set _ZL15flash_attn_tileILi128ELi128ELi16ELi4ELb1EEvPKcS1_S1_S1_S1_PKiPfP15HIP_vector_typeIfLj2EEffffjfiS5_IjLj3EEiiiiiiiiiiiliiliiiiil.uses_flat_scratch, 0
	.set _ZL15flash_attn_tileILi128ELi128ELi16ELi4ELb1EEvPKcS1_S1_S1_S1_PKiPfP15HIP_vector_typeIfLj2EEffffjfiS5_IjLj3EEiiiiiiiiiiiliiliiiiil.has_dyn_sized_stack, 0
	.set _ZL15flash_attn_tileILi128ELi128ELi16ELi4ELb1EEvPKcS1_S1_S1_S1_PKiPfP15HIP_vector_typeIfLj2EEffffjfiS5_IjLj3EEiiiiiiiiiiiliiliiiiil.has_recursion, 0
	.set _ZL15flash_attn_tileILi128ELi128ELi16ELi4ELb1EEvPKcS1_S1_S1_S1_PKiPfP15HIP_vector_typeIfLj2EEffffjfiS5_IjLj3EEiiiiiiiiiiiliiliiiiil.has_indirect_call, 0
	.section	.AMDGPU.csdata,"",@progbits
; Kernel info:
; codeLenInByte = 51208
; TotalNumSgprs: 45
; NumVgprs: 172
; ScratchSize: 0
; MemoryBound: 0
; FloatMode: 240
; IeeeMode: 1
; LDSByteSize: 33792 bytes/workgroup (compile time only)
; SGPRBlocks: 0
; VGPRBlocks: 21
; NumSGPRsForWavesPerEU: 45
; NumVGPRsForWavesPerEU: 172
; Occupancy: 5
; WaveLimiterHint : 1
; COMPUTE_PGM_RSRC2:SCRATCH_EN: 0
; COMPUTE_PGM_RSRC2:USER_SGPR: 6
; COMPUTE_PGM_RSRC2:TRAP_HANDLER: 0
; COMPUTE_PGM_RSRC2:TGID_X_EN: 1
; COMPUTE_PGM_RSRC2:TGID_Y_EN: 1
; COMPUTE_PGM_RSRC2:TGID_Z_EN: 1
; COMPUTE_PGM_RSRC2:TIDIG_COMP_CNT: 1
	.section	.text._ZL15flash_attn_tileILi128ELi128ELi8ELi4ELb1EEvPKcS1_S1_S1_S1_PKiPfP15HIP_vector_typeIfLj2EEffffjfiS5_IjLj3EEiiiiiiiiiiiliiliiiiil,"axG",@progbits,_ZL15flash_attn_tileILi128ELi128ELi8ELi4ELb1EEvPKcS1_S1_S1_S1_PKiPfP15HIP_vector_typeIfLj2EEffffjfiS5_IjLj3EEiiiiiiiiiiiliiliiiiil,comdat
	.globl	_ZL15flash_attn_tileILi128ELi128ELi8ELi4ELb1EEvPKcS1_S1_S1_S1_PKiPfP15HIP_vector_typeIfLj2EEffffjfiS5_IjLj3EEiiiiiiiiiiiliiliiiiil ; -- Begin function _ZL15flash_attn_tileILi128ELi128ELi8ELi4ELb1EEvPKcS1_S1_S1_S1_PKiPfP15HIP_vector_typeIfLj2EEffffjfiS5_IjLj3EEiiiiiiiiiiiliiliiiiil
	.p2align	8
	.type	_ZL15flash_attn_tileILi128ELi128ELi8ELi4ELb1EEvPKcS1_S1_S1_S1_PKiPfP15HIP_vector_typeIfLj2EEffffjfiS5_IjLj3EEiiiiiiiiiiiliiliiiiil,@function
_ZL15flash_attn_tileILi128ELi128ELi8ELi4ELb1EEvPKcS1_S1_S1_S1_PKiPfP15HIP_vector_typeIfLj2EEffffjfiS5_IjLj3EEiiiiiiiiiiiliiliiiiil: ; @_ZL15flash_attn_tileILi128ELi128ELi8ELi4ELb1EEvPKcS1_S1_S1_S1_PKiPfP15HIP_vector_typeIfLj2EEffffjfiS5_IjLj3EEiiiiiiiiiiiliiliiiiil
; %bb.0:
	s_clause 0x1
	s_load_dwordx4 s[0:3], s[4:5], 0x5c
	s_load_dwordx2 s[34:35], s[4:5], 0x80
	s_mov_b32 s28, s7
	s_mov_b64 s[36:37], 0
	s_waitcnt lgkmcnt(0)
	s_ashr_i32 s7, s3, 31
	s_lshr_b32 s7, s7, 30
	s_add_i32 s7, s3, s7
	s_ashr_i32 s7, s7, 2
	v_cvt_f32_u32_e32 v2, s7
	s_sub_i32 s10, 0, s7
	v_rcp_iflag_f32_e32 v2, v2
	v_mul_f32_e32 v2, 0x4f7ffffe, v2
	v_cvt_u32_f32_e32 v2, v2
	v_readfirstlane_b32 s9, v2
	s_mul_i32 s10, s10, s9
	s_mul_hi_u32 s10, s9, s10
	s_add_i32 s9, s9, s10
	s_mul_hi_u32 s9, s8, s9
	s_mul_i32 s10, s9, s7
	s_add_i32 s11, s9, 1
	s_sub_i32 s10, s8, s10
	s_sub_i32 s12, s10, s7
	s_cmp_ge_u32 s10, s7
	s_cselect_b32 s9, s11, s9
	s_cselect_b32 s10, s12, s10
	s_add_i32 s11, s9, 1
	s_cmp_ge_u32 s10, s7
	s_cselect_b32 s7, s11, s9
	s_abs_i32 s9, s35
	s_lshl_b32 s8, s8, 2
	v_cvt_f32_u32_e32 v2, s9
	s_sub_i32 s11, 0, s9
	s_mul_i32 s12, s7, s3
	s_abs_i32 s13, s3
	s_sub_i32 s30, s8, s12
	v_rcp_iflag_f32_e32 v2, v2
	v_mul_f32_e32 v2, 0x4f7ffffe, v2
	v_cvt_u32_f32_e32 v2, v2
	v_readfirstlane_b32 s10, v2
	s_mul_i32 s11, s11, s10
	s_mul_hi_u32 s11, s10, s11
	s_add_i32 s10, s10, s11
	s_mul_hi_u32 s8, s13, s10
	s_xor_b32 s10, s3, s35
	s_mul_i32 s11, s8, s9
	s_ashr_i32 s10, s10, 31
	s_sub_i32 s11, s13, s11
	s_add_i32 s12, s8, 1
	s_sub_i32 s13, s11, s9
	s_cmp_ge_u32 s11, s9
	s_cselect_b32 s8, s12, s8
	s_cselect_b32 s11, s13, s11
	s_add_i32 s12, s8, 1
	s_cmp_ge_u32 s11, s9
	s_cselect_b32 s8, s12, s8
	s_xor_b32 s8, s8, s10
	s_sub_i32 s31, s8, s10
	s_clause 0x1
	s_load_dwordx16 s[8:23], s[4:5], 0x0
	s_load_dwordx2 s[38:39], s[4:5], 0xb8
	s_abs_i32 s29, s31
	v_cvt_f32_u32_e32 v2, s29
	v_rcp_iflag_f32_e32 v2, v2
	v_mul_f32_e32 v2, 0x4f7ffffe, v2
	s_waitcnt lgkmcnt(0)
	s_cmp_eq_u64 s[14:15], 0
	v_cvt_u32_f32_e32 v2, v2
	v_readfirstlane_b32 s33, v2
	s_cbranch_scc1 .LBB76_2
; %bb.1:
	s_abs_i32 s26, s38
	s_abs_i32 s27, s7
	v_cvt_f32_u32_e32 v2, s26
	s_sub_i32 s25, 0, s26
	v_rcp_iflag_f32_e32 v2, v2
	v_mul_f32_e32 v2, 0x4f7ffffe, v2
	v_cvt_u32_f32_e32 v2, v2
	v_readfirstlane_b32 s24, v2
	s_mul_i32 s25, s25, s24
	s_mul_hi_u32 s25, s24, s25
	s_add_i32 s24, s24, s25
	s_mul_hi_u32 s35, s27, s24
	s_load_dwordx2 s[24:25], s[4:5], 0xc8
	s_mul_i32 s35, s35, s26
	s_sub_i32 s27, s27, s35
	s_ashr_i32 s35, s7, 31
	s_sub_i32 s36, s27, s26
	s_cmp_ge_u32 s27, s26
	s_cselect_b32 s27, s36, s27
	s_sub_i32 s36, s27, s26
	s_cmp_ge_u32 s27, s26
	s_cselect_b32 s26, s36, s27
	s_xor_b32 s26, s26, s35
	s_sub_i32 s26, s26, s35
	s_ashr_i32 s27, s26, 31
	s_waitcnt lgkmcnt(0)
	s_mul_hi_u32 s35, s24, s26
	s_mul_i32 s27, s24, s27
	s_mul_i32 s25, s25, s26
	s_add_i32 s27, s35, s27
	s_mul_i32 s24, s24, s26
	s_add_i32 s27, s27, s25
	s_add_u32 s36, s14, s24
	s_addc_u32 s37, s15, s27
.LBB76_2:
	v_lshl_add_u32 v25, s6, 3, v1
	s_load_dwordx4 s[24:27], s[4:5], 0x70
	v_lshlrev_b32_e32 v44, 3, v0
	v_mul_hi_u32 v2, s0, v25
	v_add_nc_u32_e32 v2, v25, v2
	v_lshrrev_b32_e32 v2, s1, v2
	s_waitcnt lgkmcnt(0)
	s_mul_i32 s1, s7, s26
	s_mul_i32 s14, s30, s25
	v_mul_lo_u32 v2, v2, s2
	s_ashr_i32 s15, s1, 31
	s_add_u32 s1, s8, s1
	s_addc_u32 s8, s9, s15
	s_ashr_i32 s9, s14, 31
	s_add_u32 s14, s1, s14
	s_mov_b32 s0, s24
	s_addc_u32 s15, s8, s9
	v_sub_nc_u32_e32 v2, v25, v2
	s_ashr_i32 s1, s24, 31
	s_lshr_b64 s[8:9], s[0:1], 2
	s_lshr_b32 s0, s1, 2
	v_mad_u64_u32 v[3:4], null, s8, v2, 0
	s_ashr_i32 s1, s25, 31
	v_mad_u64_u32 v[4:5], null, s0, v2, v[4:5]
	v_lshlrev_b32_e32 v5, 4, v0
	s_mov_b32 s0, s25
	s_lshr_b64 s[8:9], s[0:1], 2
	s_and_b32 s0, s25, -4
	v_lshlrev_b64 v[3:4], 2, v[3:4]
	v_add_co_u32 v3, vcc_lo, s14, v3
	v_add_co_ci_u32_e64 v4, null, s15, v4, vcc_lo
	s_lshl_b64 s[14:15], s[8:9], 3
	v_add_co_u32 v8, vcc_lo, v3, v5
	v_add_co_ci_u32_e64 v9, null, 0, v4, vcc_lo
	s_cmp_eq_u64 s[18:19], 0
	v_add_co_u32 v10, vcc_lo, v8, s0
	global_load_dwordx4 v[4:7], v[8:9], off
	v_mad_u64_u32 v[16:17], null, s8, 12, v[8:9]
	v_add_co_ci_u32_e64 v11, null, s1, v9, vcc_lo
	v_add_co_u32 v12, vcc_lo, v8, s14
	v_add_co_ci_u32_e64 v13, null, s15, v9, vcc_lo
	v_mov_b32_e32 v3, v17
	s_load_dword s0, s[4:5], 0x40
	s_clause 0x1
	global_load_dwordx4 v[12:15], v[12:13], off
	global_load_dwordx4 v[8:11], v[10:11], off
	s_waitcnt vmcnt(2)
	v_mad_u64_u32 v[17:18], null, s1, 12, v[3:4]
	s_waitcnt lgkmcnt(0)
	v_fma_mixlo_f16 v5, s0, v5, 0
	v_fma_mixlo_f16 v4, s0, v4, 0
	v_fma_mixlo_f16 v7, s0, v7, 0
	v_fma_mixlo_f16 v6, s0, v6, 0
	v_lshlrev_b32_e32 v3, 10, v1
	v_lshlrev_b32_e32 v5, 16, v5
	global_load_dwordx4 v[16:19], v[16:17], off
	v_and_b32_e32 v4, 0xffff, v4
	v_lshlrev_b32_e32 v7, 16, v7
	v_and_b32_e32 v6, 0xffff, v6
	s_waitcnt vmcnt(2)
	v_fma_mixlo_f16 v12, s0, v12, 0
	s_waitcnt vmcnt(1)
	v_fma_mixlo_f16 v8, s0, v8, 0
	v_fma_mixlo_f16 v9, s0, v9, 0
	v_fma_mixlo_f16 v10, s0, v10, 0
	v_fma_mixlo_f16 v11, s0, v11, 0
	v_fma_mixlo_f16 v13, s0, v13, 0
	v_fma_mixlo_f16 v14, s0, v14, 0
	v_fma_mixlo_f16 v15, s0, v15, 0
	v_or_b32_e32 v4, v5, v4
	v_or3_b32 v5, v7, v6, 0
	v_lshlrev_b32_e32 v6, 16, v9
	v_and_b32_e32 v7, 0xffff, v8
	v_lshlrev_b32_e32 v8, 16, v11
	v_and_b32_e32 v9, 0xffff, v10
	v_lshlrev_b32_e32 v10, 16, v13
	v_and_b32_e32 v11, 0xffff, v12
	v_lshlrev_b32_e32 v12, 16, v15
	v_and_b32_e32 v13, 0xffff, v14
	v_add_nc_u32_e32 v45, 0x6800, v3
	v_or_b32_e32 v6, v6, v7
	v_or3_b32 v7, v8, v9, 0
	v_or_b32_e32 v8, v10, v11
	v_or3_b32 v4, 0, 0, v4
	v_add_nc_u32_e32 v20, v45, v44
	v_or3_b32 v6, 0, 0, v6
	v_or3_b32 v9, v12, v13, 0
	;; [unrolled: 1-line block ×3, first 2 shown]
	s_waitcnt vmcnt(0)
	v_fma_mixlo_f16 v14, s0, v17, 0
	v_fma_mixlo_f16 v15, s0, v16, 0
	;; [unrolled: 1-line block ×4, first 2 shown]
	v_lshlrev_b32_e32 v14, 16, v14
	v_and_b32_e32 v15, 0xffff, v15
	v_and_b32_e32 v11, 0xffff, v16
	v_lshlrev_b32_e32 v10, 16, v17
	v_or_b32_e32 v14, v14, v15
	v_or3_b32 v11, v10, v11, 0
	v_or3_b32 v10, 0, 0, v14
	ds_write2_b64 v20, v[4:5], v[6:7] offset1:32
	ds_write2_b64 v20, v[8:9], v[10:11] offset0:64 offset1:96
	s_waitcnt lgkmcnt(0)
	s_barrier
	buffer_gl0_inv
	s_cbranch_scc1 .LBB76_4
; %bb.3:
	s_load_dword s0, s[4:5], 0xd0
	s_mov_b32 s1, 0
	s_waitcnt lgkmcnt(0)
	s_mul_i32 s0, s0, s7
	s_add_i32 s0, s0, s6
	s_lshl_b64 s[0:1], s[0:1], 2
	s_add_u32 s0, s18, s0
	s_addc_u32 s1, s19, s1
	s_load_dword s34, s[0:1], 0x0
.LBB76_4:
	v_mbcnt_lo_u32_b32 v46, -1, 0
	s_lshl_b32 s6, s28, 7
	s_waitcnt lgkmcnt(0)
	s_cmp_lt_i32 s6, s34
	s_cbranch_scc1 .LBB76_7
; %bb.5:
	v_mbcnt_lo_u32_b32 v7, -1, 0
	v_mov_b32_e32 v47, 32
	v_xor_b32_e32 v76, 16, v7
	v_xor_b32_e32 v75, 8, v7
	;; [unrolled: 1-line block ×5, first 2 shown]
	v_lshlrev_b32_e32 v43, 2, v0
	s_cbranch_execz .LBB76_8
; %bb.6:
	v_mov_b32_e32 v65, 0
	v_mov_b32_e32 v5, 0
	;; [unrolled: 1-line block ×16, first 2 shown]
	s_branch .LBB76_76
.LBB76_7:
                                        ; implicit-def: $vgpr7
                                        ; implicit-def: $vgpr47
                                        ; implicit-def: $vgpr76
                                        ; implicit-def: $vgpr75
                                        ; implicit-def: $vgpr74
                                        ; implicit-def: $vgpr73
                                        ; implicit-def: $vgpr72
	v_lshlrev_b32_e32 v43, 2, v0
.LBB76_8:
	s_clause 0x1
	s_load_dwordx4 s[24:27], s[4:5], 0x98
	s_load_dwordx2 s[0:1], s[4:5], 0x8c
	s_sub_i32 s8, 0, s29
	s_ashr_i32 s38, s7, 31
	s_mul_i32 s8, s8, s33
	s_abs_i32 s14, s30
	s_mul_hi_u32 s8, s33, s8
	s_ashr_i32 s15, s30, 31
	s_add_i32 s33, s33, s8
	s_ashr_i32 s31, s31, 31
	s_mul_hi_u32 s33, s14, s33
	s_ashr_i32 s35, s39, 1
	s_load_dwordx2 s[18:19], s[4:5], 0xa8
	s_mul_i32 s39, s33, s29
	v_lshrrev_b32_e32 v4, 3, v0
	v_and_b32_e32 v8, 28, v43
	v_lshrrev_b32_e32 v7, 4, v0
	v_and_b32_e32 v20, 60, v43
	v_mov_b32_e32 v21, 0
	v_lshl_add_u32 v5, v1, 2, v4
	s_waitcnt lgkmcnt(0)
	s_ashr_i32 s8, s26, 2
	s_ashr_i32 s9, s0, 2
	s_mul_hi_u32 s0, s24, s7
	s_mul_i32 s26, s24, s38
	s_mul_i32 s25, s25, s7
	s_add_i32 s0, s0, s26
	s_mul_i32 s24, s24, s7
	s_add_i32 s0, s0, s25
	s_add_u32 s24, s10, s24
	s_addc_u32 s0, s11, s0
	s_sub_i32 s10, s14, s39
	s_xor_b32 s11, s15, s31
	s_add_i32 s14, s33, 1
	s_sub_i32 s15, s10, s29
	s_cmp_ge_u32 s10, s29
	v_mul_lo_u32 v4, s9, v5
	s_cselect_b32 s14, s14, s33
	s_cselect_b32 s10, s15, s10
	s_add_i32 s15, s14, 1
	s_cmp_ge_u32 s10, s29
	s_load_dword s10, s[4:5], 0x54
	s_cselect_b32 s14, s15, s14
	s_mul_hi_u32 s15, s18, s7
	s_xor_b32 s14, s14, s11
	s_mul_i32 s26, s18, s38
	s_sub_i32 s25, s14, s11
	s_mul_i32 s19, s19, s7
	s_mul_i32 s1, s25, s1
	;; [unrolled: 1-line block ×3, first 2 shown]
	s_ashr_i32 s14, s1, 31
	s_add_u32 s11, s24, s1
	s_addc_u32 s14, s0, s14
	s_add_i32 s0, s15, s26
	s_mul_i32 s1, s18, s7
	s_add_i32 s0, s0, s19
	s_add_u32 s1, s12, s1
	v_lshlrev_b32_e32 v6, 2, v8
	s_addc_u32 s0, s13, s0
	s_ashr_i32 s13, s25, 31
	s_add_u32 s12, s1, s25
	s_addc_u32 s13, s0, s13
	s_lshl_b32 s0, s9, 5
	v_lshl_add_u32 v9, v1, 1, v7
	v_mad_u32_u24 v48, 0x90, v5, v6
	v_add_nc_u32_e32 v6, s0, v4
	v_lshlrev_b32_e32 v15, 2, v20
	v_ashrrev_i32_e32 v5, 31, v4
	v_mul_lo_u32 v1, s8, v9
	v_add_nc_u32_e32 v49, 0x1200, v48
	v_add_nc_u32_e32 v10, s0, v6
	v_ashrrev_i32_e32 v7, 31, v6
	v_lshl_or_b32 v53, v9, 8, v15
	v_add_nc_u32_e32 v50, 0x2400, v48
	v_add_nc_u32_e32 v51, 0x3600, v48
	;; [unrolled: 1-line block ×3, first 2 shown]
	s_lshl_b32 s0, s8, 4
	v_ashrrev_i32_e32 v11, 31, v10
	v_add_nc_u32_e32 v14, s0, v1
	v_mad_u64_u32 v[26:27], null, v2, s35, v[0:1]
	v_ashrrev_i32_e32 v13, 31, v12
	v_ashrrev_i32_e32 v2, 31, v1
	v_add_nc_u32_e32 v16, s0, v14
	v_ashrrev_i32_e32 v15, 31, v14
	v_lshlrev_b64 v[27:28], 2, v[4:5]
	v_lshlrev_b64 v[29:30], 2, v[6:7]
	;; [unrolled: 1-line block ×3, first 2 shown]
	v_add_nc_u32_e32 v18, s0, v16
	v_ashrrev_i32_e32 v17, 31, v16
	v_lshlrev_b64 v[33:34], 2, v[12:13]
	v_lshlrev_b64 v[35:36], 2, v[1:2]
	;; [unrolled: 1-line block ×3, first 2 shown]
	v_ashrrev_i32_e32 v19, 31, v18
	v_lshlrev_b64 v[39:40], 2, v[16:17]
	v_mul_u32_u24_e32 v52, 0x90, v0
	v_add_nc_u32_e32 v54, 0x4800, v3
	v_add_nc_u32_e32 v55, 0x1000, v53
	v_lshlrev_b64 v[41:42], 2, v[18:19]
	v_add_nc_u32_e32 v56, 0x2000, v53
	v_add_nc_u32_e32 v57, 0x3000, v53
	v_mov_b32_e32 v9, 0xfeffffff
	v_lshlrev_b32_e32 v58, 2, v8
	v_mov_b32_e32 v47, 32
	v_lshlrev_b32_e32 v59, 2, v20
	v_mov_b32_e32 v60, 0x10001
	v_mov_b32_e32 v22, 0
	;; [unrolled: 1-line block ×15, first 2 shown]
	s_add_u32 s0, s4, 0xd0
	s_addc_u32 s1, s5, 0
	s_mov_b32 s15, 0xbbbac73d
.LBB76_9:                               ; =>This Inner Loop Header: Depth=1
	s_mul_hi_i32 s19, s6, s9
	s_mul_i32 s18, s6, s9
	v_mov_b32_e32 v72, 0
	s_lshl_b64 s[18:19], s[18:19], 2
	v_mov_b32_e32 v18, 0
	s_add_u32 s18, s11, s18
	s_addc_u32 s19, s14, s19
	v_add_co_u32 v1, vcc_lo, s18, v27
	v_add_co_ci_u32_e64 v2, null, s19, v28, vcc_lo
	v_add_co_u32 v3, vcc_lo, s18, v29
	v_add_co_ci_u32_e64 v4, null, s19, v30, vcc_lo
	;; [unrolled: 2-line block ×8, first 2 shown]
	s_clause 0x3
	global_load_dwordx4 v[10:13], v[1:2], off
	global_load_dwordx4 v[73:76], v[3:4], off
	;; [unrolled: 1-line block ×4, first 2 shown]
	v_mov_b32_e32 v14, 0
	v_mov_b32_e32 v19, 0
	;; [unrolled: 1-line block ×6, first 2 shown]
	s_waitcnt vmcnt(3)
	ds_write_b128 v48, v[10:13]
	s_waitcnt vmcnt(2)
	ds_write_b128 v49, v[73:76]
	;; [unrolled: 2-line block ×4, first 2 shown]
	s_waitcnt lgkmcnt(0)
	s_barrier
	buffer_gl0_inv
	ds_read_b128 v[78:81], v52
	ds_read_b128 v[82:85], v45
	ds_read_b128 v[86:89], v45 offset:256
	ds_read_b128 v[90:93], v45 offset:512
	;; [unrolled: 1-line block ×6, first 2 shown]
	s_waitcnt lgkmcnt(6)
	;;#ASMSTART
	v_dot2_f32_f16 v72, v78, v82, v72
	;;#ASMEND
	;;#ASMSTART
	v_dot2_f32_f16 v72, v79, v83, v72
	;;#ASMEND
	;; [unrolled: 3-line block ×4, first 2 shown]
	s_waitcnt lgkmcnt(5)
	;;#ASMSTART
	v_dot2_f32_f16 v18, v78, v86, v18
	;;#ASMEND
	;;#ASMSTART
	v_dot2_f32_f16 v18, v79, v87, v18
	;;#ASMEND
	;;#ASMSTART
	v_dot2_f32_f16 v18, v80, v88, v18
	;;#ASMEND
	;;#ASMSTART
	v_dot2_f32_f16 v18, v81, v89, v18
	;;#ASMEND
	s_waitcnt lgkmcnt(4)
	;;#ASMSTART
	v_dot2_f32_f16 v14, v78, v90, v14
	;;#ASMEND
	;;#ASMSTART
	v_dot2_f32_f16 v14, v79, v91, v14
	;;#ASMEND
	v_mov_b32_e32 v10, 0
	;;#ASMSTART
	v_dot2_f32_f16 v14, v80, v92, v14
	;;#ASMEND
	;;#ASMSTART
	v_dot2_f32_f16 v14, v81, v93, v14
	;;#ASMEND
	s_waitcnt lgkmcnt(3)
	;;#ASMSTART
	v_dot2_f32_f16 v10, v78, v94, v10
	;;#ASMEND
	;;#ASMSTART
	v_dot2_f32_f16 v10, v79, v95, v10
	;;#ASMEND
	v_mov_b32_e32 v73, 0
	;;#ASMSTART
	v_dot2_f32_f16 v10, v80, v96, v10
	;;#ASMEND
	;;#ASMSTART
	v_dot2_f32_f16 v10, v81, v97, v10
	;;#ASMEND
	s_waitcnt lgkmcnt(2)
	;;#ASMSTART
	v_dot2_f32_f16 v73, v98, v82, v73
	;;#ASMEND
	;;#ASMSTART
	v_dot2_f32_f16 v73, v99, v83, v73
	;;#ASMEND
	;; [unrolled: 3-line block ×10, first 2 shown]
	v_mov_b32_e32 v11, 0
	;;#ASMSTART
	v_dot2_f32_f16 v15, v100, v92, v15
	;;#ASMEND
	;;#ASMSTART
	v_dot2_f32_f16 v15, v101, v93, v15
	;;#ASMEND
	;; [unrolled: 3-line block ×4, first 2 shown]
	v_mov_b32_e32 v74, 0
	;;#ASMSTART
	v_dot2_f32_f16 v11, v100, v96, v11
	;;#ASMEND
	;;#ASMSTART
	v_dot2_f32_f16 v11, v101, v97, v11
	;;#ASMEND
	s_waitcnt lgkmcnt(1)
	;;#ASMSTART
	v_dot2_f32_f16 v74, v102, v82, v74
	;;#ASMEND
	;;#ASMSTART
	v_dot2_f32_f16 v74, v103, v83, v74
	;;#ASMEND
	;;#ASMSTART
	v_dot2_f32_f16 v74, v104, v84, v74
	;;#ASMEND
	;;#ASMSTART
	v_dot2_f32_f16 v74, v105, v85, v74
	;;#ASMEND
	;;#ASMSTART
	v_dot2_f32_f16 v20, v102, v86, v20
	;;#ASMEND
	;;#ASMSTART
	v_dot2_f32_f16 v20, v103, v87, v20
	;;#ASMEND
	;;#ASMSTART
	v_dot2_f32_f16 v20, v104, v88, v20
	;;#ASMEND
	;;#ASMSTART
	v_dot2_f32_f16 v20, v105, v89, v20
	;;#ASMEND
	;;#ASMSTART
	v_dot2_f32_f16 v16, v102, v90, v16
	;;#ASMEND
	;;#ASMSTART
	v_dot2_f32_f16 v16, v103, v91, v16
	;;#ASMEND
	v_mov_b32_e32 v12, 0
	;;#ASMSTART
	v_dot2_f32_f16 v16, v104, v92, v16
	;;#ASMEND
	;;#ASMSTART
	v_dot2_f32_f16 v16, v105, v93, v16
	;;#ASMEND
	;; [unrolled: 3-line block ×4, first 2 shown]
	v_mov_b32_e32 v75, 0
	;;#ASMSTART
	v_dot2_f32_f16 v12, v104, v96, v12
	;;#ASMEND
	;;#ASMSTART
	v_dot2_f32_f16 v12, v105, v97, v12
	;;#ASMEND
	s_waitcnt lgkmcnt(0)
	;;#ASMSTART
	v_dot2_f32_f16 v75, v106, v82, v75
	;;#ASMEND
	;;#ASMSTART
	v_dot2_f32_f16 v75, v107, v83, v75
	;;#ASMEND
	v_mov_b32_e32 v77, 0
	;;#ASMSTART
	v_dot2_f32_f16 v75, v108, v84, v75
	;;#ASMEND
	;;#ASMSTART
	v_dot2_f32_f16 v75, v109, v85, v75
	;;#ASMEND
	;; [unrolled: 3-line block ×8, first 2 shown]
	v_mov_b32_e32 v13, 0
	;;#ASMSTART
	v_dot2_f32_f16 v17, v108, v92, v17
	;;#ASMEND
	;;#ASMSTART
	v_dot2_f32_f16 v17, v109, v93, v17
	;;#ASMEND
	;;#ASMSTART
	v_dot2_f32_f16 v13, v106, v94, v13
	;;#ASMEND
	;;#ASMSTART
	v_dot2_f32_f16 v13, v107, v95, v13
	;;#ASMEND
	;;#ASMSTART
	v_dot2_f32_f16 v13, v108, v96, v13
	;;#ASMEND
	;;#ASMSTART
	v_dot2_f32_f16 v13, v109, v97, v13
	;;#ASMEND
	ds_read_b128 v[78:81], v52 offset:16
	ds_read_b128 v[82:85], v45 offset:16
	;; [unrolled: 1-line block ×8, first 2 shown]
	s_waitcnt lgkmcnt(6)
	;;#ASMSTART
	v_dot2_f32_f16 v72, v78, v82, v72
	;;#ASMEND
	;;#ASMSTART
	v_dot2_f32_f16 v72, v79, v83, v72
	;;#ASMEND
	;;#ASMSTART
	v_dot2_f32_f16 v72, v80, v84, v72
	;;#ASMEND
	;;#ASMSTART
	v_dot2_f32_f16 v72, v81, v85, v72
	;;#ASMEND
	s_waitcnt lgkmcnt(5)
	;;#ASMSTART
	v_dot2_f32_f16 v18, v78, v86, v18
	;;#ASMEND
	;;#ASMSTART
	v_dot2_f32_f16 v18, v79, v87, v18
	;;#ASMEND
	;;#ASMSTART
	v_dot2_f32_f16 v18, v80, v88, v18
	;;#ASMEND
	;;#ASMSTART
	v_dot2_f32_f16 v18, v81, v89, v18
	;;#ASMEND
	;; [unrolled: 13-line block ×5, first 2 shown]
	;;#ASMSTART
	v_dot2_f32_f16 v19, v98, v86, v19
	;;#ASMEND
	;;#ASMSTART
	v_dot2_f32_f16 v19, v99, v87, v19
	;;#ASMEND
	;; [unrolled: 3-line block ×12, first 2 shown]
	s_waitcnt lgkmcnt(1)
	;;#ASMSTART
	v_dot2_f32_f16 v74, v102, v82, v74
	;;#ASMEND
	;;#ASMSTART
	v_dot2_f32_f16 v74, v103, v83, v74
	;;#ASMEND
	;; [unrolled: 3-line block ×16, first 2 shown]
	s_waitcnt lgkmcnt(0)
	;;#ASMSTART
	v_dot2_f32_f16 v75, v106, v82, v75
	;;#ASMEND
	;;#ASMSTART
	v_dot2_f32_f16 v75, v107, v83, v75
	;;#ASMEND
	;; [unrolled: 3-line block ×16, first 2 shown]
	ds_read_b128 v[78:81], v52 offset:32
	ds_read_b128 v[82:85], v45 offset:32
	;; [unrolled: 1-line block ×8, first 2 shown]
	s_waitcnt lgkmcnt(6)
	;;#ASMSTART
	v_dot2_f32_f16 v72, v78, v82, v72
	;;#ASMEND
	;;#ASMSTART
	v_dot2_f32_f16 v72, v79, v83, v72
	;;#ASMEND
	;;#ASMSTART
	v_dot2_f32_f16 v72, v80, v84, v72
	;;#ASMEND
	;;#ASMSTART
	v_dot2_f32_f16 v72, v81, v85, v72
	;;#ASMEND
	s_waitcnt lgkmcnt(5)
	;;#ASMSTART
	v_dot2_f32_f16 v18, v78, v86, v18
	;;#ASMEND
	;;#ASMSTART
	v_dot2_f32_f16 v18, v79, v87, v18
	;;#ASMEND
	;;#ASMSTART
	v_dot2_f32_f16 v18, v80, v88, v18
	;;#ASMEND
	;;#ASMSTART
	v_dot2_f32_f16 v18, v81, v89, v18
	;;#ASMEND
	;; [unrolled: 13-line block ×5, first 2 shown]
	;;#ASMSTART
	v_dot2_f32_f16 v19, v98, v86, v19
	;;#ASMEND
	;;#ASMSTART
	v_dot2_f32_f16 v19, v99, v87, v19
	;;#ASMEND
	;;#ASMSTART
	v_dot2_f32_f16 v19, v100, v88, v19
	;;#ASMEND
	;;#ASMSTART
	v_dot2_f32_f16 v19, v101, v89, v19
	;;#ASMEND
	;;#ASMSTART
	v_dot2_f32_f16 v15, v98, v90, v15
	;;#ASMEND
	;;#ASMSTART
	v_dot2_f32_f16 v15, v99, v91, v15
	;;#ASMEND
	;;#ASMSTART
	v_dot2_f32_f16 v15, v100, v92, v15
	;;#ASMEND
	;;#ASMSTART
	v_dot2_f32_f16 v15, v101, v93, v15
	;;#ASMEND
	;;#ASMSTART
	v_dot2_f32_f16 v11, v98, v94, v11
	;;#ASMEND
	;;#ASMSTART
	v_dot2_f32_f16 v11, v99, v95, v11
	;;#ASMEND
	;;#ASMSTART
	v_dot2_f32_f16 v11, v100, v96, v11
	;;#ASMEND
	;;#ASMSTART
	v_dot2_f32_f16 v11, v101, v97, v11
	;;#ASMEND
	s_waitcnt lgkmcnt(1)
	;;#ASMSTART
	v_dot2_f32_f16 v74, v102, v82, v74
	;;#ASMEND
	;;#ASMSTART
	v_dot2_f32_f16 v74, v103, v83, v74
	;;#ASMEND
	;; [unrolled: 3-line block ×16, first 2 shown]
	s_waitcnt lgkmcnt(0)
	;;#ASMSTART
	v_dot2_f32_f16 v75, v106, v82, v75
	;;#ASMEND
	;;#ASMSTART
	v_dot2_f32_f16 v75, v107, v83, v75
	;;#ASMEND
	;;#ASMSTART
	v_dot2_f32_f16 v75, v108, v84, v75
	;;#ASMEND
	;;#ASMSTART
	v_dot2_f32_f16 v75, v109, v85, v75
	;;#ASMEND
	;;#ASMSTART
	v_dot2_f32_f16 v77, v106, v86, v77
	;;#ASMEND
	;;#ASMSTART
	v_dot2_f32_f16 v77, v107, v87, v77
	;;#ASMEND
	;;#ASMSTART
	v_dot2_f32_f16 v77, v108, v88, v77
	;;#ASMEND
	;;#ASMSTART
	v_dot2_f32_f16 v77, v109, v89, v77
	;;#ASMEND
	;;#ASMSTART
	v_dot2_f32_f16 v17, v106, v90, v17
	;;#ASMEND
	;;#ASMSTART
	v_dot2_f32_f16 v17, v107, v91, v17
	;;#ASMEND
	;;#ASMSTART
	v_dot2_f32_f16 v17, v108, v92, v17
	;;#ASMEND
	;;#ASMSTART
	v_dot2_f32_f16 v17, v109, v93, v17
	;;#ASMEND
	;;#ASMSTART
	v_dot2_f32_f16 v13, v106, v94, v13
	;;#ASMEND
	;;#ASMSTART
	v_dot2_f32_f16 v13, v107, v95, v13
	;;#ASMEND
	;;#ASMSTART
	v_dot2_f32_f16 v13, v108, v96, v13
	;;#ASMEND
	;;#ASMSTART
	v_dot2_f32_f16 v13, v109, v97, v13
	;;#ASMEND
	ds_read_b128 v[78:81], v52 offset:48
	ds_read_b128 v[82:85], v45 offset:48
	;; [unrolled: 1-line block ×8, first 2 shown]
	s_waitcnt lgkmcnt(6)
	;;#ASMSTART
	v_dot2_f32_f16 v72, v78, v82, v72
	;;#ASMEND
	;;#ASMSTART
	v_dot2_f32_f16 v72, v79, v83, v72
	;;#ASMEND
	;;#ASMSTART
	v_dot2_f32_f16 v72, v80, v84, v72
	;;#ASMEND
	;;#ASMSTART
	v_dot2_f32_f16 v72, v81, v85, v72
	;;#ASMEND
	s_waitcnt lgkmcnt(5)
	;;#ASMSTART
	v_dot2_f32_f16 v18, v78, v86, v18
	;;#ASMEND
	;;#ASMSTART
	v_dot2_f32_f16 v18, v79, v87, v18
	;;#ASMEND
	;;#ASMSTART
	v_dot2_f32_f16 v18, v80, v88, v18
	;;#ASMEND
	;;#ASMSTART
	v_dot2_f32_f16 v18, v81, v89, v18
	;;#ASMEND
	;; [unrolled: 13-line block ×5, first 2 shown]
	;;#ASMSTART
	v_dot2_f32_f16 v19, v98, v86, v19
	;;#ASMEND
	;;#ASMSTART
	v_dot2_f32_f16 v19, v99, v87, v19
	;;#ASMEND
	;; [unrolled: 3-line block ×12, first 2 shown]
	s_waitcnt lgkmcnt(1)
	;;#ASMSTART
	v_dot2_f32_f16 v74, v102, v82, v74
	;;#ASMEND
	;;#ASMSTART
	v_dot2_f32_f16 v74, v103, v83, v74
	;;#ASMEND
	;;#ASMSTART
	v_dot2_f32_f16 v74, v104, v84, v74
	;;#ASMEND
	;;#ASMSTART
	v_dot2_f32_f16 v74, v105, v85, v74
	;;#ASMEND
	;;#ASMSTART
	v_dot2_f32_f16 v20, v102, v86, v20
	;;#ASMEND
	;;#ASMSTART
	v_dot2_f32_f16 v20, v103, v87, v20
	;;#ASMEND
	;;#ASMSTART
	v_dot2_f32_f16 v20, v104, v88, v20
	;;#ASMEND
	;;#ASMSTART
	v_dot2_f32_f16 v20, v105, v89, v20
	;;#ASMEND
	;;#ASMSTART
	v_dot2_f32_f16 v16, v102, v90, v16
	;;#ASMEND
	;;#ASMSTART
	v_dot2_f32_f16 v16, v103, v91, v16
	;;#ASMEND
	;;#ASMSTART
	v_dot2_f32_f16 v16, v104, v92, v16
	;;#ASMEND
	;;#ASMSTART
	v_dot2_f32_f16 v16, v105, v93, v16
	;;#ASMEND
	;;#ASMSTART
	v_dot2_f32_f16 v12, v102, v94, v12
	;;#ASMEND
	;;#ASMSTART
	v_dot2_f32_f16 v12, v103, v95, v12
	;;#ASMEND
	;;#ASMSTART
	v_dot2_f32_f16 v12, v104, v96, v12
	;;#ASMEND
	;;#ASMSTART
	v_dot2_f32_f16 v12, v105, v97, v12
	;;#ASMEND
	s_waitcnt lgkmcnt(0)
	;;#ASMSTART
	v_dot2_f32_f16 v75, v106, v82, v75
	;;#ASMEND
	;;#ASMSTART
	v_dot2_f32_f16 v75, v107, v83, v75
	;;#ASMEND
	;; [unrolled: 3-line block ×16, first 2 shown]
	ds_read_b128 v[78:81], v52 offset:64
	ds_read_b128 v[82:85], v45 offset:64
	;; [unrolled: 1-line block ×8, first 2 shown]
	s_waitcnt lgkmcnt(6)
	;;#ASMSTART
	v_dot2_f32_f16 v72, v78, v82, v72
	;;#ASMEND
	;;#ASMSTART
	v_dot2_f32_f16 v72, v79, v83, v72
	;;#ASMEND
	;;#ASMSTART
	v_dot2_f32_f16 v72, v80, v84, v72
	;;#ASMEND
	;;#ASMSTART
	v_dot2_f32_f16 v72, v81, v85, v72
	;;#ASMEND
	s_waitcnt lgkmcnt(5)
	;;#ASMSTART
	v_dot2_f32_f16 v18, v78, v86, v18
	;;#ASMEND
	;;#ASMSTART
	v_dot2_f32_f16 v18, v79, v87, v18
	;;#ASMEND
	;;#ASMSTART
	v_dot2_f32_f16 v18, v80, v88, v18
	;;#ASMEND
	;;#ASMSTART
	v_dot2_f32_f16 v18, v81, v89, v18
	;;#ASMEND
	;; [unrolled: 13-line block ×5, first 2 shown]
	;;#ASMSTART
	v_dot2_f32_f16 v19, v98, v86, v19
	;;#ASMEND
	;;#ASMSTART
	v_dot2_f32_f16 v19, v99, v87, v19
	;;#ASMEND
	;;#ASMSTART
	v_dot2_f32_f16 v19, v100, v88, v19
	;;#ASMEND
	;;#ASMSTART
	v_dot2_f32_f16 v19, v101, v89, v19
	;;#ASMEND
	;;#ASMSTART
	v_dot2_f32_f16 v15, v98, v90, v15
	;;#ASMEND
	;;#ASMSTART
	v_dot2_f32_f16 v15, v99, v91, v15
	;;#ASMEND
	;;#ASMSTART
	v_dot2_f32_f16 v15, v100, v92, v15
	;;#ASMEND
	;;#ASMSTART
	v_dot2_f32_f16 v15, v101, v93, v15
	;;#ASMEND
	;;#ASMSTART
	v_dot2_f32_f16 v11, v98, v94, v11
	;;#ASMEND
	;;#ASMSTART
	v_dot2_f32_f16 v11, v99, v95, v11
	;;#ASMEND
	;;#ASMSTART
	v_dot2_f32_f16 v11, v100, v96, v11
	;;#ASMEND
	;;#ASMSTART
	v_dot2_f32_f16 v11, v101, v97, v11
	;;#ASMEND
	s_waitcnt lgkmcnt(1)
	;;#ASMSTART
	v_dot2_f32_f16 v74, v102, v82, v74
	;;#ASMEND
	;;#ASMSTART
	v_dot2_f32_f16 v74, v103, v83, v74
	;;#ASMEND
	;; [unrolled: 3-line block ×16, first 2 shown]
	s_waitcnt lgkmcnt(0)
	;;#ASMSTART
	v_dot2_f32_f16 v75, v106, v82, v75
	;;#ASMEND
	;;#ASMSTART
	v_dot2_f32_f16 v75, v107, v83, v75
	;;#ASMEND
	;; [unrolled: 3-line block ×16, first 2 shown]
	ds_read_b128 v[78:81], v52 offset:80
	ds_read_b128 v[82:85], v45 offset:80
	;; [unrolled: 1-line block ×8, first 2 shown]
	s_waitcnt lgkmcnt(6)
	;;#ASMSTART
	v_dot2_f32_f16 v72, v78, v82, v72
	;;#ASMEND
	;;#ASMSTART
	v_dot2_f32_f16 v72, v79, v83, v72
	;;#ASMEND
	;;#ASMSTART
	v_dot2_f32_f16 v72, v80, v84, v72
	;;#ASMEND
	;;#ASMSTART
	v_dot2_f32_f16 v72, v81, v85, v72
	;;#ASMEND
	s_waitcnt lgkmcnt(5)
	;;#ASMSTART
	v_dot2_f32_f16 v18, v78, v86, v18
	;;#ASMEND
	;;#ASMSTART
	v_dot2_f32_f16 v18, v79, v87, v18
	;;#ASMEND
	;;#ASMSTART
	v_dot2_f32_f16 v18, v80, v88, v18
	;;#ASMEND
	;;#ASMSTART
	v_dot2_f32_f16 v18, v81, v89, v18
	;;#ASMEND
	s_waitcnt lgkmcnt(4)
	;;#ASMSTART
	v_dot2_f32_f16 v14, v78, v90, v14
	;;#ASMEND
	;;#ASMSTART
	v_dot2_f32_f16 v14, v79, v91, v14
	;;#ASMEND
	;;#ASMSTART
	v_dot2_f32_f16 v14, v80, v92, v14
	;;#ASMEND
	;;#ASMSTART
	v_dot2_f32_f16 v14, v81, v93, v14
	;;#ASMEND
	s_waitcnt lgkmcnt(3)
	;;#ASMSTART
	v_dot2_f32_f16 v10, v78, v94, v10
	;;#ASMEND
	;;#ASMSTART
	v_dot2_f32_f16 v10, v79, v95, v10
	;;#ASMEND
	;;#ASMSTART
	v_dot2_f32_f16 v10, v80, v96, v10
	;;#ASMEND
	;;#ASMSTART
	v_dot2_f32_f16 v10, v81, v97, v10
	;;#ASMEND
	s_waitcnt lgkmcnt(2)
	;;#ASMSTART
	v_dot2_f32_f16 v73, v98, v82, v73
	;;#ASMEND
	;;#ASMSTART
	v_dot2_f32_f16 v73, v99, v83, v73
	;;#ASMEND
	;;#ASMSTART
	v_dot2_f32_f16 v73, v100, v84, v73
	;;#ASMEND
	;;#ASMSTART
	v_dot2_f32_f16 v73, v101, v85, v73
	;;#ASMEND
	;;#ASMSTART
	v_dot2_f32_f16 v19, v98, v86, v19
	;;#ASMEND
	;;#ASMSTART
	v_dot2_f32_f16 v19, v99, v87, v19
	;;#ASMEND
	;; [unrolled: 3-line block ×12, first 2 shown]
	s_waitcnt lgkmcnt(1)
	;;#ASMSTART
	v_dot2_f32_f16 v74, v102, v82, v74
	;;#ASMEND
	;;#ASMSTART
	v_dot2_f32_f16 v74, v103, v83, v74
	;;#ASMEND
	;; [unrolled: 3-line block ×16, first 2 shown]
	s_waitcnt lgkmcnt(0)
	;;#ASMSTART
	v_dot2_f32_f16 v75, v106, v82, v75
	;;#ASMEND
	;;#ASMSTART
	v_dot2_f32_f16 v75, v107, v83, v75
	;;#ASMEND
	;; [unrolled: 3-line block ×16, first 2 shown]
	ds_read_b128 v[78:81], v52 offset:96
	ds_read_b128 v[82:85], v45 offset:96
	;; [unrolled: 1-line block ×8, first 2 shown]
	s_waitcnt lgkmcnt(6)
	;;#ASMSTART
	v_dot2_f32_f16 v72, v78, v82, v72
	;;#ASMEND
	;;#ASMSTART
	v_dot2_f32_f16 v72, v79, v83, v72
	;;#ASMEND
	;;#ASMSTART
	v_dot2_f32_f16 v72, v80, v84, v72
	;;#ASMEND
	;;#ASMSTART
	v_dot2_f32_f16 v72, v81, v85, v72
	;;#ASMEND
	s_waitcnt lgkmcnt(5)
	;;#ASMSTART
	v_dot2_f32_f16 v18, v78, v86, v18
	;;#ASMEND
	;;#ASMSTART
	v_dot2_f32_f16 v18, v79, v87, v18
	;;#ASMEND
	;;#ASMSTART
	v_dot2_f32_f16 v18, v80, v88, v18
	;;#ASMEND
	;;#ASMSTART
	v_dot2_f32_f16 v18, v81, v89, v18
	;;#ASMEND
	;; [unrolled: 13-line block ×5, first 2 shown]
	;;#ASMSTART
	v_dot2_f32_f16 v19, v98, v86, v19
	;;#ASMEND
	;;#ASMSTART
	v_dot2_f32_f16 v19, v99, v87, v19
	;;#ASMEND
	;; [unrolled: 3-line block ×12, first 2 shown]
	s_waitcnt lgkmcnt(1)
	;;#ASMSTART
	v_dot2_f32_f16 v74, v102, v82, v74
	;;#ASMEND
	;;#ASMSTART
	v_dot2_f32_f16 v74, v103, v83, v74
	;;#ASMEND
	;; [unrolled: 3-line block ×16, first 2 shown]
	s_waitcnt lgkmcnt(0)
	;;#ASMSTART
	v_dot2_f32_f16 v75, v106, v82, v75
	;;#ASMEND
	;;#ASMSTART
	v_dot2_f32_f16 v75, v107, v83, v75
	;;#ASMEND
	;; [unrolled: 3-line block ×16, first 2 shown]
	ds_read_b128 v[78:81], v52 offset:112
	ds_read_b128 v[82:85], v45 offset:112
	;; [unrolled: 1-line block ×8, first 2 shown]
	s_waitcnt lgkmcnt(6)
	;;#ASMSTART
	v_dot2_f32_f16 v72, v78, v82, v72
	;;#ASMEND
	;;#ASMSTART
	v_dot2_f32_f16 v72, v79, v83, v72
	;;#ASMEND
	;;#ASMSTART
	v_dot2_f32_f16 v72, v80, v84, v72
	;;#ASMEND
	;;#ASMSTART
	v_dot2_f32_f16 v72, v81, v85, v72
	;;#ASMEND
	s_waitcnt lgkmcnt(5)
	;;#ASMSTART
	v_dot2_f32_f16 v18, v78, v86, v18
	;;#ASMEND
	;;#ASMSTART
	v_dot2_f32_f16 v18, v79, v87, v18
	;;#ASMEND
	;;#ASMSTART
	v_dot2_f32_f16 v18, v80, v88, v18
	;;#ASMEND
	;;#ASMSTART
	v_dot2_f32_f16 v18, v81, v89, v18
	;;#ASMEND
	;; [unrolled: 13-line block ×5, first 2 shown]
	;;#ASMSTART
	v_dot2_f32_f16 v19, v98, v86, v19
	;;#ASMEND
	;;#ASMSTART
	v_dot2_f32_f16 v19, v99, v87, v19
	;;#ASMEND
	;; [unrolled: 3-line block ×12, first 2 shown]
	s_waitcnt lgkmcnt(1)
	;;#ASMSTART
	v_dot2_f32_f16 v74, v102, v82, v74
	;;#ASMEND
	;;#ASMSTART
	v_dot2_f32_f16 v74, v103, v83, v74
	;;#ASMEND
	;; [unrolled: 3-line block ×16, first 2 shown]
	s_waitcnt lgkmcnt(0)
	;;#ASMSTART
	v_dot2_f32_f16 v75, v106, v82, v75
	;;#ASMEND
	;;#ASMSTART
	v_dot2_f32_f16 v75, v107, v83, v75
	;;#ASMEND
	;; [unrolled: 3-line block ×16, first 2 shown]
	s_barrier
	buffer_gl0_inv
	s_clause 0x3
	global_load_dwordx4 v[78:81], v[1:2], off offset:128
	global_load_dwordx4 v[1:4], v[3:4], off offset:128
	;; [unrolled: 1-line block ×4, first 2 shown]
	s_waitcnt vmcnt(3)
	ds_write_b128 v48, v[78:81]
	s_waitcnt vmcnt(2)
	ds_write_b128 v49, v[1:4]
	;; [unrolled: 2-line block ×4, first 2 shown]
	s_waitcnt lgkmcnt(0)
	s_barrier
	buffer_gl0_inv
	ds_read_b128 v[1:4], v52
	ds_read_b128 v[5:8], v45 offset:128
	ds_read_b128 v[78:81], v45 offset:384
	;; [unrolled: 1-line block ×7, first 2 shown]
	s_waitcnt lgkmcnt(6)
	;;#ASMSTART
	v_dot2_f32_f16 v72, v1, v5, v72
	;;#ASMEND
	;;#ASMSTART
	v_dot2_f32_f16 v72, v2, v6, v72
	;;#ASMEND
	;;#ASMSTART
	v_dot2_f32_f16 v72, v3, v7, v72
	;;#ASMEND
	;;#ASMSTART
	v_dot2_f32_f16 v72, v4, v8, v72
	;;#ASMEND
	s_waitcnt lgkmcnt(5)
	;;#ASMSTART
	v_dot2_f32_f16 v18, v1, v78, v18
	;;#ASMEND
	;;#ASMSTART
	v_dot2_f32_f16 v18, v2, v79, v18
	;;#ASMEND
	;;#ASMSTART
	v_dot2_f32_f16 v18, v3, v80, v18
	;;#ASMEND
	;;#ASMSTART
	v_dot2_f32_f16 v18, v4, v81, v18
	;;#ASMEND
	s_waitcnt lgkmcnt(4)
	;;#ASMSTART
	v_dot2_f32_f16 v14, v1, v82, v14
	;;#ASMEND
	;;#ASMSTART
	v_dot2_f32_f16 v14, v2, v83, v14
	;;#ASMEND
	;;#ASMSTART
	v_dot2_f32_f16 v14, v3, v84, v14
	;;#ASMEND
	;;#ASMSTART
	v_dot2_f32_f16 v14, v4, v85, v14
	;;#ASMEND
	s_waitcnt lgkmcnt(3)
	;;#ASMSTART
	v_dot2_f32_f16 v10, v1, v86, v10
	;;#ASMEND
	;;#ASMSTART
	v_dot2_f32_f16 v10, v2, v87, v10
	;;#ASMEND
	;;#ASMSTART
	v_dot2_f32_f16 v10, v3, v88, v10
	;;#ASMEND
	;;#ASMSTART
	v_dot2_f32_f16 v10, v4, v89, v10
	;;#ASMEND
	s_waitcnt lgkmcnt(2)
	;;#ASMSTART
	v_dot2_f32_f16 v73, v90, v5, v73
	;;#ASMEND
	;;#ASMSTART
	v_dot2_f32_f16 v73, v91, v6, v73
	;;#ASMEND
	;;#ASMSTART
	v_dot2_f32_f16 v73, v92, v7, v73
	;;#ASMEND
	;;#ASMSTART
	v_dot2_f32_f16 v73, v93, v8, v73
	;;#ASMEND
	;;#ASMSTART
	v_dot2_f32_f16 v19, v90, v78, v19
	;;#ASMEND
	;;#ASMSTART
	v_dot2_f32_f16 v19, v91, v79, v19
	;;#ASMEND
	;; [unrolled: 3-line block ×12, first 2 shown]
	s_waitcnt lgkmcnt(1)
	;;#ASMSTART
	v_dot2_f32_f16 v74, v94, v5, v74
	;;#ASMEND
	;;#ASMSTART
	v_dot2_f32_f16 v74, v95, v6, v74
	;;#ASMEND
	;; [unrolled: 3-line block ×16, first 2 shown]
	s_waitcnt lgkmcnt(0)
	;;#ASMSTART
	v_dot2_f32_f16 v75, v98, v5, v75
	;;#ASMEND
	;;#ASMSTART
	v_dot2_f32_f16 v75, v99, v6, v75
	;;#ASMEND
	;; [unrolled: 3-line block ×16, first 2 shown]
	ds_read_b128 v[1:4], v52 offset:16
	ds_read_b128 v[5:8], v45 offset:144
	;; [unrolled: 1-line block ×8, first 2 shown]
	s_waitcnt lgkmcnt(6)
	;;#ASMSTART
	v_dot2_f32_f16 v72, v1, v5, v72
	;;#ASMEND
	;;#ASMSTART
	v_dot2_f32_f16 v72, v2, v6, v72
	;;#ASMEND
	;;#ASMSTART
	v_dot2_f32_f16 v72, v3, v7, v72
	;;#ASMEND
	;;#ASMSTART
	v_dot2_f32_f16 v72, v4, v8, v72
	;;#ASMEND
	s_waitcnt lgkmcnt(5)
	;;#ASMSTART
	v_dot2_f32_f16 v18, v1, v78, v18
	;;#ASMEND
	;;#ASMSTART
	v_dot2_f32_f16 v18, v2, v79, v18
	;;#ASMEND
	;;#ASMSTART
	v_dot2_f32_f16 v18, v3, v80, v18
	;;#ASMEND
	;;#ASMSTART
	v_dot2_f32_f16 v18, v4, v81, v18
	;;#ASMEND
	;; [unrolled: 13-line block ×5, first 2 shown]
	;;#ASMSTART
	v_dot2_f32_f16 v19, v90, v78, v19
	;;#ASMEND
	;;#ASMSTART
	v_dot2_f32_f16 v19, v91, v79, v19
	;;#ASMEND
	;; [unrolled: 3-line block ×12, first 2 shown]
	s_waitcnt lgkmcnt(1)
	;;#ASMSTART
	v_dot2_f32_f16 v74, v94, v5, v74
	;;#ASMEND
	;;#ASMSTART
	v_dot2_f32_f16 v74, v95, v6, v74
	;;#ASMEND
	;; [unrolled: 3-line block ×16, first 2 shown]
	s_waitcnt lgkmcnt(0)
	;;#ASMSTART
	v_dot2_f32_f16 v75, v98, v5, v75
	;;#ASMEND
	;;#ASMSTART
	v_dot2_f32_f16 v75, v99, v6, v75
	;;#ASMEND
	;; [unrolled: 3-line block ×16, first 2 shown]
	ds_read_b128 v[1:4], v52 offset:32
	ds_read_b128 v[5:8], v45 offset:160
	;; [unrolled: 1-line block ×8, first 2 shown]
	s_waitcnt lgkmcnt(6)
	;;#ASMSTART
	v_dot2_f32_f16 v72, v1, v5, v72
	;;#ASMEND
	;;#ASMSTART
	v_dot2_f32_f16 v72, v2, v6, v72
	;;#ASMEND
	;;#ASMSTART
	v_dot2_f32_f16 v72, v3, v7, v72
	;;#ASMEND
	;;#ASMSTART
	v_dot2_f32_f16 v72, v4, v8, v72
	;;#ASMEND
	s_waitcnt lgkmcnt(5)
	;;#ASMSTART
	v_dot2_f32_f16 v18, v1, v78, v18
	;;#ASMEND
	;;#ASMSTART
	v_dot2_f32_f16 v18, v2, v79, v18
	;;#ASMEND
	;;#ASMSTART
	v_dot2_f32_f16 v18, v3, v80, v18
	;;#ASMEND
	;;#ASMSTART
	v_dot2_f32_f16 v18, v4, v81, v18
	;;#ASMEND
	;; [unrolled: 13-line block ×5, first 2 shown]
	;;#ASMSTART
	v_dot2_f32_f16 v19, v90, v78, v19
	;;#ASMEND
	;;#ASMSTART
	v_dot2_f32_f16 v19, v91, v79, v19
	;;#ASMEND
	;; [unrolled: 3-line block ×12, first 2 shown]
	s_waitcnt lgkmcnt(1)
	;;#ASMSTART
	v_dot2_f32_f16 v74, v94, v5, v74
	;;#ASMEND
	;;#ASMSTART
	v_dot2_f32_f16 v74, v95, v6, v74
	;;#ASMEND
	;; [unrolled: 3-line block ×16, first 2 shown]
	s_waitcnt lgkmcnt(0)
	;;#ASMSTART
	v_dot2_f32_f16 v75, v98, v5, v75
	;;#ASMEND
	;;#ASMSTART
	v_dot2_f32_f16 v75, v99, v6, v75
	;;#ASMEND
	;; [unrolled: 3-line block ×16, first 2 shown]
	ds_read_b128 v[1:4], v52 offset:48
	ds_read_b128 v[5:8], v45 offset:176
	;; [unrolled: 1-line block ×8, first 2 shown]
	s_waitcnt lgkmcnt(6)
	;;#ASMSTART
	v_dot2_f32_f16 v72, v1, v5, v72
	;;#ASMEND
	;;#ASMSTART
	v_dot2_f32_f16 v72, v2, v6, v72
	;;#ASMEND
	;;#ASMSTART
	v_dot2_f32_f16 v72, v3, v7, v72
	;;#ASMEND
	;;#ASMSTART
	v_dot2_f32_f16 v72, v4, v8, v72
	;;#ASMEND
	s_waitcnt lgkmcnt(5)
	;;#ASMSTART
	v_dot2_f32_f16 v18, v1, v78, v18
	;;#ASMEND
	;;#ASMSTART
	v_dot2_f32_f16 v18, v2, v79, v18
	;;#ASMEND
	;;#ASMSTART
	v_dot2_f32_f16 v18, v3, v80, v18
	;;#ASMEND
	;;#ASMSTART
	v_dot2_f32_f16 v18, v4, v81, v18
	;;#ASMEND
	;; [unrolled: 13-line block ×5, first 2 shown]
	;;#ASMSTART
	v_dot2_f32_f16 v19, v90, v78, v19
	;;#ASMEND
	;;#ASMSTART
	v_dot2_f32_f16 v19, v91, v79, v19
	;;#ASMEND
	;; [unrolled: 3-line block ×12, first 2 shown]
	s_waitcnt lgkmcnt(1)
	;;#ASMSTART
	v_dot2_f32_f16 v74, v94, v5, v74
	;;#ASMEND
	;;#ASMSTART
	v_dot2_f32_f16 v74, v95, v6, v74
	;;#ASMEND
	;; [unrolled: 3-line block ×16, first 2 shown]
	s_waitcnt lgkmcnt(0)
	;;#ASMSTART
	v_dot2_f32_f16 v75, v98, v5, v75
	;;#ASMEND
	;;#ASMSTART
	v_dot2_f32_f16 v75, v99, v6, v75
	;;#ASMEND
	;; [unrolled: 3-line block ×16, first 2 shown]
	ds_read_b128 v[1:4], v52 offset:64
	ds_read_b128 v[5:8], v45 offset:192
	;; [unrolled: 1-line block ×8, first 2 shown]
	s_waitcnt lgkmcnt(6)
	;;#ASMSTART
	v_dot2_f32_f16 v72, v1, v5, v72
	;;#ASMEND
	;;#ASMSTART
	v_dot2_f32_f16 v72, v2, v6, v72
	;;#ASMEND
	;;#ASMSTART
	v_dot2_f32_f16 v72, v3, v7, v72
	;;#ASMEND
	;;#ASMSTART
	v_dot2_f32_f16 v72, v4, v8, v72
	;;#ASMEND
	s_waitcnt lgkmcnt(5)
	;;#ASMSTART
	v_dot2_f32_f16 v18, v1, v78, v18
	;;#ASMEND
	;;#ASMSTART
	v_dot2_f32_f16 v18, v2, v79, v18
	;;#ASMEND
	;;#ASMSTART
	v_dot2_f32_f16 v18, v3, v80, v18
	;;#ASMEND
	;;#ASMSTART
	v_dot2_f32_f16 v18, v4, v81, v18
	;;#ASMEND
	;; [unrolled: 13-line block ×5, first 2 shown]
	;;#ASMSTART
	v_dot2_f32_f16 v19, v90, v78, v19
	;;#ASMEND
	;;#ASMSTART
	v_dot2_f32_f16 v19, v91, v79, v19
	;;#ASMEND
	;; [unrolled: 3-line block ×12, first 2 shown]
	s_waitcnt lgkmcnt(1)
	;;#ASMSTART
	v_dot2_f32_f16 v74, v94, v5, v74
	;;#ASMEND
	;;#ASMSTART
	v_dot2_f32_f16 v74, v95, v6, v74
	;;#ASMEND
	;; [unrolled: 3-line block ×16, first 2 shown]
	s_waitcnt lgkmcnt(0)
	;;#ASMSTART
	v_dot2_f32_f16 v75, v98, v5, v75
	;;#ASMEND
	;;#ASMSTART
	v_dot2_f32_f16 v75, v99, v6, v75
	;;#ASMEND
	;; [unrolled: 3-line block ×16, first 2 shown]
	ds_read_b128 v[1:4], v52 offset:80
	ds_read_b128 v[5:8], v45 offset:208
	;; [unrolled: 1-line block ×8, first 2 shown]
	s_waitcnt lgkmcnt(6)
	;;#ASMSTART
	v_dot2_f32_f16 v72, v1, v5, v72
	;;#ASMEND
	;;#ASMSTART
	v_dot2_f32_f16 v72, v2, v6, v72
	;;#ASMEND
	;;#ASMSTART
	v_dot2_f32_f16 v72, v3, v7, v72
	;;#ASMEND
	;;#ASMSTART
	v_dot2_f32_f16 v72, v4, v8, v72
	;;#ASMEND
	s_waitcnt lgkmcnt(5)
	;;#ASMSTART
	v_dot2_f32_f16 v18, v1, v78, v18
	;;#ASMEND
	;;#ASMSTART
	v_dot2_f32_f16 v18, v2, v79, v18
	;;#ASMEND
	;;#ASMSTART
	v_dot2_f32_f16 v18, v3, v80, v18
	;;#ASMEND
	;;#ASMSTART
	v_dot2_f32_f16 v18, v4, v81, v18
	;;#ASMEND
	;; [unrolled: 13-line block ×5, first 2 shown]
	;;#ASMSTART
	v_dot2_f32_f16 v19, v90, v78, v19
	;;#ASMEND
	;;#ASMSTART
	v_dot2_f32_f16 v19, v91, v79, v19
	;;#ASMEND
	;; [unrolled: 3-line block ×12, first 2 shown]
	s_waitcnt lgkmcnt(1)
	;;#ASMSTART
	v_dot2_f32_f16 v74, v94, v5, v74
	;;#ASMEND
	;;#ASMSTART
	v_dot2_f32_f16 v74, v95, v6, v74
	;;#ASMEND
	;; [unrolled: 3-line block ×16, first 2 shown]
	s_waitcnt lgkmcnt(0)
	;;#ASMSTART
	v_dot2_f32_f16 v75, v98, v5, v75
	;;#ASMEND
	;;#ASMSTART
	v_dot2_f32_f16 v75, v99, v6, v75
	;;#ASMEND
	;; [unrolled: 3-line block ×16, first 2 shown]
	ds_read_b128 v[1:4], v52 offset:96
	ds_read_b128 v[5:8], v45 offset:224
	;; [unrolled: 1-line block ×8, first 2 shown]
	s_waitcnt lgkmcnt(6)
	;;#ASMSTART
	v_dot2_f32_f16 v72, v1, v5, v72
	;;#ASMEND
	;;#ASMSTART
	v_dot2_f32_f16 v72, v2, v6, v72
	;;#ASMEND
	;;#ASMSTART
	v_dot2_f32_f16 v72, v3, v7, v72
	;;#ASMEND
	;;#ASMSTART
	v_dot2_f32_f16 v72, v4, v8, v72
	;;#ASMEND
	s_waitcnt lgkmcnt(5)
	;;#ASMSTART
	v_dot2_f32_f16 v18, v1, v78, v18
	;;#ASMEND
	;;#ASMSTART
	v_dot2_f32_f16 v18, v2, v79, v18
	;;#ASMEND
	;;#ASMSTART
	v_dot2_f32_f16 v18, v3, v80, v18
	;;#ASMEND
	;;#ASMSTART
	v_dot2_f32_f16 v18, v4, v81, v18
	;;#ASMEND
	;; [unrolled: 13-line block ×5, first 2 shown]
	;;#ASMSTART
	v_dot2_f32_f16 v19, v90, v78, v19
	;;#ASMEND
	;;#ASMSTART
	v_dot2_f32_f16 v19, v91, v79, v19
	;;#ASMEND
	;; [unrolled: 3-line block ×12, first 2 shown]
	s_waitcnt lgkmcnt(1)
	;;#ASMSTART
	v_dot2_f32_f16 v74, v94, v5, v74
	;;#ASMEND
	;;#ASMSTART
	v_dot2_f32_f16 v74, v95, v6, v74
	;;#ASMEND
	;; [unrolled: 3-line block ×16, first 2 shown]
	s_waitcnt lgkmcnt(0)
	;;#ASMSTART
	v_dot2_f32_f16 v75, v98, v5, v75
	;;#ASMEND
	;;#ASMSTART
	v_dot2_f32_f16 v75, v99, v6, v75
	;;#ASMEND
	;; [unrolled: 3-line block ×16, first 2 shown]
	ds_read_b128 v[1:4], v52 offset:112
	ds_read_b128 v[5:8], v45 offset:240
	;; [unrolled: 1-line block ×8, first 2 shown]
	s_waitcnt lgkmcnt(6)
	;;#ASMSTART
	v_dot2_f32_f16 v72, v1, v5, v72
	;;#ASMEND
	;;#ASMSTART
	v_dot2_f32_f16 v72, v2, v6, v72
	;;#ASMEND
	;;#ASMSTART
	v_dot2_f32_f16 v72, v3, v7, v72
	;;#ASMEND
	;;#ASMSTART
	v_dot2_f32_f16 v72, v4, v8, v72
	;;#ASMEND
	s_waitcnt lgkmcnt(5)
	;;#ASMSTART
	v_dot2_f32_f16 v18, v1, v78, v18
	;;#ASMEND
	;;#ASMSTART
	v_dot2_f32_f16 v18, v2, v79, v18
	;;#ASMEND
	;;#ASMSTART
	v_dot2_f32_f16 v18, v3, v80, v18
	;;#ASMEND
	;;#ASMSTART
	v_dot2_f32_f16 v18, v4, v81, v18
	;;#ASMEND
	s_waitcnt lgkmcnt(4)
	;;#ASMSTART
	v_dot2_f32_f16 v14, v1, v82, v14
	;;#ASMEND
	;;#ASMSTART
	v_dot2_f32_f16 v14, v2, v83, v14
	;;#ASMEND
	;;#ASMSTART
	v_dot2_f32_f16 v14, v3, v84, v14
	;;#ASMEND
	;;#ASMSTART
	v_dot2_f32_f16 v14, v4, v85, v14
	;;#ASMEND
	s_waitcnt lgkmcnt(3)
	;;#ASMSTART
	v_dot2_f32_f16 v10, v1, v86, v10
	;;#ASMEND
	;;#ASMSTART
	v_dot2_f32_f16 v10, v2, v87, v10
	;;#ASMEND
	;;#ASMSTART
	v_dot2_f32_f16 v10, v3, v88, v10
	;;#ASMEND
	;;#ASMSTART
	v_dot2_f32_f16 v10, v4, v89, v10
	;;#ASMEND
	s_waitcnt lgkmcnt(2)
	;;#ASMSTART
	v_dot2_f32_f16 v73, v90, v5, v73
	;;#ASMEND
	;;#ASMSTART
	v_dot2_f32_f16 v73, v91, v6, v73
	;;#ASMEND
	;;#ASMSTART
	v_dot2_f32_f16 v73, v92, v7, v73
	;;#ASMEND
	;;#ASMSTART
	v_dot2_f32_f16 v73, v93, v8, v73
	;;#ASMEND
	;;#ASMSTART
	v_dot2_f32_f16 v19, v90, v78, v19
	;;#ASMEND
	;;#ASMSTART
	v_dot2_f32_f16 v19, v91, v79, v19
	;;#ASMEND
	;; [unrolled: 3-line block ×12, first 2 shown]
	s_waitcnt lgkmcnt(1)
	;;#ASMSTART
	v_dot2_f32_f16 v74, v94, v5, v74
	;;#ASMEND
	;;#ASMSTART
	v_dot2_f32_f16 v74, v95, v6, v74
	;;#ASMEND
	;; [unrolled: 3-line block ×16, first 2 shown]
	s_waitcnt lgkmcnt(0)
	;;#ASMSTART
	v_dot2_f32_f16 v75, v98, v5, v75
	;;#ASMEND
	;;#ASMSTART
	v_dot2_f32_f16 v75, v99, v6, v75
	;;#ASMEND
	;;#ASMSTART
	v_dot2_f32_f16 v75, v100, v7, v75
	;;#ASMEND
	;;#ASMSTART
	v_dot2_f32_f16 v75, v101, v8, v75
	;;#ASMEND
	;;#ASMSTART
	v_dot2_f32_f16 v77, v98, v78, v77
	;;#ASMEND
	;;#ASMSTART
	v_dot2_f32_f16 v77, v99, v79, v77
	;;#ASMEND
	;;#ASMSTART
	v_dot2_f32_f16 v77, v100, v80, v77
	;;#ASMEND
	;;#ASMSTART
	v_dot2_f32_f16 v77, v101, v81, v77
	;;#ASMEND
	;;#ASMSTART
	v_dot2_f32_f16 v17, v98, v82, v17
	;;#ASMEND
	v_cmp_ngt_f32_e64 s18, 0x3f200000, |v72|
	;;#ASMSTART
	v_dot2_f32_f16 v17, v99, v83, v17
	;;#ASMEND
	;;#ASMSTART
	v_dot2_f32_f16 v17, v100, v84, v17
	;;#ASMEND
	;; [unrolled: 3-line block ×7, first 2 shown]
                                        ; implicit-def: $vgpr3
	s_and_saveexec_b32 s19, s18
	s_xor_b32 s18, exec_lo, s19
	s_cbranch_execz .LBB76_11
; %bb.10:                               ;   in Loop: Header=BB76_9 Depth=1
	v_add_f32_e64 v1, |v72|, |v72|
	v_mul_f32_e32 v2, 0x3fb8aa3b, v1
	v_cmp_ngt_f32_e32 vcc_lo, 0xc2ce8ed0, v1
	v_rndne_f32_e32 v3, v2
	v_fma_f32 v4, 0x3fb8aa3b, v1, -v2
	v_sub_f32_e32 v2, v2, v3
	v_fmac_f32_e32 v4, 0x32a5705f, v1
	v_cvt_i32_f32_e32 v3, v3
	v_add_f32_e32 v2, v2, v4
	v_exp_f32_e32 v2, v2
	v_ldexp_f32 v2, v2, v3
	v_cndmask_b32_e32 v2, 0, v2, vcc_lo
	v_cmp_nlt_f32_e32 vcc_lo, 0x42b17218, v1
	v_cndmask_b32_e32 v1, 0x7f800000, v2, vcc_lo
	v_add_f32_e32 v1, 1.0, v1
	v_rcp_f32_e32 v1, v1
	v_fma_f32 v3, v1, -2.0, 1.0
.LBB76_11:                              ;   in Loop: Header=BB76_9 Depth=1
	s_andn2_saveexec_b32 s18, s18
	s_cbranch_execz .LBB76_13
; %bb.12:                               ;   in Loop: Header=BB76_9 Depth=1
	v_mul_f32_e32 v1, v72, v72
	v_fmaak_f32 v2, s15, v1, 0x3ca908c9
	v_fmaak_f32 v2, v1, v2, 0xbd5c1c4e
	;; [unrolled: 1-line block ×4, first 2 shown]
	v_mul_f32_e64 v2, |v72|, v2
	v_fma_f32 v3, v1, v2, |v72|
.LBB76_13:                              ;   in Loop: Header=BB76_9 Depth=1
	s_or_b32 exec_lo, exec_lo, s18
	v_add_nc_u32_e32 v1, s6, v26
	v_cmp_ngt_f32_e64 s18, 0x3f200000, |v73|
                                        ; implicit-def: $vgpr4
	v_ashrrev_i32_e32 v2, 31, v1
	v_lshlrev_b64 v[1:2], 1, v[1:2]
	v_add_co_u32 v1, vcc_lo, s36, v1
	v_add_co_ci_u32_e64 v2, null, s37, v2, vcc_lo
	global_load_ushort v79, v[1:2], off
	s_and_saveexec_b32 s19, s18
	s_xor_b32 s18, exec_lo, s19
	s_cbranch_execz .LBB76_15
; %bb.14:                               ;   in Loop: Header=BB76_9 Depth=1
	v_add_f32_e64 v4, |v73|, |v73|
	v_mul_f32_e32 v5, 0x3fb8aa3b, v4
	v_cmp_ngt_f32_e32 vcc_lo, 0xc2ce8ed0, v4
	v_rndne_f32_e32 v6, v5
	v_fma_f32 v7, 0x3fb8aa3b, v4, -v5
	v_sub_f32_e32 v5, v5, v6
	v_fmac_f32_e32 v7, 0x32a5705f, v4
	v_cvt_i32_f32_e32 v6, v6
	v_add_f32_e32 v5, v5, v7
	v_exp_f32_e32 v5, v5
	v_ldexp_f32 v5, v5, v6
	v_cndmask_b32_e32 v5, 0, v5, vcc_lo
	v_cmp_nlt_f32_e32 vcc_lo, 0x42b17218, v4
	v_cndmask_b32_e32 v4, 0x7f800000, v5, vcc_lo
	v_add_f32_e32 v4, 1.0, v4
	v_rcp_f32_e32 v4, v4
	v_fma_f32 v4, v4, -2.0, 1.0
.LBB76_15:                              ;   in Loop: Header=BB76_9 Depth=1
	s_andn2_saveexec_b32 s18, s18
	s_cbranch_execz .LBB76_17
; %bb.16:                               ;   in Loop: Header=BB76_9 Depth=1
	v_mul_f32_e32 v4, v73, v73
	v_fmaak_f32 v5, s15, v4, 0x3ca908c9
	v_fmaak_f32 v5, v4, v5, 0xbd5c1c4e
	;; [unrolled: 1-line block ×4, first 2 shown]
	v_mul_f32_e64 v5, |v73|, v5
	v_fma_f32 v4, v4, v5, |v73|
.LBB76_17:                              ;   in Loop: Header=BB76_9 Depth=1
	s_or_b32 exec_lo, exec_lo, s18
	global_load_ushort v80, v[1:2], off offset:64
	v_cmp_ngt_f32_e64 s18, 0x3f200000, |v74|
                                        ; implicit-def: $vgpr7
	s_and_saveexec_b32 s19, s18
	s_xor_b32 s18, exec_lo, s19
	s_cbranch_execz .LBB76_19
; %bb.18:                               ;   in Loop: Header=BB76_9 Depth=1
	v_add_f32_e64 v5, |v74|, |v74|
	v_mul_f32_e32 v6, 0x3fb8aa3b, v5
	v_cmp_ngt_f32_e32 vcc_lo, 0xc2ce8ed0, v5
	v_rndne_f32_e32 v7, v6
	v_fma_f32 v8, 0x3fb8aa3b, v5, -v6
	v_sub_f32_e32 v6, v6, v7
	v_fmac_f32_e32 v8, 0x32a5705f, v5
	v_cvt_i32_f32_e32 v7, v7
	v_add_f32_e32 v6, v6, v8
	v_exp_f32_e32 v6, v6
	v_ldexp_f32 v6, v6, v7
	v_cndmask_b32_e32 v6, 0, v6, vcc_lo
	v_cmp_nlt_f32_e32 vcc_lo, 0x42b17218, v5
	v_cndmask_b32_e32 v5, 0x7f800000, v6, vcc_lo
	v_add_f32_e32 v5, 1.0, v5
	v_rcp_f32_e32 v5, v5
	v_fma_f32 v7, v5, -2.0, 1.0
.LBB76_19:                              ;   in Loop: Header=BB76_9 Depth=1
	s_andn2_saveexec_b32 s18, s18
	s_cbranch_execz .LBB76_21
; %bb.20:                               ;   in Loop: Header=BB76_9 Depth=1
	v_mul_f32_e32 v5, v74, v74
	v_fmaak_f32 v6, s15, v5, 0x3ca908c9
	v_fmaak_f32 v6, v5, v6, 0xbd5c1c4e
	;; [unrolled: 1-line block ×4, first 2 shown]
	v_mul_f32_e64 v6, |v74|, v6
	v_fma_f32 v7, v5, v6, |v74|
.LBB76_21:                              ;   in Loop: Header=BB76_9 Depth=1
	s_or_b32 exec_lo, exec_lo, s18
	global_load_ushort v84, v[1:2], off offset:128
	v_cmp_ngt_f32_e64 s18, 0x3f200000, |v75|
                                        ; implicit-def: $vgpr8
	s_and_saveexec_b32 s19, s18
	s_xor_b32 s18, exec_lo, s19
	s_cbranch_execz .LBB76_23
; %bb.22:                               ;   in Loop: Header=BB76_9 Depth=1
	v_add_f32_e64 v5, |v75|, |v75|
	v_mul_f32_e32 v6, 0x3fb8aa3b, v5
	v_cmp_ngt_f32_e32 vcc_lo, 0xc2ce8ed0, v5
	v_rndne_f32_e32 v8, v6
	v_fma_f32 v76, 0x3fb8aa3b, v5, -v6
	v_sub_f32_e32 v6, v6, v8
	v_fmac_f32_e32 v76, 0x32a5705f, v5
	v_cvt_i32_f32_e32 v8, v8
	v_add_f32_e32 v6, v6, v76
	v_exp_f32_e32 v6, v6
	v_ldexp_f32 v6, v6, v8
	v_cndmask_b32_e32 v6, 0, v6, vcc_lo
	v_cmp_nlt_f32_e32 vcc_lo, 0x42b17218, v5
	v_cndmask_b32_e32 v5, 0x7f800000, v6, vcc_lo
	v_add_f32_e32 v5, 1.0, v5
	v_rcp_f32_e32 v5, v5
	v_fma_f32 v8, v5, -2.0, 1.0
.LBB76_23:                              ;   in Loop: Header=BB76_9 Depth=1
	s_andn2_saveexec_b32 s18, s18
	s_cbranch_execz .LBB76_25
; %bb.24:                               ;   in Loop: Header=BB76_9 Depth=1
	v_mul_f32_e32 v5, v75, v75
	v_fmaak_f32 v6, s15, v5, 0x3ca908c9
	v_fmaak_f32 v6, v5, v6, 0xbd5c1c4e
	;; [unrolled: 1-line block ×4, first 2 shown]
	v_mul_f32_e64 v6, |v75|, v6
	v_fma_f32 v8, v5, v6, |v75|
.LBB76_25:                              ;   in Loop: Header=BB76_9 Depth=1
	s_or_b32 exec_lo, exec_lo, s18
	global_load_ushort v86, v[1:2], off offset:192
	v_bfi_b32 v1, 0x7fffffff, v3, v72
	v_bfi_b32 v2, 0x7fffffff, v4, v73
	;; [unrolled: 1-line block ×3, first 2 shown]
	v_xor_b32_e32 v76, 16, v46
	v_xor_b32_e32 v75, 8, v46
	s_waitcnt vmcnt(3)
	v_fma_mix_f32 v5, s10, v1, v79 op_sel_hi:[0,0,1]
	s_waitcnt vmcnt(2)
	v_fma_mix_f32 v6, s10, v2, v80 op_sel_hi:[0,0,1]
	v_bfi_b32 v1, 0x7fffffff, v7, v74
	v_cmp_gt_i32_e32 vcc_lo, 32, v76
	v_xor_b32_e32 v74, 4, v46
	v_add_f32_e32 v2, 0x40051340, v5
	v_add_f32_e32 v4, 0x40051340, v6
	s_waitcnt vmcnt(1)
	v_fma_mix_f32 v7, s10, v1, v84 op_sel_hi:[0,0,1]
	v_cndmask_b32_e32 v1, v46, v76, vcc_lo
	v_cmp_gt_i32_e32 vcc_lo, 32, v75
	v_xor_b32_e32 v73, 2, v46
	v_max3_f32 v2, v9, v2, v4
	v_xor_b32_e32 v72, 1, v46
	v_lshlrev_b32_e32 v1, 2, v1
	v_cmp_ngt_f32_e64 s18, 0x3f200000, |v18|
                                        ; implicit-def: $vgpr81
	s_waitcnt vmcnt(0)
	v_fma_mix_f32 v8, s10, v3, v86 op_sel_hi:[0,0,1]
	v_add_f32_e32 v3, 0x40051340, v7
	v_add_f32_e32 v4, 0x40051340, v8
	v_max3_f32 v2, v2, v3, v4
	v_cndmask_b32_e32 v4, v46, v75, vcc_lo
	v_cmp_gt_i32_e32 vcc_lo, 32, v74
	ds_bpermute_b32 v3, v1, v2
	v_lshlrev_b32_e32 v85, 2, v4
	v_cndmask_b32_e32 v4, v46, v74, vcc_lo
	v_cmp_gt_i32_e32 vcc_lo, 32, v73
	v_lshlrev_b32_e32 v83, 2, v4
	v_cndmask_b32_e32 v4, v46, v73, vcc_lo
	v_cmp_gt_i32_e32 vcc_lo, 32, v72
	v_lshlrev_b32_e32 v78, 2, v4
	v_cndmask_b32_e32 v4, v46, v72, vcc_lo
	v_lshlrev_b32_e32 v4, 2, v4
	s_waitcnt lgkmcnt(0)
	v_max_f32_e32 v3, v3, v3
	v_max_f32_e32 v2, v2, v3
	ds_bpermute_b32 v3, v85, v2
	s_waitcnt lgkmcnt(0)
	v_max_f32_e32 v3, v3, v3
	v_max_f32_e32 v2, v2, v3
	ds_bpermute_b32 v3, v83, v2
	;; [unrolled: 4-line block ×4, first 2 shown]
	s_and_saveexec_b32 s19, s18
	s_xor_b32 s18, exec_lo, s19
	s_cbranch_execz .LBB76_27
; %bb.26:                               ;   in Loop: Header=BB76_9 Depth=1
	v_add_f32_e64 v81, |v18|, |v18|
	v_mul_f32_e32 v82, 0x3fb8aa3b, v81
	v_cmp_ngt_f32_e32 vcc_lo, 0xc2ce8ed0, v81
	v_rndne_f32_e32 v87, v82
	v_fma_f32 v88, 0x3fb8aa3b, v81, -v82
	v_sub_f32_e32 v82, v82, v87
	v_fmac_f32_e32 v88, 0x32a5705f, v81
	v_cvt_i32_f32_e32 v87, v87
	v_add_f32_e32 v82, v82, v88
	v_exp_f32_e32 v82, v82
	v_ldexp_f32 v82, v82, v87
	v_cndmask_b32_e32 v82, 0, v82, vcc_lo
	v_cmp_nlt_f32_e32 vcc_lo, 0x42b17218, v81
	v_cndmask_b32_e32 v81, 0x7f800000, v82, vcc_lo
	v_add_f32_e32 v81, 1.0, v81
	v_rcp_f32_e32 v81, v81
	v_fma_f32 v81, v81, -2.0, 1.0
.LBB76_27:                              ;   in Loop: Header=BB76_9 Depth=1
	s_andn2_saveexec_b32 s18, s18
	s_cbranch_execz .LBB76_29
; %bb.28:                               ;   in Loop: Header=BB76_9 Depth=1
	v_mul_f32_e32 v81, v18, v18
	v_fmaak_f32 v82, s15, v81, 0x3ca908c9
	v_fmaak_f32 v82, v81, v82, 0xbd5c1c4e
	;; [unrolled: 1-line block ×4, first 2 shown]
	v_mul_f32_e64 v82, |v18|, v82
	v_fma_f32 v81, v81, v82, |v18|
.LBB76_29:                              ;   in Loop: Header=BB76_9 Depth=1
	s_or_b32 exec_lo, exec_lo, s18
	v_cmp_ngt_f32_e64 s18, 0x3f200000, |v19|
                                        ; implicit-def: $vgpr87
	s_and_saveexec_b32 s19, s18
	s_xor_b32 s18, exec_lo, s19
	s_cbranch_execz .LBB76_31
; %bb.30:                               ;   in Loop: Header=BB76_9 Depth=1
	v_add_f32_e64 v82, |v19|, |v19|
	v_mul_f32_e32 v87, 0x3fb8aa3b, v82
	v_cmp_ngt_f32_e32 vcc_lo, 0xc2ce8ed0, v82
	v_rndne_f32_e32 v88, v87
	v_fma_f32 v89, 0x3fb8aa3b, v82, -v87
	v_sub_f32_e32 v87, v87, v88
	v_fmac_f32_e32 v89, 0x32a5705f, v82
	v_cvt_i32_f32_e32 v88, v88
	v_add_f32_e32 v87, v87, v89
	v_exp_f32_e32 v87, v87
	v_ldexp_f32 v87, v87, v88
	v_cndmask_b32_e32 v87, 0, v87, vcc_lo
	v_cmp_nlt_f32_e32 vcc_lo, 0x42b17218, v82
	v_cndmask_b32_e32 v82, 0x7f800000, v87, vcc_lo
	v_add_f32_e32 v82, 1.0, v82
	v_rcp_f32_e32 v82, v82
	v_fma_f32 v87, v82, -2.0, 1.0
.LBB76_31:                              ;   in Loop: Header=BB76_9 Depth=1
	s_andn2_saveexec_b32 s18, s18
	s_cbranch_execz .LBB76_33
; %bb.32:                               ;   in Loop: Header=BB76_9 Depth=1
	v_mul_f32_e32 v82, v19, v19
	v_fmaak_f32 v87, s15, v82, 0x3ca908c9
	v_fmaak_f32 v87, v82, v87, 0xbd5c1c4e
	;; [unrolled: 1-line block ×4, first 2 shown]
	v_mul_f32_e64 v87, |v19|, v87
	v_fma_f32 v87, v82, v87, |v19|
.LBB76_33:                              ;   in Loop: Header=BB76_9 Depth=1
	s_or_b32 exec_lo, exec_lo, s18
	v_cmp_ngt_f32_e64 s18, 0x3f200000, |v20|
                                        ; implicit-def: $vgpr88
	s_and_saveexec_b32 s19, s18
	s_xor_b32 s18, exec_lo, s19
	s_cbranch_execz .LBB76_35
; %bb.34:                               ;   in Loop: Header=BB76_9 Depth=1
	v_add_f32_e64 v82, |v20|, |v20|
	v_mul_f32_e32 v88, 0x3fb8aa3b, v82
	v_cmp_ngt_f32_e32 vcc_lo, 0xc2ce8ed0, v82
	v_rndne_f32_e32 v89, v88
	v_fma_f32 v90, 0x3fb8aa3b, v82, -v88
	v_sub_f32_e32 v88, v88, v89
	v_fmac_f32_e32 v90, 0x32a5705f, v82
	v_cvt_i32_f32_e32 v89, v89
	v_add_f32_e32 v88, v88, v90
	v_exp_f32_e32 v88, v88
	v_ldexp_f32 v88, v88, v89
	v_cndmask_b32_e32 v88, 0, v88, vcc_lo
	v_cmp_nlt_f32_e32 vcc_lo, 0x42b17218, v82
	v_cndmask_b32_e32 v82, 0x7f800000, v88, vcc_lo
	v_add_f32_e32 v82, 1.0, v82
	v_rcp_f32_e32 v82, v82
	v_fma_f32 v88, v82, -2.0, 1.0
.LBB76_35:                              ;   in Loop: Header=BB76_9 Depth=1
	s_andn2_saveexec_b32 s18, s18
	s_cbranch_execz .LBB76_37
; %bb.36:                               ;   in Loop: Header=BB76_9 Depth=1
	v_mul_f32_e32 v82, v20, v20
	v_fmaak_f32 v88, s15, v82, 0x3ca908c9
	v_fmaak_f32 v88, v82, v88, 0xbd5c1c4e
	;; [unrolled: 1-line block ×4, first 2 shown]
	v_mul_f32_e64 v88, |v20|, v88
	v_fma_f32 v88, v82, v88, |v20|
.LBB76_37:                              ;   in Loop: Header=BB76_9 Depth=1
	s_or_b32 exec_lo, exec_lo, s18
	v_cmp_ngt_f32_e64 s18, 0x3f200000, |v77|
                                        ; implicit-def: $vgpr89
	s_and_saveexec_b32 s19, s18
	s_xor_b32 s18, exec_lo, s19
	s_cbranch_execz .LBB76_39
; %bb.38:                               ;   in Loop: Header=BB76_9 Depth=1
	v_add_f32_e64 v82, |v77|, |v77|
	v_mul_f32_e32 v89, 0x3fb8aa3b, v82
	v_cmp_ngt_f32_e32 vcc_lo, 0xc2ce8ed0, v82
	v_rndne_f32_e32 v90, v89
	v_fma_f32 v91, 0x3fb8aa3b, v82, -v89
	v_sub_f32_e32 v89, v89, v90
	v_fmac_f32_e32 v91, 0x32a5705f, v82
	v_cvt_i32_f32_e32 v90, v90
	v_add_f32_e32 v89, v89, v91
	v_exp_f32_e32 v89, v89
	v_ldexp_f32 v89, v89, v90
	v_cndmask_b32_e32 v89, 0, v89, vcc_lo
	v_cmp_nlt_f32_e32 vcc_lo, 0x42b17218, v82
	v_cndmask_b32_e32 v82, 0x7f800000, v89, vcc_lo
	v_add_f32_e32 v82, 1.0, v82
	v_rcp_f32_e32 v82, v82
	v_fma_f32 v89, v82, -2.0, 1.0
.LBB76_39:                              ;   in Loop: Header=BB76_9 Depth=1
	s_andn2_saveexec_b32 s18, s18
	s_cbranch_execz .LBB76_41
; %bb.40:                               ;   in Loop: Header=BB76_9 Depth=1
	v_mul_f32_e32 v82, v77, v77
	v_fmaak_f32 v89, s15, v82, 0x3ca908c9
	v_fmaak_f32 v89, v82, v89, 0xbd5c1c4e
	;; [unrolled: 1-line block ×4, first 2 shown]
	v_mul_f32_e64 v89, |v77|, v89
	v_fma_f32 v89, v82, v89, |v77|
.LBB76_41:                              ;   in Loop: Header=BB76_9 Depth=1
	s_or_b32 exec_lo, exec_lo, s18
	v_cvt_f32_f16_e32 v82, v79
	v_bfi_b32 v18, 0x7fffffff, v81, v18
	v_cvt_f32_f16_e32 v81, v80
	v_bfi_b32 v19, 0x7fffffff, v87, v19
	v_cvt_f32_f16_e32 v80, v84
	v_cvt_f32_f16_e32 v79, v86
	v_fma_f32 v18, s10, v18, v82
	v_bfi_b32 v20, 0x7fffffff, v88, v20
	v_fma_f32 v90, s10, v19, v81
	v_bfi_b32 v19, 0x7fffffff, v89, v77
	v_cmp_ngt_f32_e64 s18, 0x3f200000, |v14|
	v_add_f32_e32 v86, 0x40051340, v18
	v_fma_f32 v77, s10, v20, v80
	v_add_f32_e32 v20, 0x40051340, v90
	v_fma_f32 v84, s10, v19, v79
	v_add_f32_e32 v19, 0x40051340, v77
	v_max3_f32 v20, v70, v86, v20
	v_add_f32_e32 v86, 0x40051340, v84
	v_max3_f32 v19, v20, v19, v86
                                        ; implicit-def: $vgpr86
	ds_bpermute_b32 v20, v1, v19
	s_waitcnt lgkmcnt(0)
	v_max_f32_e32 v20, v20, v20
	v_max_f32_e32 v19, v19, v20
	ds_bpermute_b32 v20, v85, v19
	s_waitcnt lgkmcnt(0)
	v_max_f32_e32 v20, v20, v20
	v_max_f32_e32 v19, v19, v20
	;; [unrolled: 4-line block ×4, first 2 shown]
	ds_bpermute_b32 v20, v4, v19
	s_and_saveexec_b32 s19, s18
	s_xor_b32 s18, exec_lo, s19
	s_cbranch_execz .LBB76_43
; %bb.42:                               ;   in Loop: Header=BB76_9 Depth=1
	v_add_f32_e64 v86, |v14|, |v14|
	v_mul_f32_e32 v87, 0x3fb8aa3b, v86
	v_cmp_ngt_f32_e32 vcc_lo, 0xc2ce8ed0, v86
	v_rndne_f32_e32 v88, v87
	v_fma_f32 v89, 0x3fb8aa3b, v86, -v87
	v_sub_f32_e32 v87, v87, v88
	v_fmac_f32_e32 v89, 0x32a5705f, v86
	v_cvt_i32_f32_e32 v88, v88
	v_add_f32_e32 v87, v87, v89
	v_exp_f32_e32 v87, v87
	v_ldexp_f32 v87, v87, v88
	v_cndmask_b32_e32 v87, 0, v87, vcc_lo
	v_cmp_nlt_f32_e32 vcc_lo, 0x42b17218, v86
	v_cndmask_b32_e32 v86, 0x7f800000, v87, vcc_lo
	v_add_f32_e32 v86, 1.0, v86
	v_rcp_f32_e32 v86, v86
	v_fma_f32 v86, v86, -2.0, 1.0
.LBB76_43:                              ;   in Loop: Header=BB76_9 Depth=1
	s_andn2_saveexec_b32 s18, s18
	s_cbranch_execz .LBB76_45
; %bb.44:                               ;   in Loop: Header=BB76_9 Depth=1
	v_mul_f32_e32 v86, v14, v14
	v_fmaak_f32 v87, s15, v86, 0x3ca908c9
	v_fmaak_f32 v87, v86, v87, 0xbd5c1c4e
	;; [unrolled: 1-line block ×4, first 2 shown]
	v_mul_f32_e64 v87, |v14|, v87
	v_fma_f32 v86, v86, v87, |v14|
.LBB76_45:                              ;   in Loop: Header=BB76_9 Depth=1
	s_or_b32 exec_lo, exec_lo, s18
	v_cmp_ngt_f32_e64 s18, 0x3f200000, |v15|
                                        ; implicit-def: $vgpr87
	s_and_saveexec_b32 s19, s18
	s_xor_b32 s18, exec_lo, s19
	s_cbranch_execz .LBB76_47
; %bb.46:                               ;   in Loop: Header=BB76_9 Depth=1
	v_add_f32_e64 v87, |v15|, |v15|
	v_mul_f32_e32 v88, 0x3fb8aa3b, v87
	v_cmp_ngt_f32_e32 vcc_lo, 0xc2ce8ed0, v87
	v_rndne_f32_e32 v89, v88
	v_fma_f32 v91, 0x3fb8aa3b, v87, -v88
	v_sub_f32_e32 v88, v88, v89
	v_fmac_f32_e32 v91, 0x32a5705f, v87
	v_cvt_i32_f32_e32 v89, v89
	v_add_f32_e32 v88, v88, v91
	v_exp_f32_e32 v88, v88
	v_ldexp_f32 v88, v88, v89
	v_cndmask_b32_e32 v88, 0, v88, vcc_lo
	v_cmp_nlt_f32_e32 vcc_lo, 0x42b17218, v87
	v_cndmask_b32_e32 v87, 0x7f800000, v88, vcc_lo
	v_add_f32_e32 v87, 1.0, v87
	v_rcp_f32_e32 v87, v87
	v_fma_f32 v87, v87, -2.0, 1.0
.LBB76_47:                              ;   in Loop: Header=BB76_9 Depth=1
	s_andn2_saveexec_b32 s18, s18
	s_cbranch_execz .LBB76_49
; %bb.48:                               ;   in Loop: Header=BB76_9 Depth=1
	v_mul_f32_e32 v87, v15, v15
	v_fmaak_f32 v88, s15, v87, 0x3ca908c9
	v_fmaak_f32 v88, v87, v88, 0xbd5c1c4e
	;; [unrolled: 1-line block ×4, first 2 shown]
	v_mul_f32_e64 v88, |v15|, v88
	v_fma_f32 v87, v87, v88, |v15|
.LBB76_49:                              ;   in Loop: Header=BB76_9 Depth=1
	s_or_b32 exec_lo, exec_lo, s18
	v_cmp_ngt_f32_e64 s18, 0x3f200000, |v16|
                                        ; implicit-def: $vgpr88
	s_and_saveexec_b32 s19, s18
	s_xor_b32 s18, exec_lo, s19
	s_cbranch_execz .LBB76_51
; %bb.50:                               ;   in Loop: Header=BB76_9 Depth=1
	v_add_f32_e64 v88, |v16|, |v16|
	v_mul_f32_e32 v89, 0x3fb8aa3b, v88
	v_cmp_ngt_f32_e32 vcc_lo, 0xc2ce8ed0, v88
	v_rndne_f32_e32 v91, v89
	v_fma_f32 v92, 0x3fb8aa3b, v88, -v89
	v_sub_f32_e32 v89, v89, v91
	v_fmac_f32_e32 v92, 0x32a5705f, v88
	v_cvt_i32_f32_e32 v91, v91
	v_add_f32_e32 v89, v89, v92
	v_exp_f32_e32 v89, v89
	v_ldexp_f32 v89, v89, v91
	v_cndmask_b32_e32 v89, 0, v89, vcc_lo
	v_cmp_nlt_f32_e32 vcc_lo, 0x42b17218, v88
	v_cndmask_b32_e32 v88, 0x7f800000, v89, vcc_lo
	v_add_f32_e32 v88, 1.0, v88
	v_rcp_f32_e32 v88, v88
	v_fma_f32 v88, v88, -2.0, 1.0
.LBB76_51:                              ;   in Loop: Header=BB76_9 Depth=1
	s_andn2_saveexec_b32 s18, s18
	s_cbranch_execz .LBB76_53
; %bb.52:                               ;   in Loop: Header=BB76_9 Depth=1
	v_mul_f32_e32 v88, v16, v16
	v_fmaak_f32 v89, s15, v88, 0x3ca908c9
	v_fmaak_f32 v89, v88, v89, 0xbd5c1c4e
	;; [unrolled: 1-line block ×4, first 2 shown]
	v_mul_f32_e64 v89, |v16|, v89
	v_fma_f32 v88, v88, v89, |v16|
.LBB76_53:                              ;   in Loop: Header=BB76_9 Depth=1
	s_or_b32 exec_lo, exec_lo, s18
	v_cmp_ngt_f32_e64 s18, 0x3f200000, |v17|
                                        ; implicit-def: $vgpr91
	s_and_saveexec_b32 s19, s18
	s_xor_b32 s18, exec_lo, s19
	s_cbranch_execz .LBB76_55
; %bb.54:                               ;   in Loop: Header=BB76_9 Depth=1
	v_add_f32_e64 v89, |v17|, |v17|
	v_mul_f32_e32 v91, 0x3fb8aa3b, v89
	v_cmp_ngt_f32_e32 vcc_lo, 0xc2ce8ed0, v89
	v_rndne_f32_e32 v92, v91
	v_fma_f32 v93, 0x3fb8aa3b, v89, -v91
	v_sub_f32_e32 v91, v91, v92
	v_fmac_f32_e32 v93, 0x32a5705f, v89
	v_cvt_i32_f32_e32 v92, v92
	v_add_f32_e32 v91, v91, v93
	v_exp_f32_e32 v91, v91
	v_ldexp_f32 v91, v91, v92
	v_cndmask_b32_e32 v91, 0, v91, vcc_lo
	v_cmp_nlt_f32_e32 vcc_lo, 0x42b17218, v89
	v_cndmask_b32_e32 v89, 0x7f800000, v91, vcc_lo
	v_add_f32_e32 v89, 1.0, v89
	v_rcp_f32_e32 v89, v89
	v_fma_f32 v91, v89, -2.0, 1.0
.LBB76_55:                              ;   in Loop: Header=BB76_9 Depth=1
	s_andn2_saveexec_b32 s18, s18
	s_cbranch_execz .LBB76_57
; %bb.56:                               ;   in Loop: Header=BB76_9 Depth=1
	v_mul_f32_e32 v89, v17, v17
	v_fmaak_f32 v91, s15, v89, 0x3ca908c9
	v_fmaak_f32 v91, v89, v91, 0xbd5c1c4e
	;; [unrolled: 1-line block ×4, first 2 shown]
	v_mul_f32_e64 v91, |v17|, v91
	v_fma_f32 v91, v89, v91, |v17|
.LBB76_57:                              ;   in Loop: Header=BB76_9 Depth=1
	s_or_b32 exec_lo, exec_lo, s18
	v_bfi_b32 v14, 0x7fffffff, v86, v14
	v_bfi_b32 v15, 0x7fffffff, v87, v15
	;; [unrolled: 1-line block ×3, first 2 shown]
	v_cmp_ngt_f32_e64 s18, 0x3f200000, |v10|
	v_fma_f32 v89, s10, v14, v82
	v_fma_f32 v88, s10, v15, v81
	v_bfi_b32 v14, 0x7fffffff, v91, v17
	v_fma_f32 v87, s10, v16, v80
	v_add_f32_e32 v15, 0x40051340, v89
	v_add_f32_e32 v16, 0x40051340, v88
	v_fma_f32 v86, s10, v14, v79
	v_add_f32_e32 v14, 0x40051340, v87
	v_max3_f32 v15, v69, v15, v16
	v_add_f32_e32 v16, 0x40051340, v86
	v_max3_f32 v14, v15, v14, v16
                                        ; implicit-def: $vgpr16
	ds_bpermute_b32 v15, v1, v14
	s_waitcnt lgkmcnt(0)
	v_max_f32_e32 v15, v15, v15
	v_max_f32_e32 v14, v14, v15
	ds_bpermute_b32 v15, v85, v14
	s_waitcnt lgkmcnt(0)
	v_max_f32_e32 v15, v15, v15
	v_max_f32_e32 v14, v14, v15
	;; [unrolled: 4-line block ×4, first 2 shown]
	ds_bpermute_b32 v15, v4, v14
	s_and_saveexec_b32 s19, s18
	s_xor_b32 s18, exec_lo, s19
	s_cbranch_execz .LBB76_59
; %bb.58:                               ;   in Loop: Header=BB76_9 Depth=1
	v_add_f32_e64 v16, |v10|, |v10|
	v_mul_f32_e32 v17, 0x3fb8aa3b, v16
	v_cmp_ngt_f32_e32 vcc_lo, 0xc2ce8ed0, v16
	v_rndne_f32_e32 v91, v17
	v_fma_f32 v92, 0x3fb8aa3b, v16, -v17
	v_sub_f32_e32 v17, v17, v91
	v_fmac_f32_e32 v92, 0x32a5705f, v16
	v_cvt_i32_f32_e32 v91, v91
	v_add_f32_e32 v17, v17, v92
	v_exp_f32_e32 v17, v17
	v_ldexp_f32 v17, v17, v91
	v_cndmask_b32_e32 v17, 0, v17, vcc_lo
	v_cmp_nlt_f32_e32 vcc_lo, 0x42b17218, v16
	v_cndmask_b32_e32 v16, 0x7f800000, v17, vcc_lo
	v_add_f32_e32 v16, 1.0, v16
	v_rcp_f32_e32 v16, v16
	v_fma_f32 v16, v16, -2.0, 1.0
.LBB76_59:                              ;   in Loop: Header=BB76_9 Depth=1
	s_andn2_saveexec_b32 s18, s18
	s_cbranch_execz .LBB76_61
; %bb.60:                               ;   in Loop: Header=BB76_9 Depth=1
	v_mul_f32_e32 v16, v10, v10
	v_fmaak_f32 v17, s15, v16, 0x3ca908c9
	v_fmaak_f32 v17, v16, v17, 0xbd5c1c4e
	;; [unrolled: 1-line block ×4, first 2 shown]
	v_mul_f32_e64 v17, |v10|, v17
	v_fma_f32 v16, v16, v17, |v10|
.LBB76_61:                              ;   in Loop: Header=BB76_9 Depth=1
	s_or_b32 exec_lo, exec_lo, s18
	v_cmp_ngt_f32_e64 s18, 0x3f200000, |v11|
                                        ; implicit-def: $vgpr17
	s_and_saveexec_b32 s19, s18
	s_xor_b32 s18, exec_lo, s19
	s_cbranch_execz .LBB76_63
; %bb.62:                               ;   in Loop: Header=BB76_9 Depth=1
	v_add_f32_e64 v17, |v11|, |v11|
	v_mul_f32_e32 v91, 0x3fb8aa3b, v17
	v_cmp_ngt_f32_e32 vcc_lo, 0xc2ce8ed0, v17
	v_rndne_f32_e32 v92, v91
	v_fma_f32 v93, 0x3fb8aa3b, v17, -v91
	v_sub_f32_e32 v91, v91, v92
	v_fmac_f32_e32 v93, 0x32a5705f, v17
	v_cvt_i32_f32_e32 v92, v92
	v_add_f32_e32 v91, v91, v93
	v_exp_f32_e32 v91, v91
	v_ldexp_f32 v91, v91, v92
	v_cndmask_b32_e32 v91, 0, v91, vcc_lo
	v_cmp_nlt_f32_e32 vcc_lo, 0x42b17218, v17
	v_cndmask_b32_e32 v17, 0x7f800000, v91, vcc_lo
	v_add_f32_e32 v17, 1.0, v17
	v_rcp_f32_e32 v17, v17
	v_fma_f32 v17, v17, -2.0, 1.0
.LBB76_63:                              ;   in Loop: Header=BB76_9 Depth=1
	s_andn2_saveexec_b32 s18, s18
	s_cbranch_execz .LBB76_65
; %bb.64:                               ;   in Loop: Header=BB76_9 Depth=1
	v_mul_f32_e32 v17, v11, v11
	v_fmaak_f32 v91, s15, v17, 0x3ca908c9
	v_fmaak_f32 v91, v17, v91, 0xbd5c1c4e
	;; [unrolled: 1-line block ×4, first 2 shown]
	v_mul_f32_e64 v91, |v11|, v91
	v_fma_f32 v17, v17, v91, |v11|
.LBB76_65:                              ;   in Loop: Header=BB76_9 Depth=1
	s_or_b32 exec_lo, exec_lo, s18
	v_cmp_ngt_f32_e64 s18, 0x3f200000, |v12|
                                        ; implicit-def: $vgpr91
	s_and_saveexec_b32 s19, s18
	s_xor_b32 s18, exec_lo, s19
	s_cbranch_execz .LBB76_67
; %bb.66:                               ;   in Loop: Header=BB76_9 Depth=1
	v_add_f32_e64 v91, |v12|, |v12|
	v_mul_f32_e32 v92, 0x3fb8aa3b, v91
	v_cmp_ngt_f32_e32 vcc_lo, 0xc2ce8ed0, v91
	v_rndne_f32_e32 v93, v92
	v_fma_f32 v94, 0x3fb8aa3b, v91, -v92
	v_sub_f32_e32 v92, v92, v93
	v_fmac_f32_e32 v94, 0x32a5705f, v91
	v_cvt_i32_f32_e32 v93, v93
	v_add_f32_e32 v92, v92, v94
	v_exp_f32_e32 v92, v92
	v_ldexp_f32 v92, v92, v93
	v_cndmask_b32_e32 v92, 0, v92, vcc_lo
	v_cmp_nlt_f32_e32 vcc_lo, 0x42b17218, v91
	v_cndmask_b32_e32 v91, 0x7f800000, v92, vcc_lo
	v_add_f32_e32 v91, 1.0, v91
	v_rcp_f32_e32 v91, v91
	v_fma_f32 v91, v91, -2.0, 1.0
.LBB76_67:                              ;   in Loop: Header=BB76_9 Depth=1
	s_andn2_saveexec_b32 s18, s18
	s_cbranch_execz .LBB76_69
; %bb.68:                               ;   in Loop: Header=BB76_9 Depth=1
	v_mul_f32_e32 v91, v12, v12
	v_fmaak_f32 v92, s15, v91, 0x3ca908c9
	v_fmaak_f32 v92, v91, v92, 0xbd5c1c4e
	;; [unrolled: 1-line block ×4, first 2 shown]
	v_mul_f32_e64 v92, |v12|, v92
	v_fma_f32 v91, v91, v92, |v12|
.LBB76_69:                              ;   in Loop: Header=BB76_9 Depth=1
	s_or_b32 exec_lo, exec_lo, s18
	v_cmp_ngt_f32_e64 s18, 0x3f200000, |v13|
                                        ; implicit-def: $vgpr92
	s_and_saveexec_b32 s19, s18
	s_xor_b32 s18, exec_lo, s19
	s_cbranch_execz .LBB76_71
; %bb.70:                               ;   in Loop: Header=BB76_9 Depth=1
	v_add_f32_e64 v92, |v13|, |v13|
	v_mul_f32_e32 v93, 0x3fb8aa3b, v92
	v_cmp_ngt_f32_e32 vcc_lo, 0xc2ce8ed0, v92
	v_rndne_f32_e32 v94, v93
	v_fma_f32 v95, 0x3fb8aa3b, v92, -v93
	v_sub_f32_e32 v93, v93, v94
	v_fmac_f32_e32 v95, 0x32a5705f, v92
	v_cvt_i32_f32_e32 v94, v94
	v_add_f32_e32 v93, v93, v95
	v_exp_f32_e32 v93, v93
	v_ldexp_f32 v93, v93, v94
	v_cndmask_b32_e32 v93, 0, v93, vcc_lo
	v_cmp_nlt_f32_e32 vcc_lo, 0x42b17218, v92
	v_cndmask_b32_e32 v92, 0x7f800000, v93, vcc_lo
	v_add_f32_e32 v92, 1.0, v92
	v_rcp_f32_e32 v92, v92
	v_fma_f32 v92, v92, -2.0, 1.0
.LBB76_71:                              ;   in Loop: Header=BB76_9 Depth=1
	s_andn2_saveexec_b32 s18, s18
	s_cbranch_execz .LBB76_73
; %bb.72:                               ;   in Loop: Header=BB76_9 Depth=1
	v_mul_f32_e32 v92, v13, v13
	v_fmaak_f32 v93, s15, v92, 0x3ca908c9
	v_fmaak_f32 v93, v92, v93, 0xbd5c1c4e
	;; [unrolled: 1-line block ×4, first 2 shown]
	v_mul_f32_e64 v93, |v13|, v93
	v_fma_f32 v92, v92, v93, |v13|
.LBB76_73:                              ;   in Loop: Header=BB76_9 Depth=1
	s_or_b32 exec_lo, exec_lo, s18
	v_bfi_b32 v10, 0x7fffffff, v16, v10
	v_bfi_b32 v11, 0x7fffffff, v17, v11
	v_bfi_b32 v12, 0x7fffffff, v91, v12
	v_bfi_b32 v13, 0x7fffffff, v92, v13
	s_mul_hi_i32 s19, s6, s8
	v_fmac_f32_e32 v82, s10, v10
	v_fmac_f32_e32 v81, s10, v11
	;; [unrolled: 1-line block ×4, first 2 shown]
	s_waitcnt lgkmcnt(0)
	v_max_f32_e32 v12, v15, v15
	v_add_f32_e32 v10, 0x40051340, v82
	v_add_f32_e32 v11, 0x40051340, v81
	v_max_f32_e32 v13, v14, v14
	v_add_f32_e32 v14, 0x40051340, v80
	v_add_f32_e32 v15, 0x40051340, v79
	s_mul_i32 s18, s6, s8
	v_max3_f32 v10, v68, v10, v11
	v_max_f32_e32 v11, v20, v20
	v_max_f32_e32 v16, v19, v19
	s_lshl_b64 s[18:19], s[18:19], 2
	v_max_f32_e32 v17, v3, v3
	v_max3_f32 v10, v10, v14, v15
	v_max_f32_e32 v19, v2, v2
	s_add_u32 s18, s12, s18
	v_max_f32_e32 v2, v16, v11
	s_addc_u32 s19, s13, s19
	ds_bpermute_b32 v14, v1, v10
	v_add_co_u32 v11, vcc_lo, s18, v35
	v_max_f32_e32 v3, v13, v12
	v_add_co_ci_u32_e64 v12, null, s19, v36, vcc_lo
	v_add_co_u32 v13, vcc_lo, s18, v37
	v_max_f32_e32 v1, v19, v17
	v_add_co_ci_u32_e64 v15, null, s19, v38, vcc_lo
	v_add_co_u32 v16, vcc_lo, s18, v39
	v_add_co_ci_u32_e64 v17, null, s19, v40, vcc_lo
	v_add_co_u32 v19, vcc_lo, s18, v41
	v_add_co_ci_u32_e64 v20, null, s19, v42, vcc_lo
	v_sub_f32_e32 v93, v5, v1
	s_waitcnt lgkmcnt(0)
	v_max_f32_e32 v14, v14, v14
	v_add_co_u32 v5, vcc_lo, v11, v59
	v_sub_f32_e32 v91, v9, v1
	v_sub_f32_e32 v94, v6, v1
	v_max_f32_e32 v92, v10, v14
	v_add_co_ci_u32_e64 v6, null, 0, v12, vcc_lo
	v_add_co_u32 v9, vcc_lo, v13, v59
	ds_bpermute_b32 v85, v85, v92
	v_add_co_ci_u32_e64 v10, null, 0, v15, vcc_lo
	v_add_co_u32 v13, vcc_lo, v16, v59
	v_add_co_ci_u32_e64 v14, null, 0, v17, vcc_lo
	v_add_co_u32 v17, vcc_lo, v19, v59
	v_sub_f32_e32 v97, v18, v2
	v_add_co_ci_u32_e64 v18, null, 0, v20, vcc_lo
	s_waitcnt lgkmcnt(0)
	s_barrier
	buffer_gl0_inv
	v_sub_f32_e32 v95, v7, v1
	v_sub_f32_e32 v96, v8, v1
	s_clause 0x3
	global_load_dwordx4 v[5:8], v[5:6], off
	global_load_dwordx4 v[9:12], v[9:10], off
	;; [unrolled: 1-line block ×4, first 2 shown]
	v_sub_f32_e32 v98, v77, v2
	v_max_f32_e32 v85, v85, v85
	v_mul_f32_e32 v99, 0x3fb8aa3b, v95
	v_mul_f32_e32 v100, 0x3fb8aa3b, v96
	v_mul_f32_e32 v101, 0x3fb8aa3b, v91
	v_mul_f32_e32 v102, 0x3fb8aa3b, v97
	v_max_f32_e32 v77, v92, v85
	v_mul_f32_e32 v85, 0x3fb8aa3b, v93
	v_mul_f32_e32 v92, 0x3fb8aa3b, v94
	v_fma_f32 v108, 0x3fb8aa3b, v95, -v99
	v_rndne_f32_e32 v109, v99
	ds_bpermute_b32 v83, v83, v77
	v_fma_f32 v104, 0x3fb8aa3b, v93, -v85
	v_rndne_f32_e32 v105, v85
	v_fma_f32 v106, 0x3fb8aa3b, v94, -v92
	v_rndne_f32_e32 v107, v92
	v_fma_f32 v110, 0x3fb8aa3b, v96, -v100
	v_fmac_f32_e32 v104, 0x32a5705f, v93
	v_sub_f32_e32 v85, v85, v105
	v_fmac_f32_e32 v106, 0x32a5705f, v94
	v_sub_f32_e32 v92, v92, v107
	v_rndne_f32_e32 v111, v100
	v_fmac_f32_e32 v108, 0x32a5705f, v95
	v_add_f32_e32 v85, v85, v104
	v_cvt_i32_f32_e32 v105, v105
	v_add_f32_e32 v92, v92, v106
	v_fmac_f32_e32 v110, 0x32a5705f, v96
	v_rndne_f32_e32 v113, v101
	v_exp_f32_e32 v85, v85
	v_rndne_f32_e32 v115, v102
	v_exp_f32_e32 v92, v92
	s_waitcnt lgkmcnt(0)
	v_max_f32_e32 v83, v83, v83
	v_cvt_i32_f32_e32 v107, v107
	v_cmp_ngt_f32_e32 vcc_lo, 0xc2ce8ed0, v93
	v_fma_f32 v112, 0x3fb8aa3b, v91, -v101
	v_fma_f32 v114, 0x3fb8aa3b, v97, -v102
	v_max_f32_e32 v77, v77, v83
	v_sub_f32_e32 v83, v99, v109
	v_sub_f32_e32 v99, v100, v111
	v_ldexp_f32 v85, v85, v105
	v_sub_f32_e32 v100, v101, v113
	ds_bpermute_b32 v78, v78, v77
	v_add_f32_e32 v83, v83, v108
	v_add_f32_e32 v99, v99, v110
	v_sub_f32_e32 v101, v102, v115
	v_cvt_i32_f32_e32 v102, v109
	v_ldexp_f32 v92, v92, v107
	v_exp_f32_e32 v83, v83
	v_exp_f32_e32 v99, v99
	v_fmac_f32_e32 v112, 0x32a5705f, v91
	v_cvt_i32_f32_e32 v104, v111
	v_cvt_i32_f32_e32 v106, v113
	v_sub_f32_e32 v90, v90, v2
	v_fmac_f32_e32 v114, 0x32a5705f, v97
	v_add_f32_e32 v100, v100, v112
	v_sub_f32_e32 v84, v84, v2
	v_sub_f32_e32 v70, v70, v2
	v_ldexp_f32 v83, v83, v102
	v_ldexp_f32 v99, v99, v104
	v_exp_f32_e32 v100, v100
	v_mul_f32_e32 v103, 0x3fb8aa3b, v90
	s_waitcnt lgkmcnt(0)
	v_max_f32_e32 v78, v78, v78
	v_add_f32_e32 v101, v101, v114
	v_sub_f32_e32 v89, v89, v3
	v_sub_f32_e32 v88, v88, v3
	v_fma_f32 v116, 0x3fb8aa3b, v90, -v103
	v_max_f32_e32 v78, v77, v78
	v_cndmask_b32_e32 v77, 0, v85, vcc_lo
	v_cmp_ngt_f32_e32 vcc_lo, 0xc2ce8ed0, v94
	v_ldexp_f32 v100, v100, v106
	v_rndne_f32_e32 v117, v103
	ds_bpermute_b32 v4, v4, v78
	v_fmac_f32_e32 v116, 0x32a5705f, v90
	v_cndmask_b32_e32 v85, 0, v92, vcc_lo
	v_cmp_ngt_f32_e32 vcc_lo, 0xc2ce8ed0, v95
	v_sub_f32_e32 v87, v87, v3
	v_sub_f32_e32 v86, v86, v3
	s_or_b32 s18, s6, 64
	v_cndmask_b32_e32 v83, 0, v83, vcc_lo
	v_cmp_ngt_f32_e32 vcc_lo, 0xc2ce8ed0, v96
	s_mul_hi_i32 s19, s18, s8
	s_mul_i32 s18, s18, s8
	s_lshl_b64 s[18:19], s[18:19], 2
	v_cndmask_b32_e32 v92, 0, v99, vcc_lo
	v_cmp_nlt_f32_e32 vcc_lo, 0x42b17218, v93
	s_add_u32 s18, s12, s18
	s_addc_u32 s19, s13, s19
	v_cndmask_b32_e32 v77, 0x7f800000, v77, vcc_lo
	v_cmp_nlt_f32_e32 vcc_lo, 0x42b17218, v94
	s_waitcnt lgkmcnt(0)
	v_max_f32_e32 v4, v4, v4
	v_cndmask_b32_e32 v85, 0x7f800000, v85, vcc_lo
	v_cmp_ngt_f32_e32 vcc_lo, 0xc2ce8ed0, v91
	v_max_f32_e32 v4, v78, v4
	v_sub_f32_e32 v78, v103, v117
	v_add_f32_e32 v94, v77, v85
	v_cndmask_b32_e32 v93, 0, v100, vcc_lo
	v_cmp_nlt_f32_e32 vcc_lo, 0x42b17218, v95
	v_exp_f32_e32 v100, v101
	v_mul_f32_e32 v101, 0x3fb8aa3b, v88
	v_sub_f32_e32 v82, v82, v4
	v_sub_f32_e32 v81, v81, v4
	v_cndmask_b32_e32 v83, 0x7f800000, v83, vcc_lo
	v_cmp_nlt_f32_e32 vcc_lo, 0x42b17218, v96
	v_rndne_f32_e32 v102, v101
	v_sub_f32_e32 v80, v80, v4
	v_cvt_f16_f32_e32 v85, v85
	v_cndmask_b32_e32 v92, 0x7f800000, v92, vcc_lo
	v_cmp_nlt_f32_e32 vcc_lo, 0x42b17218, v91
	v_mul_f32_e32 v105, 0x3fb8aa3b, v80
	v_cndmask_b32_e32 v91, 0x7f800000, v93, vcc_lo
	v_cvt_f16_f32_e32 v93, v77
	v_add_f32_e32 v77, v83, v94
	v_cvt_f16_f32_e32 v94, v92
	v_cmp_ngt_f32_e32 vcc_lo, 0xc2ce8ed0, v97
	v_cvt_f16_f32_e32 v95, v91
	v_fma_f32 v107, 0x3fb8aa3b, v80, -v105
	v_add_f32_e32 v77, v92, v77
	v_mul_f32_e32 v92, 0x3fb8aa3b, v98
	v_rndne_f32_e32 v108, v105
	v_cvt_f16_f32_e32 v83, v83
	v_fmac_f32_e32 v107, 0x32a5705f, v80
	v_fmac_f32_e32 v77, v71, v91
	v_fma_f32 v96, 0x3fb8aa3b, v98, -v92
	v_rndne_f32_e32 v99, v92
	v_add_f32_e32 v71, v78, v116
	v_cvt_i32_f32_e32 v91, v115
	v_fmac_f32_e32 v96, 0x32a5705f, v98
	v_sub_f32_e32 v78, v92, v99
	v_exp_f32_e32 v71, v71
	v_mul_u32_u24_sdwa v92, v95, v60 dst_sel:DWORD dst_unused:UNUSED_PAD src0_sel:WORD_0 src1_sel:DWORD
	v_ldexp_f32 v91, v100, v91
	v_cvt_i32_f32_e32 v95, v117
	v_add_f32_e32 v78, v78, v96
	v_mul_f32_e32 v96, 0x3fb8aa3b, v84
	v_cvt_i32_f32_e32 v99, v99
	v_cndmask_b32_e32 v91, 0, v91, vcc_lo
	v_cmp_ngt_f32_e32 vcc_lo, 0xc2ce8ed0, v90
	v_exp_f32_e32 v78, v78
	v_ldexp_f32 v71, v71, v95
	v_fma_f32 v95, 0x3fb8aa3b, v84, -v96
	v_rndne_f32_e32 v100, v96
	v_pk_mul_f16 v66, v66, v92
	v_cndmask_b32_e32 v71, 0, v71, vcc_lo
	v_cmp_nlt_f32_e32 vcc_lo, 0x42b17218, v97
	v_fmac_f32_e32 v95, 0x32a5705f, v84
	v_sub_f32_e32 v96, v96, v100
	v_ldexp_f32 v78, v78, v99
	v_mul_f32_e32 v99, 0x3fb8aa3b, v70
	v_cndmask_b32_e32 v91, 0x7f800000, v91, vcc_lo
	v_cmp_nlt_f32_e32 vcc_lo, 0x42b17218, v90
	v_add_f32_e32 v90, v96, v95
	v_fma_f32 v95, 0x3fb8aa3b, v70, -v99
	v_rndne_f32_e32 v96, v99
	v_cndmask_b32_e32 v71, 0x7f800000, v71, vcc_lo
	v_cmp_ngt_f32_e32 vcc_lo, 0xc2ce8ed0, v98
	v_exp_f32_e32 v90, v90
	v_fmac_f32_e32 v95, 0x32a5705f, v70
	v_sub_f32_e32 v99, v99, v96
	v_add_f32_e32 v97, v91, v71
	v_cndmask_b32_e32 v78, 0, v78, vcc_lo
	v_cmp_nlt_f32_e32 vcc_lo, 0x42b17218, v98
	v_cvt_i32_f32_e32 v98, v100
	v_add_f32_e32 v95, v99, v95
	v_cvt_f16_f32_e32 v99, v71
	v_cvt_f16_f32_e32 v91, v91
	v_cndmask_b32_e32 v78, 0x7f800000, v78, vcc_lo
	v_ldexp_f32 v90, v90, v98
	v_exp_f32_e32 v95, v95
	v_cmp_ngt_f32_e32 vcc_lo, 0xc2ce8ed0, v84
	v_add_f32_e32 v71, v78, v97
	v_mul_f32_e32 v97, 0x3fb8aa3b, v89
	v_cvt_f16_f32_e32 v98, v78
	v_cvt_i32_f32_e32 v78, v96
	v_cndmask_b32_e32 v90, 0, v90, vcc_lo
	v_cmp_nlt_f32_e32 vcc_lo, 0x42b17218, v84
	v_fma_f32 v96, 0x3fb8aa3b, v89, -v97
	v_rndne_f32_e32 v100, v97
	v_ldexp_f32 v78, v95, v78
	v_cndmask_b32_e32 v84, 0x7f800000, v90, vcc_lo
	v_fmac_f32_e32 v96, 0x32a5705f, v89
	v_sub_f32_e32 v95, v97, v100
	v_fma_f32 v97, 0x3fb8aa3b, v88, -v101
	v_cmp_ngt_f32_e32 vcc_lo, 0xc2ce8ed0, v70
	v_add_f32_e32 v90, v95, v96
	v_fmac_f32_e32 v97, 0x32a5705f, v88
	v_sub_f32_e32 v95, v101, v102
	v_cndmask_b32_e32 v96, 0, v78, vcc_lo
	v_add_f32_e32 v78, v84, v71
	v_exp_f32_e32 v71, v90
	v_cmp_nlt_f32_e32 vcc_lo, 0x42b17218, v70
	v_add_f32_e32 v90, v95, v97
	v_mul_f32_e32 v70, 0x3fb8aa3b, v87
	v_sub_f32_e32 v97, v69, v3
	v_mul_f32_e32 v101, 0x3fb8aa3b, v86
	v_cndmask_b32_e32 v95, 0x7f800000, v96, vcc_lo
	v_cvt_f16_f32_e32 v96, v84
	v_cvt_i32_f32_e32 v84, v100
	v_exp_f32_e32 v90, v90
	v_fma_f32 v69, 0x3fb8aa3b, v87, -v70
	v_rndne_f32_e32 v100, v70
	v_cmp_ngt_f32_e32 vcc_lo, 0xc2ce8ed0, v89
	v_ldexp_f32 v71, v71, v84
	v_cvt_i32_f32_e32 v84, v102
	v_fmac_f32_e32 v69, 0x32a5705f, v87
	v_sub_f32_e32 v70, v70, v100
	v_fma_f32 v102, 0x3fb8aa3b, v86, -v101
	v_cndmask_b32_e32 v71, 0, v71, vcc_lo
	v_ldexp_f32 v84, v90, v84
	v_cmp_ngt_f32_e32 vcc_lo, 0xc2ce8ed0, v88
	v_rndne_f32_e32 v103, v101
	v_add_f32_e32 v69, v70, v69
	v_fmac_f32_e32 v102, 0x32a5705f, v86
	v_fmac_f32_e32 v78, v67, v95
	v_cndmask_b32_e32 v84, 0, v84, vcc_lo
	v_cmp_nlt_f32_e32 vcc_lo, 0x42b17218, v89
	v_sub_f32_e32 v70, v101, v103
	v_exp_f32_e32 v69, v69
	v_cndmask_b32_e32 v89, 0x7f800000, v71, vcc_lo
	v_cmp_nlt_f32_e32 vcc_lo, 0x42b17218, v88
	v_add_f32_e32 v70, v70, v102
	v_mul_f32_e32 v71, 0x3fb8aa3b, v97
	v_mul_f32_e32 v102, 0x3fb8aa3b, v82
	v_cvt_f16_f32_e32 v101, v89
	v_cndmask_b32_e32 v88, 0x7f800000, v84, vcc_lo
	v_cvt_i32_f32_e32 v84, v100
	v_exp_f32_e32 v70, v70
	v_fma_f32 v90, 0x3fb8aa3b, v97, -v71
	v_rndne_f32_e32 v100, v71
	v_cmp_ngt_f32_e32 vcc_lo, 0xc2ce8ed0, v87
	v_ldexp_f32 v69, v69, v84
	v_cvt_i32_f32_e32 v84, v103
	v_fmac_f32_e32 v90, 0x32a5705f, v97
	v_sub_f32_e32 v71, v71, v100
	v_cvt_i32_f32_e32 v100, v100
	v_cndmask_b32_e32 v69, 0, v69, vcc_lo
	v_cmp_nlt_f32_e32 vcc_lo, 0x42b17218, v87
	v_ldexp_f32 v70, v70, v84
	v_add_f32_e32 v71, v71, v90
	v_rndne_f32_e32 v90, v102
	v_cvt_f16_f32_e32 v84, v88
	v_cndmask_b32_e32 v87, 0x7f800000, v69, vcc_lo
	v_cmp_ngt_f32_e32 vcc_lo, 0xc2ce8ed0, v86
	v_exp_f32_e32 v71, v71
	v_cvt_f16_f32_e32 v103, v87
	v_cndmask_b32_e32 v69, 0, v70, vcc_lo
	v_fma_f32 v70, 0x3fb8aa3b, v82, -v102
	v_cmp_nlt_f32_e32 vcc_lo, 0x42b17218, v86
	v_sub_f32_e32 v86, v102, v90
	v_mul_f32_e32 v102, 0x3fb8aa3b, v81
	v_cvt_i32_f32_e32 v90, v90
	v_fmac_f32_e32 v70, 0x32a5705f, v82
	v_ldexp_f32 v100, v71, v100
	v_sub_f32_e32 v71, v79, v4
	v_rndne_f32_e32 v79, v102
	v_cndmask_b32_e32 v69, 0x7f800000, v69, vcc_lo
	v_add_f32_e32 v70, v86, v70
	v_fma_f32 v86, 0x3fb8aa3b, v81, -v102
	v_mul_f32_e32 v106, 0x3fb8aa3b, v71
	v_sub_f32_e32 v102, v102, v79
	v_cmp_ngt_f32_e32 vcc_lo, 0xc2ce8ed0, v82
	v_exp_f32_e32 v70, v70
	v_fmac_f32_e32 v86, 0x32a5705f, v81
	v_fma_f32 v109, 0x3fb8aa3b, v71, -v106
	v_rndne_f32_e32 v110, v106
	v_cvt_i32_f32_e32 v79, v79
	v_cvt_f16_f32_e32 v104, v69
	v_add_f32_e32 v86, v102, v86
	v_sub_f32_e32 v102, v105, v108
	v_fmac_f32_e32 v109, 0x32a5705f, v71
	v_sub_f32_e32 v105, v106, v110
	v_sub_f32_e32 v106, v68, v4
	v_ldexp_f32 v68, v70, v90
	v_exp_f32_e32 v70, v86
	v_add_f32_e32 v86, v102, v107
	v_add_f32_e32 v90, v105, v109
	v_cvt_i32_f32_e32 v108, v108
	v_cndmask_b32_e32 v68, 0, v68, vcc_lo
	v_cmp_ngt_f32_e32 vcc_lo, 0xc2ce8ed0, v81
	v_exp_f32_e32 v86, v86
	v_exp_f32_e32 v90, v90
	v_cvt_i32_f32_e32 v109, v110
	v_mul_f32_e32 v102, 0x3fb8aa3b, v106
	v_ldexp_f32 v70, v70, v79
	v_fma_f32 v105, 0x3fb8aa3b, v106, -v102
	v_cndmask_b32_e32 v70, 0, v70, vcc_lo
	v_ldexp_f32 v86, v86, v108
	v_cmp_ngt_f32_e32 vcc_lo, 0xc2ce8ed0, v80
	v_ldexp_f32 v90, v90, v109
	v_rndne_f32_e32 v107, v102
	v_fmac_f32_e32 v105, 0x32a5705f, v106
	v_add_nc_u32_e32 v108, v54, v44
	v_cndmask_b32_e32 v86, 0, v86, vcc_lo
	v_cmp_ngt_f32_e32 vcc_lo, 0xc2ce8ed0, v71
	v_sub_f32_e32 v79, v102, v107
	v_cndmask_b32_e32 v90, 0, v90, vcc_lo
	v_cmp_nlt_f32_e32 vcc_lo, 0x42b17218, v82
	v_add_f32_e32 v79, v79, v105
	v_cndmask_b32_e32 v102, 0x7f800000, v68, vcc_lo
	v_cmp_nlt_f32_e32 vcc_lo, 0x42b17218, v81
	v_exp_f32_e32 v79, v79
	v_cndmask_b32_e32 v105, 0x7f800000, v70, vcc_lo
	v_cmp_nlt_f32_e32 vcc_lo, 0x42b17218, v80
	v_cvt_i32_f32_e32 v70, v107
	v_cvt_f16_f32_e32 v80, v105
	v_cndmask_b32_e32 v86, 0x7f800000, v86, vcc_lo
	v_cmp_nlt_f32_e32 vcc_lo, 0x42b17218, v71
	v_cvt_f16_f32_e32 v71, v102
	v_ldexp_f32 v107, v79, v70
	v_pack_b32_f16 v70, v93, v91
	v_cvt_f16_f32_e32 v81, v86
	v_cndmask_b32_e32 v68, 0x7f800000, v90, vcc_lo
	v_cmp_ngt_f32_e32 vcc_lo, 0xc2ce8ed0, v97
	v_pack_b32_f16 v71, v101, v71
	v_pack_b32_f16 v80, v84, v80
	;; [unrolled: 1-line block ×3, first 2 shown]
	v_cvt_f16_f32_e32 v90, v68
	v_cndmask_b32_e32 v85, 0, v100, vcc_lo
	v_cmp_ngt_f32_e32 vcc_lo, 0xc2ce8ed0, v106
	v_pack_b32_f16 v82, v103, v81
	v_pack_b32_f16 v81, v83, v98
	;; [unrolled: 1-line block ×4, first 2 shown]
	v_cndmask_b32_e32 v90, 0, v107, vcc_lo
	ds_write2_b64 v108, v[70:71], v[79:80] offset1:32
	ds_write2_b64 v108, v[81:82], v[83:84] offset0:64 offset1:96
	s_waitcnt vmcnt(3)
	ds_write_b128 v53, v[5:8]
	s_waitcnt vmcnt(2)
	ds_write_b128 v55, v[9:12]
	;; [unrolled: 2-line block ×4, first 2 shown]
	s_waitcnt lgkmcnt(0)
	s_barrier
	buffer_gl0_inv
	ds_read_b128 v[5:8], v54
	v_cmp_nlt_f32_e32 vcc_lo, 0x42b17218, v97
	ds_read2_b64 v[9:12], v44 offset1:32
	v_cvt_f16_f32_e32 v13, v95
	v_add_f32_e32 v16, v89, v88
	v_add_f32_e32 v17, v102, v105
	v_cndmask_b32_e32 v71, 0x7f800000, v85, vcc_lo
	v_cmp_nlt_f32_e32 vcc_lo, 0x42b17218, v106
	v_mul_u32_u24_sdwa v67, v13, v60 dst_sel:DWORD dst_unused:UNUSED_PAD src0_sel:WORD_0 src1_sel:DWORD
	v_add_f32_e32 v80, v87, v16
	v_add_f32_e32 v79, v86, v17
	v_cvt_f16_f32_e32 v14, v71
	v_cndmask_b32_e32 v70, 0x7f800000, v90, vcc_lo
	v_pk_mul_f16 v64, v64, v67
	v_add_co_u32 v170, vcc_lo, s18, v35
	v_mul_u32_u24_sdwa v85, v14, v60 dst_sel:DWORD dst_unused:UNUSED_PAD src0_sel:WORD_0 src1_sel:DWORD
	v_cvt_f16_f32_e32 v15, v70
	v_add_co_ci_u32_e64 v171, null, s19, v36, vcc_lo
	v_add_co_u32 v172, vcc_lo, s18, v37
	v_mul_u32_u24_sdwa v18, v15, v60 dst_sel:DWORD dst_unused:UNUSED_PAD src0_sel:WORD_0 src1_sel:DWORD
	v_pk_mul_f16 v86, v24, v85
	ds_read_b128 v[13:16], v54 offset:16
	s_waitcnt lgkmcnt(2)
	v_mul_u32_u24_sdwa v24, v5, v60 dst_sel:DWORD dst_unused:UNUSED_PAD src0_sel:WORD_0 src1_sel:DWORD
	v_mul_u32_u24_sdwa v5, v5, v60 dst_sel:DWORD dst_unused:UNUSED_PAD src0_sel:WORD_1 src1_sel:DWORD
	v_mul_u32_u24_sdwa v87, v6, v60 dst_sel:DWORD dst_unused:UNUSED_PAD src0_sel:WORD_0 src1_sel:DWORD
	v_pk_mul_f16 v22, v22, v18
	v_pk_mul_f16 v88, v21, v18
	v_mul_u32_u24_sdwa v6, v6, v60 dst_sel:DWORD dst_unused:UNUSED_PAD src0_sel:WORD_1 src1_sel:DWORD
	s_waitcnt lgkmcnt(1)
	v_pk_mul_f16 v21, v9, v24
	v_pk_mul_f16 v89, v9, v5
	v_pk_mul_f16 v90, v9, v87
	ds_read_b128 v[17:20], v54 offset:32
	ds_read_b128 v[81:84], v54 offset:48
	v_pk_fma_f16 v9, v9, v6, v22
	v_pk_fma_f16 v65, v65, v92, v21
	;; [unrolled: 1-line block ×5, first 2 shown]
	ds_read2_b64 v[21:24], v44 offset0:64 offset1:96
	v_pk_fma_f16 v5, v10, v5, v64
	v_pk_fma_f16 v64, v10, v87, v86
	v_mul_u32_u24_sdwa v85, v7, v60 dst_sel:DWORD dst_unused:UNUSED_PAD src0_sel:WORD_0 src1_sel:DWORD
	v_mul_u32_u24_sdwa v7, v7, v60 dst_sel:DWORD dst_unused:UNUSED_PAD src0_sel:WORD_1 src1_sel:DWORD
	v_mul_u32_u24_sdwa v86, v8, v60 dst_sel:DWORD dst_unused:UNUSED_PAD src0_sel:WORD_0 src1_sel:DWORD
	v_mul_u32_u24_sdwa v8, v8, v60 dst_sel:DWORD dst_unused:UNUSED_PAD src0_sel:WORD_1 src1_sel:DWORD
	v_pk_fma_f16 v6, v10, v6, v88
	v_pk_fma_f16 v10, v11, v85, v65
	;; [unrolled: 1-line block ×7, first 2 shown]
	s_waitcnt lgkmcnt(3)
	v_mul_u32_u24_sdwa v5, v13, v60 dst_sel:DWORD dst_unused:UNUSED_PAD src0_sel:WORD_0 src1_sel:DWORD
	v_pk_fma_f16 v64, v12, v86, v64
	v_pk_fma_f16 v12, v12, v8, v6
	v_mul_u32_u24_sdwa v13, v13, v60 dst_sel:DWORD dst_unused:UNUSED_PAD src0_sel:WORD_1 src1_sel:DWORD
	v_mul_u32_u24_sdwa v67, v14, v60 dst_sel:DWORD dst_unused:UNUSED_PAD src0_sel:WORD_0 src1_sel:DWORD
	v_mul_u32_u24_sdwa v14, v14, v60 dst_sel:DWORD dst_unused:UNUSED_PAD src0_sel:WORD_1 src1_sel:DWORD
	s_waitcnt lgkmcnt(0)
	v_pk_fma_f16 v10, v21, v5, v10
	v_pk_fma_f16 v11, v22, v5, v11
	ds_read2_b64 v[5:8], v44 offset0:128 offset1:160
	v_pk_fma_f16 v63, v21, v13, v63
	v_pk_fma_f16 v65, v21, v67, v65
	;; [unrolled: 1-line block ×5, first 2 shown]
	v_mul_u32_u24_sdwa v64, v15, v60 dst_sel:DWORD dst_unused:UNUSED_PAD src0_sel:WORD_0 src1_sel:DWORD
	v_mul_u32_u24_sdwa v15, v15, v60 dst_sel:DWORD dst_unused:UNUSED_PAD src0_sel:WORD_1 src1_sel:DWORD
	v_mul_u32_u24_sdwa v66, v16, v60 dst_sel:DWORD dst_unused:UNUSED_PAD src0_sel:WORD_0 src1_sel:DWORD
	v_mul_u32_u24_sdwa v16, v16, v60 dst_sel:DWORD dst_unused:UNUSED_PAD src0_sel:WORD_1 src1_sel:DWORD
	v_pk_fma_f16 v12, v22, v14, v12
	v_pk_fma_f16 v10, v23, v64, v10
	;; [unrolled: 1-line block ×8, first 2 shown]
	v_mul_u32_u24_sdwa v21, v17, v60 dst_sel:DWORD dst_unused:UNUSED_PAD src0_sel:WORD_0 src1_sel:DWORD
	v_mul_u32_u24_sdwa v17, v17, v60 dst_sel:DWORD dst_unused:UNUSED_PAD src0_sel:WORD_1 src1_sel:DWORD
	v_mul_u32_u24_sdwa v23, v18, v60 dst_sel:DWORD dst_unused:UNUSED_PAD src0_sel:WORD_0 src1_sel:DWORD
	v_mul_u32_u24_sdwa v18, v18, v60 dst_sel:DWORD dst_unused:UNUSED_PAD src0_sel:WORD_1 src1_sel:DWORD
	v_pk_fma_f16 v16, v24, v16, v12
	s_waitcnt lgkmcnt(0)
	v_pk_fma_f16 v24, v5, v21, v10
	v_pk_fma_f16 v14, v5, v17, v14
	;; [unrolled: 1-line block ×5, first 2 shown]
	ds_read2_b64 v[9:12], v44 offset0:192 offset1:224
	v_pk_fma_f16 v13, v6, v17, v13
	v_pk_fma_f16 v15, v6, v23, v15
	v_mul_u32_u24_sdwa v17, v19, v60 dst_sel:DWORD dst_unused:UNUSED_PAD src0_sel:WORD_0 src1_sel:DWORD
	v_mul_u32_u24_sdwa v19, v19, v60 dst_sel:DWORD dst_unused:UNUSED_PAD src0_sel:WORD_1 src1_sel:DWORD
	v_mul_u32_u24_sdwa v23, v20, v60 dst_sel:DWORD dst_unused:UNUSED_PAD src0_sel:WORD_0 src1_sel:DWORD
	v_mul_u32_u24_sdwa v20, v20, v60 dst_sel:DWORD dst_unused:UNUSED_PAD src0_sel:WORD_1 src1_sel:DWORD
	v_pk_fma_f16 v6, v6, v18, v16
	v_pk_fma_f16 v16, v7, v17, v24
	;; [unrolled: 1-line block ×8, first 2 shown]
	v_mul_u32_u24_sdwa v15, v81, v60 dst_sel:DWORD dst_unused:UNUSED_PAD src0_sel:WORD_0 src1_sel:DWORD
	v_mul_u32_u24_sdwa v21, v81, v60 dst_sel:DWORD dst_unused:UNUSED_PAD src0_sel:WORD_1 src1_sel:DWORD
	v_pk_fma_f16 v20, v8, v20, v6
	v_add_nc_u32_e32 v63, 0x800, v44
	ds_read_b128 v[5:8], v54 offset:64
	s_waitcnt lgkmcnt(1)
	v_pk_fma_f16 v64, v9, v15, v16
	v_pk_fma_f16 v65, v9, v21, v14
	;; [unrolled: 1-line block ×4, first 2 shown]
	ds_read2_b64 v[13:16], v63 offset1:32
	v_mul_u32_u24_sdwa v23, v82, v60 dst_sel:DWORD dst_unused:UNUSED_PAD src0_sel:WORD_0 src1_sel:DWORD
	v_mul_u32_u24_sdwa v24, v82, v60 dst_sel:DWORD dst_unused:UNUSED_PAD src0_sel:WORD_1 src1_sel:DWORD
	v_mul_u32_u24_sdwa v66, v84, v60 dst_sel:DWORD dst_unused:UNUSED_PAD src0_sel:WORD_0 src1_sel:DWORD
	v_mul_u32_u24_sdwa v67, v84, v60 dst_sel:DWORD dst_unused:UNUSED_PAD src0_sel:WORD_1 src1_sel:DWORD
	v_add_co_ci_u32_e64 v173, null, s19, v38, vcc_lo
	v_pk_fma_f16 v18, v9, v23, v18
	v_pk_fma_f16 v9, v9, v24, v22
	;; [unrolled: 1-line block ×3, first 2 shown]
	v_mul_u32_u24_sdwa v22, v83, v60 dst_sel:DWORD dst_unused:UNUSED_PAD src0_sel:WORD_0 src1_sel:DWORD
	v_mul_u32_u24_sdwa v23, v83, v60 dst_sel:DWORD dst_unused:UNUSED_PAD src0_sel:WORD_1 src1_sel:DWORD
	v_pk_fma_f16 v10, v10, v24, v20
	v_pk_fma_f16 v9, v11, v67, v9
	v_add_co_u32 v178, vcc_lo, v170, v59
	v_pk_fma_f16 v24, v11, v22, v64
	v_pk_fma_f16 v64, v11, v23, v65
	;; [unrolled: 1-line block ×6, first 2 shown]
	ds_read_b128 v[17:20], v54 offset:80
	s_waitcnt lgkmcnt(2)
	v_mul_u32_u24_sdwa v23, v5, v60 dst_sel:DWORD dst_unused:UNUSED_PAD src0_sel:WORD_0 src1_sel:DWORD
	v_mul_u32_u24_sdwa v5, v5, v60 dst_sel:DWORD dst_unused:UNUSED_PAD src0_sel:WORD_1 src1_sel:DWORD
	v_mul_u32_u24_sdwa v66, v6, v60 dst_sel:DWORD dst_unused:UNUSED_PAD src0_sel:WORD_0 src1_sel:DWORD
	v_mul_u32_u24_sdwa v6, v6, v60 dst_sel:DWORD dst_unused:UNUSED_PAD src0_sel:WORD_1 src1_sel:DWORD
	v_pk_fma_f16 v67, v12, v67, v10
	s_waitcnt lgkmcnt(1)
	v_pk_fma_f16 v24, v13, v23, v24
	v_pk_fma_f16 v64, v13, v5, v64
	;; [unrolled: 1-line block ×5, first 2 shown]
	ds_read2_b64 v[9:12], v63 offset0:64 offset1:96
	v_pk_fma_f16 v5, v14, v5, v21
	v_pk_fma_f16 v21, v14, v66, v22
	v_mul_u32_u24_sdwa v22, v7, v60 dst_sel:DWORD dst_unused:UNUSED_PAD src0_sel:WORD_0 src1_sel:DWORD
	v_mul_u32_u24_sdwa v7, v7, v60 dst_sel:DWORD dst_unused:UNUSED_PAD src0_sel:WORD_1 src1_sel:DWORD
	v_mul_u32_u24_sdwa v66, v8, v60 dst_sel:DWORD dst_unused:UNUSED_PAD src0_sel:WORD_0 src1_sel:DWORD
	v_mul_u32_u24_sdwa v8, v8, v60 dst_sel:DWORD dst_unused:UNUSED_PAD src0_sel:WORD_1 src1_sel:DWORD
	v_pk_fma_f16 v6, v14, v6, v67
	v_pk_fma_f16 v14, v15, v22, v24
	;; [unrolled: 1-line block ×8, first 2 shown]
	s_waitcnt lgkmcnt(1)
	v_mul_u32_u24_sdwa v23, v17, v60 dst_sel:DWORD dst_unused:UNUSED_PAD src0_sel:WORD_0 src1_sel:DWORD
	v_mul_u32_u24_sdwa v17, v17, v60 dst_sel:DWORD dst_unused:UNUSED_PAD src0_sel:WORD_1 src1_sel:DWORD
	v_pk_fma_f16 v65, v16, v8, v6
	v_mul_u32_u24_sdwa v66, v18, v60 dst_sel:DWORD dst_unused:UNUSED_PAD src0_sel:WORD_0 src1_sel:DWORD
	v_mul_u32_u24_sdwa v18, v18, v60 dst_sel:DWORD dst_unused:UNUSED_PAD src0_sel:WORD_1 src1_sel:DWORD
	ds_read_b128 v[5:8], v54 offset:96
	s_waitcnt lgkmcnt(1)
	v_pk_fma_f16 v67, v9, v23, v14
	v_pk_fma_f16 v24, v9, v17, v24
	;; [unrolled: 1-line block ×5, first 2 shown]
	ds_read2_b64 v[13:16], v63 offset0:128 offset1:160
	v_pk_fma_f16 v17, v10, v17, v22
	v_pk_fma_f16 v21, v10, v66, v21
	v_mul_u32_u24_sdwa v22, v19, v60 dst_sel:DWORD dst_unused:UNUSED_PAD src0_sel:WORD_0 src1_sel:DWORD
	v_mul_u32_u24_sdwa v19, v19, v60 dst_sel:DWORD dst_unused:UNUSED_PAD src0_sel:WORD_1 src1_sel:DWORD
	v_mul_u32_u24_sdwa v66, v20, v60 dst_sel:DWORD dst_unused:UNUSED_PAD src0_sel:WORD_0 src1_sel:DWORD
	v_mul_u32_u24_sdwa v81, v20, v60 dst_sel:DWORD dst_unused:UNUSED_PAD src0_sel:WORD_1 src1_sel:DWORD
	v_pk_fma_f16 v10, v10, v18, v65
	v_pk_fma_f16 v65, v11, v22, v67
	;; [unrolled: 1-line block ×8, first 2 shown]
	ds_read_b128 v[17:20], v54 offset:112
	s_waitcnt lgkmcnt(2)
	v_mul_u32_u24_sdwa v23, v5, v60 dst_sel:DWORD dst_unused:UNUSED_PAD src0_sel:WORD_0 src1_sel:DWORD
	v_mul_u32_u24_sdwa v5, v5, v60 dst_sel:DWORD dst_unused:UNUSED_PAD src0_sel:WORD_1 src1_sel:DWORD
	v_mul_u32_u24_sdwa v66, v6, v60 dst_sel:DWORD dst_unused:UNUSED_PAD src0_sel:WORD_0 src1_sel:DWORD
	v_mul_u32_u24_sdwa v6, v6, v60 dst_sel:DWORD dst_unused:UNUSED_PAD src0_sel:WORD_1 src1_sel:DWORD
	v_pk_fma_f16 v67, v12, v81, v10
	s_waitcnt lgkmcnt(1)
	v_pk_fma_f16 v65, v13, v23, v65
	v_pk_fma_f16 v24, v13, v5, v24
	v_pk_fma_f16 v64, v13, v66, v64
	v_pk_fma_f16 v13, v13, v6, v9
	v_pk_fma_f16 v23, v14, v23, v11
	ds_read2_b64 v[9:12], v63 offset0:192 offset1:224
	v_pk_fma_f16 v5, v14, v5, v22
	v_pk_fma_f16 v21, v14, v66, v21
	v_mul_u32_u24_sdwa v22, v7, v60 dst_sel:DWORD dst_unused:UNUSED_PAD src0_sel:WORD_0 src1_sel:DWORD
	v_mul_u32_u24_sdwa v7, v7, v60 dst_sel:DWORD dst_unused:UNUSED_PAD src0_sel:WORD_1 src1_sel:DWORD
	v_mul_u32_u24_sdwa v66, v8, v60 dst_sel:DWORD dst_unused:UNUSED_PAD src0_sel:WORD_0 src1_sel:DWORD
	v_mul_u32_u24_sdwa v8, v8, v60 dst_sel:DWORD dst_unused:UNUSED_PAD src0_sel:WORD_1 src1_sel:DWORD
	v_pk_fma_f16 v6, v14, v6, v67
	v_pk_fma_f16 v14, v15, v22, v65
	;; [unrolled: 1-line block ×8, first 2 shown]
	s_waitcnt lgkmcnt(1)
	v_mul_u32_u24_sdwa v23, v17, v60 dst_sel:DWORD dst_unused:UNUSED_PAD src0_sel:WORD_0 src1_sel:DWORD
	v_mul_u32_u24_sdwa v17, v17, v60 dst_sel:DWORD dst_unused:UNUSED_PAD src0_sel:WORD_1 src1_sel:DWORD
	v_pk_fma_f16 v66, v16, v8, v6
	v_mul_u32_u24_sdwa v67, v18, v60 dst_sel:DWORD dst_unused:UNUSED_PAD src0_sel:WORD_0 src1_sel:DWORD
	v_mul_u32_u24_sdwa v18, v18, v60 dst_sel:DWORD dst_unused:UNUSED_PAD src0_sel:WORD_1 src1_sel:DWORD
	v_add_nc_u32_e32 v64, 0x1000, v44
	ds_read_b128 v[5:8], v54 offset:128
	s_waitcnt lgkmcnt(1)
	v_pk_fma_f16 v81, v9, v23, v14
	v_pk_fma_f16 v24, v9, v17, v24
	;; [unrolled: 1-line block ×5, first 2 shown]
	ds_read2_b64 v[13:16], v64 offset1:32
	v_pk_fma_f16 v17, v10, v17, v22
	v_pk_fma_f16 v21, v10, v67, v21
	v_mul_u32_u24_sdwa v22, v19, v60 dst_sel:DWORD dst_unused:UNUSED_PAD src0_sel:WORD_0 src1_sel:DWORD
	v_mul_u32_u24_sdwa v19, v19, v60 dst_sel:DWORD dst_unused:UNUSED_PAD src0_sel:WORD_1 src1_sel:DWORD
	v_mul_u32_u24_sdwa v67, v20, v60 dst_sel:DWORD dst_unused:UNUSED_PAD src0_sel:WORD_0 src1_sel:DWORD
	v_mul_u32_u24_sdwa v82, v20, v60 dst_sel:DWORD dst_unused:UNUSED_PAD src0_sel:WORD_1 src1_sel:DWORD
	v_pk_fma_f16 v10, v10, v18, v66
	v_pk_fma_f16 v66, v11, v22, v81
	;; [unrolled: 1-line block ×8, first 2 shown]
	ds_read_b128 v[17:20], v54 offset:144
	s_waitcnt lgkmcnt(2)
	v_mul_u32_u24_sdwa v23, v5, v60 dst_sel:DWORD dst_unused:UNUSED_PAD src0_sel:WORD_0 src1_sel:DWORD
	v_mul_u32_u24_sdwa v5, v5, v60 dst_sel:DWORD dst_unused:UNUSED_PAD src0_sel:WORD_1 src1_sel:DWORD
	v_mul_u32_u24_sdwa v67, v6, v60 dst_sel:DWORD dst_unused:UNUSED_PAD src0_sel:WORD_0 src1_sel:DWORD
	v_mul_u32_u24_sdwa v6, v6, v60 dst_sel:DWORD dst_unused:UNUSED_PAD src0_sel:WORD_1 src1_sel:DWORD
	v_pk_fma_f16 v81, v12, v82, v10
	s_waitcnt lgkmcnt(1)
	v_pk_fma_f16 v66, v13, v23, v66
	v_pk_fma_f16 v24, v13, v5, v24
	;; [unrolled: 1-line block ×5, first 2 shown]
	ds_read2_b64 v[9:12], v64 offset0:64 offset1:96
	v_pk_fma_f16 v5, v14, v5, v22
	v_pk_fma_f16 v21, v14, v67, v21
	v_mul_u32_u24_sdwa v22, v7, v60 dst_sel:DWORD dst_unused:UNUSED_PAD src0_sel:WORD_0 src1_sel:DWORD
	v_mul_u32_u24_sdwa v7, v7, v60 dst_sel:DWORD dst_unused:UNUSED_PAD src0_sel:WORD_1 src1_sel:DWORD
	v_mul_u32_u24_sdwa v67, v8, v60 dst_sel:DWORD dst_unused:UNUSED_PAD src0_sel:WORD_0 src1_sel:DWORD
	v_mul_u32_u24_sdwa v8, v8, v60 dst_sel:DWORD dst_unused:UNUSED_PAD src0_sel:WORD_1 src1_sel:DWORD
	v_pk_fma_f16 v6, v14, v6, v81
	v_pk_fma_f16 v14, v15, v22, v66
	;; [unrolled: 1-line block ×8, first 2 shown]
	s_waitcnt lgkmcnt(1)
	v_mul_u32_u24_sdwa v23, v17, v60 dst_sel:DWORD dst_unused:UNUSED_PAD src0_sel:WORD_0 src1_sel:DWORD
	v_mul_u32_u24_sdwa v17, v17, v60 dst_sel:DWORD dst_unused:UNUSED_PAD src0_sel:WORD_1 src1_sel:DWORD
	v_pk_fma_f16 v66, v16, v8, v6
	v_mul_u32_u24_sdwa v67, v18, v60 dst_sel:DWORD dst_unused:UNUSED_PAD src0_sel:WORD_0 src1_sel:DWORD
	v_mul_u32_u24_sdwa v18, v18, v60 dst_sel:DWORD dst_unused:UNUSED_PAD src0_sel:WORD_1 src1_sel:DWORD
	ds_read_b128 v[5:8], v54 offset:160
	s_waitcnt lgkmcnt(1)
	v_pk_fma_f16 v81, v9, v23, v14
	v_pk_fma_f16 v24, v9, v17, v24
	v_pk_fma_f16 v65, v9, v67, v65
	v_pk_fma_f16 v9, v9, v18, v13
	v_pk_fma_f16 v23, v10, v23, v15
	ds_read2_b64 v[13:16], v64 offset0:128 offset1:160
	v_pk_fma_f16 v17, v10, v17, v22
	v_pk_fma_f16 v21, v10, v67, v21
	v_mul_u32_u24_sdwa v22, v19, v60 dst_sel:DWORD dst_unused:UNUSED_PAD src0_sel:WORD_0 src1_sel:DWORD
	v_mul_u32_u24_sdwa v19, v19, v60 dst_sel:DWORD dst_unused:UNUSED_PAD src0_sel:WORD_1 src1_sel:DWORD
	v_mul_u32_u24_sdwa v67, v20, v60 dst_sel:DWORD dst_unused:UNUSED_PAD src0_sel:WORD_0 src1_sel:DWORD
	v_mul_u32_u24_sdwa v82, v20, v60 dst_sel:DWORD dst_unused:UNUSED_PAD src0_sel:WORD_1 src1_sel:DWORD
	v_pk_fma_f16 v10, v10, v18, v66
	v_pk_fma_f16 v66, v11, v22, v81
	v_pk_fma_f16 v24, v11, v19, v24
	v_pk_fma_f16 v65, v11, v67, v65
	v_pk_fma_f16 v9, v11, v82, v9
	v_pk_fma_f16 v11, v12, v22, v23
	v_pk_fma_f16 v22, v12, v19, v17
	v_pk_fma_f16 v21, v12, v67, v21
	ds_read_b128 v[17:20], v54 offset:176
	s_waitcnt lgkmcnt(2)
	v_mul_u32_u24_sdwa v23, v5, v60 dst_sel:DWORD dst_unused:UNUSED_PAD src0_sel:WORD_0 src1_sel:DWORD
	v_mul_u32_u24_sdwa v5, v5, v60 dst_sel:DWORD dst_unused:UNUSED_PAD src0_sel:WORD_1 src1_sel:DWORD
	v_mul_u32_u24_sdwa v67, v6, v60 dst_sel:DWORD dst_unused:UNUSED_PAD src0_sel:WORD_0 src1_sel:DWORD
	v_mul_u32_u24_sdwa v6, v6, v60 dst_sel:DWORD dst_unused:UNUSED_PAD src0_sel:WORD_1 src1_sel:DWORD
	v_pk_fma_f16 v81, v12, v82, v10
	s_waitcnt lgkmcnt(1)
	v_pk_fma_f16 v66, v13, v23, v66
	v_pk_fma_f16 v24, v13, v5, v24
	;; [unrolled: 1-line block ×5, first 2 shown]
	ds_read2_b64 v[9:12], v64 offset0:192 offset1:224
	v_pk_fma_f16 v5, v14, v5, v22
	v_pk_fma_f16 v21, v14, v67, v21
	v_mul_u32_u24_sdwa v22, v7, v60 dst_sel:DWORD dst_unused:UNUSED_PAD src0_sel:WORD_0 src1_sel:DWORD
	v_mul_u32_u24_sdwa v7, v7, v60 dst_sel:DWORD dst_unused:UNUSED_PAD src0_sel:WORD_1 src1_sel:DWORD
	v_mul_u32_u24_sdwa v67, v8, v60 dst_sel:DWORD dst_unused:UNUSED_PAD src0_sel:WORD_0 src1_sel:DWORD
	v_mul_u32_u24_sdwa v8, v8, v60 dst_sel:DWORD dst_unused:UNUSED_PAD src0_sel:WORD_1 src1_sel:DWORD
	v_pk_fma_f16 v6, v14, v6, v81
	v_pk_fma_f16 v14, v15, v22, v66
	;; [unrolled: 1-line block ×8, first 2 shown]
	s_waitcnt lgkmcnt(1)
	v_mul_u32_u24_sdwa v23, v17, v60 dst_sel:DWORD dst_unused:UNUSED_PAD src0_sel:WORD_0 src1_sel:DWORD
	v_mul_u32_u24_sdwa v17, v17, v60 dst_sel:DWORD dst_unused:UNUSED_PAD src0_sel:WORD_1 src1_sel:DWORD
	v_pk_fma_f16 v67, v16, v8, v6
	v_mul_u32_u24_sdwa v81, v18, v60 dst_sel:DWORD dst_unused:UNUSED_PAD src0_sel:WORD_0 src1_sel:DWORD
	v_mul_u32_u24_sdwa v18, v18, v60 dst_sel:DWORD dst_unused:UNUSED_PAD src0_sel:WORD_1 src1_sel:DWORD
	v_add_nc_u32_e32 v65, 0x1800, v44
	ds_read_b128 v[5:8], v54 offset:192
	s_waitcnt lgkmcnt(1)
	v_pk_fma_f16 v82, v9, v23, v14
	v_pk_fma_f16 v24, v9, v17, v24
	;; [unrolled: 1-line block ×5, first 2 shown]
	ds_read2_b64 v[13:16], v65 offset1:32
	v_pk_fma_f16 v17, v10, v17, v22
	v_pk_fma_f16 v21, v10, v81, v21
	v_mul_u32_u24_sdwa v22, v19, v60 dst_sel:DWORD dst_unused:UNUSED_PAD src0_sel:WORD_0 src1_sel:DWORD
	v_mul_u32_u24_sdwa v19, v19, v60 dst_sel:DWORD dst_unused:UNUSED_PAD src0_sel:WORD_1 src1_sel:DWORD
	v_mul_u32_u24_sdwa v81, v20, v60 dst_sel:DWORD dst_unused:UNUSED_PAD src0_sel:WORD_0 src1_sel:DWORD
	v_mul_u32_u24_sdwa v83, v20, v60 dst_sel:DWORD dst_unused:UNUSED_PAD src0_sel:WORD_1 src1_sel:DWORD
	v_pk_fma_f16 v10, v10, v18, v67
	v_pk_fma_f16 v67, v11, v22, v82
	;; [unrolled: 1-line block ×8, first 2 shown]
	ds_read_b128 v[17:20], v54 offset:208
	s_waitcnt lgkmcnt(2)
	v_mul_u32_u24_sdwa v23, v5, v60 dst_sel:DWORD dst_unused:UNUSED_PAD src0_sel:WORD_0 src1_sel:DWORD
	v_mul_u32_u24_sdwa v5, v5, v60 dst_sel:DWORD dst_unused:UNUSED_PAD src0_sel:WORD_1 src1_sel:DWORD
	v_mul_u32_u24_sdwa v81, v6, v60 dst_sel:DWORD dst_unused:UNUSED_PAD src0_sel:WORD_0 src1_sel:DWORD
	v_mul_u32_u24_sdwa v6, v6, v60 dst_sel:DWORD dst_unused:UNUSED_PAD src0_sel:WORD_1 src1_sel:DWORD
	v_pk_fma_f16 v82, v12, v83, v10
	s_waitcnt lgkmcnt(1)
	v_pk_fma_f16 v67, v13, v23, v67
	v_pk_fma_f16 v24, v13, v5, v24
	;; [unrolled: 1-line block ×5, first 2 shown]
	ds_read2_b64 v[9:12], v65 offset0:64 offset1:96
	v_pk_fma_f16 v5, v14, v5, v22
	v_pk_fma_f16 v21, v14, v81, v21
	v_mul_u32_u24_sdwa v22, v7, v60 dst_sel:DWORD dst_unused:UNUSED_PAD src0_sel:WORD_0 src1_sel:DWORD
	v_mul_u32_u24_sdwa v7, v7, v60 dst_sel:DWORD dst_unused:UNUSED_PAD src0_sel:WORD_1 src1_sel:DWORD
	v_mul_u32_u24_sdwa v81, v8, v60 dst_sel:DWORD dst_unused:UNUSED_PAD src0_sel:WORD_0 src1_sel:DWORD
	v_mul_u32_u24_sdwa v8, v8, v60 dst_sel:DWORD dst_unused:UNUSED_PAD src0_sel:WORD_1 src1_sel:DWORD
	v_pk_fma_f16 v6, v14, v6, v82
	v_pk_fma_f16 v14, v15, v22, v67
	;; [unrolled: 1-line block ×8, first 2 shown]
	s_waitcnt lgkmcnt(1)
	v_mul_u32_u24_sdwa v23, v17, v60 dst_sel:DWORD dst_unused:UNUSED_PAD src0_sel:WORD_0 src1_sel:DWORD
	v_mul_u32_u24_sdwa v17, v17, v60 dst_sel:DWORD dst_unused:UNUSED_PAD src0_sel:WORD_1 src1_sel:DWORD
	v_pk_fma_f16 v67, v16, v8, v6
	v_mul_u32_u24_sdwa v81, v18, v60 dst_sel:DWORD dst_unused:UNUSED_PAD src0_sel:WORD_0 src1_sel:DWORD
	v_mul_u32_u24_sdwa v18, v18, v60 dst_sel:DWORD dst_unused:UNUSED_PAD src0_sel:WORD_1 src1_sel:DWORD
	ds_read_b128 v[5:8], v54 offset:224
	s_waitcnt lgkmcnt(1)
	v_pk_fma_f16 v82, v9, v23, v14
	v_pk_fma_f16 v24, v9, v17, v24
	;; [unrolled: 1-line block ×5, first 2 shown]
	ds_read2_b64 v[13:16], v65 offset0:128 offset1:160
	v_pk_fma_f16 v17, v10, v17, v22
	v_pk_fma_f16 v21, v10, v81, v21
	v_mul_u32_u24_sdwa v22, v19, v60 dst_sel:DWORD dst_unused:UNUSED_PAD src0_sel:WORD_0 src1_sel:DWORD
	v_mul_u32_u24_sdwa v19, v19, v60 dst_sel:DWORD dst_unused:UNUSED_PAD src0_sel:WORD_1 src1_sel:DWORD
	v_mul_u32_u24_sdwa v81, v20, v60 dst_sel:DWORD dst_unused:UNUSED_PAD src0_sel:WORD_0 src1_sel:DWORD
	v_mul_u32_u24_sdwa v83, v20, v60 dst_sel:DWORD dst_unused:UNUSED_PAD src0_sel:WORD_1 src1_sel:DWORD
	v_pk_fma_f16 v10, v10, v18, v67
	v_pk_fma_f16 v67, v11, v22, v82
	v_pk_fma_f16 v24, v11, v19, v24
	v_pk_fma_f16 v66, v11, v81, v66
	v_pk_fma_f16 v9, v11, v83, v9
	v_pk_fma_f16 v11, v12, v22, v23
	v_pk_fma_f16 v22, v12, v19, v17
	v_pk_fma_f16 v21, v12, v81, v21
	ds_read_b128 v[17:20], v54 offset:240
	s_waitcnt lgkmcnt(2)
	v_mul_u32_u24_sdwa v23, v5, v60 dst_sel:DWORD dst_unused:UNUSED_PAD src0_sel:WORD_0 src1_sel:DWORD
	v_mul_u32_u24_sdwa v5, v5, v60 dst_sel:DWORD dst_unused:UNUSED_PAD src0_sel:WORD_1 src1_sel:DWORD
	v_mul_u32_u24_sdwa v81, v6, v60 dst_sel:DWORD dst_unused:UNUSED_PAD src0_sel:WORD_0 src1_sel:DWORD
	v_mul_u32_u24_sdwa v6, v6, v60 dst_sel:DWORD dst_unused:UNUSED_PAD src0_sel:WORD_1 src1_sel:DWORD
	v_pk_fma_f16 v82, v12, v83, v10
	s_waitcnt lgkmcnt(1)
	v_pk_fma_f16 v67, v13, v23, v67
	v_pk_fma_f16 v24, v13, v5, v24
	;; [unrolled: 1-line block ×5, first 2 shown]
	ds_read2_b64 v[9:12], v65 offset0:192 offset1:224
	v_pk_fma_f16 v5, v14, v5, v22
	v_pk_fma_f16 v21, v14, v81, v21
	v_mul_u32_u24_sdwa v22, v7, v60 dst_sel:DWORD dst_unused:UNUSED_PAD src0_sel:WORD_0 src1_sel:DWORD
	v_mul_u32_u24_sdwa v7, v7, v60 dst_sel:DWORD dst_unused:UNUSED_PAD src0_sel:WORD_1 src1_sel:DWORD
	v_mul_u32_u24_sdwa v81, v8, v60 dst_sel:DWORD dst_unused:UNUSED_PAD src0_sel:WORD_0 src1_sel:DWORD
	v_mul_u32_u24_sdwa v8, v8, v60 dst_sel:DWORD dst_unused:UNUSED_PAD src0_sel:WORD_1 src1_sel:DWORD
	v_pk_fma_f16 v6, v14, v6, v82
	v_pk_fma_f16 v14, v15, v22, v67
	;; [unrolled: 1-line block ×8, first 2 shown]
	s_waitcnt lgkmcnt(1)
	v_mul_u32_u24_sdwa v23, v17, v60 dst_sel:DWORD dst_unused:UNUSED_PAD src0_sel:WORD_0 src1_sel:DWORD
	v_mul_u32_u24_sdwa v17, v17, v60 dst_sel:DWORD dst_unused:UNUSED_PAD src0_sel:WORD_1 src1_sel:DWORD
	v_pk_fma_f16 v81, v16, v8, v6
	v_mul_u32_u24_sdwa v82, v18, v60 dst_sel:DWORD dst_unused:UNUSED_PAD src0_sel:WORD_0 src1_sel:DWORD
	v_mul_u32_u24_sdwa v18, v18, v60 dst_sel:DWORD dst_unused:UNUSED_PAD src0_sel:WORD_1 src1_sel:DWORD
	v_add_nc_u32_e32 v66, 0x2000, v44
	ds_read_b128 v[5:8], v54 offset:256
	s_waitcnt lgkmcnt(1)
	v_pk_fma_f16 v83, v9, v23, v14
	v_pk_fma_f16 v24, v9, v17, v24
	;; [unrolled: 1-line block ×5, first 2 shown]
	ds_read2_b64 v[13:16], v66 offset1:32
	v_pk_fma_f16 v17, v10, v17, v22
	v_pk_fma_f16 v21, v10, v82, v21
	v_mul_u32_u24_sdwa v22, v19, v60 dst_sel:DWORD dst_unused:UNUSED_PAD src0_sel:WORD_0 src1_sel:DWORD
	v_mul_u32_u24_sdwa v19, v19, v60 dst_sel:DWORD dst_unused:UNUSED_PAD src0_sel:WORD_1 src1_sel:DWORD
	v_mul_u32_u24_sdwa v82, v20, v60 dst_sel:DWORD dst_unused:UNUSED_PAD src0_sel:WORD_0 src1_sel:DWORD
	v_mul_u32_u24_sdwa v84, v20, v60 dst_sel:DWORD dst_unused:UNUSED_PAD src0_sel:WORD_1 src1_sel:DWORD
	v_pk_fma_f16 v10, v10, v18, v81
	v_pk_fma_f16 v81, v11, v22, v83
	v_pk_fma_f16 v24, v11, v19, v24
	v_pk_fma_f16 v67, v11, v82, v67
	v_pk_fma_f16 v9, v11, v84, v9
	v_pk_fma_f16 v11, v12, v22, v23
	v_pk_fma_f16 v83, v12, v19, v17
	v_pk_fma_f16 v82, v12, v82, v21
	ds_read_b128 v[17:20], v54 offset:272
	s_waitcnt lgkmcnt(2)
	v_mul_u32_u24_sdwa v21, v5, v60 dst_sel:DWORD dst_unused:UNUSED_PAD src0_sel:WORD_0 src1_sel:DWORD
	v_mul_u32_u24_sdwa v5, v5, v60 dst_sel:DWORD dst_unused:UNUSED_PAD src0_sel:WORD_1 src1_sel:DWORD
	v_pk_fma_f16 v10, v12, v84, v10
	v_mul_u32_u24_sdwa v85, v6, v60 dst_sel:DWORD dst_unused:UNUSED_PAD src0_sel:WORD_0 src1_sel:DWORD
	v_mul_u32_u24_sdwa v6, v6, v60 dst_sel:DWORD dst_unused:UNUSED_PAD src0_sel:WORD_1 src1_sel:DWORD
	s_waitcnt lgkmcnt(1)
	v_pk_fma_f16 v12, v13, v21, v81
	v_pk_fma_f16 v81, v13, v5, v24
	;; [unrolled: 1-line block ×3, first 2 shown]
	ds_read2_b64 v[21:24], v66 offset0:64 offset1:96
	v_pk_fma_f16 v67, v13, v85, v67
	v_pk_fma_f16 v9, v13, v6, v9
	;; [unrolled: 1-line block ×4, first 2 shown]
	v_mul_u32_u24_sdwa v82, v7, v60 dst_sel:DWORD dst_unused:UNUSED_PAD src0_sel:WORD_0 src1_sel:DWORD
	v_mul_u32_u24_sdwa v7, v7, v60 dst_sel:DWORD dst_unused:UNUSED_PAD src0_sel:WORD_1 src1_sel:DWORD
	v_mul_u32_u24_sdwa v83, v8, v60 dst_sel:DWORD dst_unused:UNUSED_PAD src0_sel:WORD_0 src1_sel:DWORD
	v_mul_u32_u24_sdwa v8, v8, v60 dst_sel:DWORD dst_unused:UNUSED_PAD src0_sel:WORD_1 src1_sel:DWORD
	v_pk_fma_f16 v6, v14, v6, v10
	v_pk_fma_f16 v10, v15, v82, v12
	v_pk_fma_f16 v12, v15, v7, v81
	v_pk_fma_f16 v5, v16, v7, v5
	s_waitcnt lgkmcnt(1)
	v_mul_u32_u24_sdwa v7, v17, v60 dst_sel:DWORD dst_unused:UNUSED_PAD src0_sel:WORD_0 src1_sel:DWORD
	v_mul_u32_u24_sdwa v17, v17, v60 dst_sel:DWORD dst_unused:UNUSED_PAD src0_sel:WORD_1 src1_sel:DWORD
	v_pk_fma_f16 v14, v15, v83, v67
	v_pk_fma_f16 v15, v15, v8, v9
	;; [unrolled: 1-line block ×4, first 2 shown]
	v_mul_u32_u24_sdwa v81, v18, v60 dst_sel:DWORD dst_unused:UNUSED_PAD src0_sel:WORD_0 src1_sel:DWORD
	v_mul_u32_u24_sdwa v18, v18, v60 dst_sel:DWORD dst_unused:UNUSED_PAD src0_sel:WORD_1 src1_sel:DWORD
	s_waitcnt lgkmcnt(0)
	v_pk_fma_f16 v82, v21, v7, v10
	v_pk_fma_f16 v83, v21, v17, v12
	ds_read_b128 v[9:12], v54 offset:288
	v_pk_fma_f16 v16, v16, v8, v6
	v_pk_fma_f16 v14, v21, v81, v14
	;; [unrolled: 1-line block ×5, first 2 shown]
	ds_read2_b64 v[5:8], v66 offset0:128 offset1:160
	v_add_co_ci_u32_e64 v179, null, 0, v171, vcc_lo
	v_add_co_u32 v182, vcc_lo, v172, v59
	v_add_co_ci_u32_e64 v183, null, 0, v173, vcc_lo
	v_add_co_u32 v170, vcc_lo, s18, v39
	v_pk_fma_f16 v13, v22, v81, v13
	v_mul_u32_u24_sdwa v67, v19, v60 dst_sel:DWORD dst_unused:UNUSED_PAD src0_sel:WORD_0 src1_sel:DWORD
	v_mul_u32_u24_sdwa v19, v19, v60 dst_sel:DWORD dst_unused:UNUSED_PAD src0_sel:WORD_1 src1_sel:DWORD
	v_mul_u32_u24_sdwa v84, v20, v60 dst_sel:DWORD dst_unused:UNUSED_PAD src0_sel:WORD_0 src1_sel:DWORD
	v_mul_u32_u24_sdwa v20, v20, v60 dst_sel:DWORD dst_unused:UNUSED_PAD src0_sel:WORD_1 src1_sel:DWORD
	v_add_co_ci_u32_e64 v171, null, s19, v40, vcc_lo
	v_add_co_u32 v172, vcc_lo, s18, v41
	v_add_co_ci_u32_e64 v173, null, s19, v42, vcc_lo
	v_add_co_u32 v186, vcc_lo, v170, v59
	v_pk_fma_f16 v18, v22, v18, v16
	v_pk_fma_f16 v22, v23, v67, v82
	;; [unrolled: 1-line block ×7, first 2 shown]
	ds_read_b128 v[13:16], v54 offset:304
	s_waitcnt lgkmcnt(2)
	v_mul_u32_u24_sdwa v194, v9, v60 dst_sel:DWORD dst_unused:UNUSED_PAD src0_sel:WORD_0 src1_sel:DWORD
	v_mul_u32_u24_sdwa v195, v9, v60 dst_sel:DWORD dst_unused:UNUSED_PAD src0_sel:WORD_1 src1_sel:DWORD
	v_mul_u32_u24_sdwa v196, v10, v60 dst_sel:DWORD dst_unused:UNUSED_PAD src0_sel:WORD_0 src1_sel:DWORD
	v_mul_u32_u24_sdwa v85, v10, v60 dst_sel:DWORD dst_unused:UNUSED_PAD src0_sel:WORD_1 src1_sel:DWORD
	v_add_nc_u32_e32 v67, 0x2800, v44
	v_add_nc_u32_e32 v10, 0x3000, v44
	;; [unrolled: 1-line block ×3, first 2 shown]
	v_add_co_ci_u32_e64 v187, null, 0, v171, vcc_lo
	v_add_co_u32 v190, vcc_lo, v172, v59
	v_add_co_ci_u32_e64 v191, null, 0, v173, vcc_lo
	v_pk_fma_f16 v83, v24, v19, v17
	v_pk_fma_f16 v197, v24, v20, v18
	s_waitcnt lgkmcnt(1)
	v_pk_fma_f16 v198, v5, v194, v22
	v_pk_fma_f16 v199, v5, v195, v86
	;; [unrolled: 1-line block ×3, first 2 shown]
	ds_read2_b64 v[86:89], v66 offset0:192 offset1:224
	ds_read2_b64 v[21:24], v67 offset1:32
	ds_read2_b64 v[17:20], v67 offset0:64 offset1:96
	ds_read_b128 v[90:93], v54 offset:320
	ds_read_b128 v[94:97], v54 offset:336
	ds_read2_b64 v[98:101], v67 offset0:128 offset1:160
	ds_read2_b64 v[102:105], v67 offset0:192 offset1:224
	ds_read_b128 v[106:109], v54 offset:352
	ds_read_b128 v[110:113], v54 offset:368
	ds_read2_b64 v[114:117], v10 offset1:32
	ds_read2_b64 v[118:121], v10 offset0:64 offset1:96
	ds_read_b128 v[122:125], v54 offset:384
	ds_read_b128 v[126:129], v54 offset:400
	ds_read2_b64 v[130:133], v10 offset0:128 offset1:160
	ds_read2_b64 v[134:137], v10 offset0:192 offset1:224
	ds_read_b128 v[138:141], v54 offset:416
	ds_read_b128 v[142:145], v54 offset:432
	ds_read2_b64 v[146:149], v9 offset1:32
	ds_read2_b64 v[150:153], v9 offset0:64 offset1:96
	ds_read_b128 v[154:157], v54 offset:448
	ds_read_b128 v[158:161], v54 offset:464
	ds_read2_b64 v[162:165], v9 offset0:128 offset1:160
	ds_read2_b64 v[166:169], v9 offset0:192 offset1:224
	ds_read_b128 v[170:173], v54 offset:480
	ds_read_b128 v[174:177], v54 offset:496
	s_waitcnt lgkmcnt(0)
	s_barrier
	buffer_gl0_inv
	s_clause 0x3
	global_load_dwordx4 v[178:181], v[178:179], off
	global_load_dwordx4 v[182:185], v[182:183], off
	global_load_dwordx4 v[186:189], v[186:187], off
	global_load_dwordx4 v[190:193], v[190:191], off
	v_pk_fma_f16 v5, v5, v85, v81
	v_pk_fma_f16 v81, v6, v194, v82
	;; [unrolled: 1-line block ×4, first 2 shown]
	v_mul_u32_u24_sdwa v84, v11, v60 dst_sel:DWORD dst_unused:UNUSED_PAD src0_sel:WORD_0 src1_sel:DWORD
	v_mul_u32_u24_sdwa v11, v11, v60 dst_sel:DWORD dst_unused:UNUSED_PAD src0_sel:WORD_1 src1_sel:DWORD
	v_mul_u32_u24_sdwa v194, v12, v60 dst_sel:DWORD dst_unused:UNUSED_PAD src0_sel:WORD_0 src1_sel:DWORD
	v_mul_u32_u24_sdwa v12, v12, v60 dst_sel:DWORD dst_unused:UNUSED_PAD src0_sel:WORD_1 src1_sel:DWORD
	v_pk_fma_f16 v6, v6, v85, v197
	v_pk_fma_f16 v85, v7, v84, v198
	;; [unrolled: 1-line block ×8, first 2 shown]
	v_mul_u32_u24_sdwa v82, v13, v60 dst_sel:DWORD dst_unused:UNUSED_PAD src0_sel:WORD_0 src1_sel:DWORD
	v_mul_u32_u24_sdwa v13, v13, v60 dst_sel:DWORD dst_unused:UNUSED_PAD src0_sel:WORD_1 src1_sel:DWORD
	v_mul_u32_u24_sdwa v83, v14, v60 dst_sel:DWORD dst_unused:UNUSED_PAD src0_sel:WORD_0 src1_sel:DWORD
	v_mul_u32_u24_sdwa v14, v14, v60 dst_sel:DWORD dst_unused:UNUSED_PAD src0_sel:WORD_1 src1_sel:DWORD
	v_pk_fma_f16 v6, v8, v12, v6
	v_pk_fma_f16 v8, v86, v82, v85
	;; [unrolled: 1-line block ×8, first 2 shown]
	v_mul_u32_u24_sdwa v81, v15, v60 dst_sel:DWORD dst_unused:UNUSED_PAD src0_sel:WORD_0 src1_sel:DWORD
	v_mul_u32_u24_sdwa v15, v15, v60 dst_sel:DWORD dst_unused:UNUSED_PAD src0_sel:WORD_1 src1_sel:DWORD
	v_mul_u32_u24_sdwa v82, v16, v60 dst_sel:DWORD dst_unused:UNUSED_PAD src0_sel:WORD_0 src1_sel:DWORD
	v_pk_fma_f16 v6, v87, v14, v6
	v_mul_u32_u24_sdwa v14, v16, v60 dst_sel:DWORD dst_unused:UNUSED_PAD src0_sel:WORD_1 src1_sel:DWORD
	v_pk_fma_f16 v8, v88, v81, v8
	v_pk_fma_f16 v12, v88, v15, v12
	;; [unrolled: 1-line block ×7, first 2 shown]
	v_mul_u32_u24_sdwa v15, v90, v60 dst_sel:DWORD dst_unused:UNUSED_PAD src0_sel:WORD_0 src1_sel:DWORD
	v_mul_u32_u24_sdwa v81, v90, v60 dst_sel:DWORD dst_unused:UNUSED_PAD src0_sel:WORD_1 src1_sel:DWORD
	v_mul_u32_u24_sdwa v82, v91, v60 dst_sel:DWORD dst_unused:UNUSED_PAD src0_sel:WORD_0 src1_sel:DWORD
	v_mul_u32_u24_sdwa v83, v91, v60 dst_sel:DWORD dst_unused:UNUSED_PAD src0_sel:WORD_1 src1_sel:DWORD
	v_pk_fma_f16 v6, v89, v14, v6
	v_pk_fma_f16 v8, v21, v15, v8
	;; [unrolled: 1-line block ×8, first 2 shown]
	v_mul_u32_u24_sdwa v15, v92, v60 dst_sel:DWORD dst_unused:UNUSED_PAD src0_sel:WORD_0 src1_sel:DWORD
	v_mul_u32_u24_sdwa v16, v92, v60 dst_sel:DWORD dst_unused:UNUSED_PAD src0_sel:WORD_1 src1_sel:DWORD
	v_mul_u32_u24_sdwa v21, v93, v60 dst_sel:DWORD dst_unused:UNUSED_PAD src0_sel:WORD_0 src1_sel:DWORD
	v_mul_u32_u24_sdwa v81, v93, v60 dst_sel:DWORD dst_unused:UNUSED_PAD src0_sel:WORD_1 src1_sel:DWORD
	v_pk_fma_f16 v22, v22, v83, v6
	v_pk_fma_f16 v8, v23, v15, v8
	;; [unrolled: 1-line block ×9, first 2 shown]
	v_mul_u32_u24_sdwa v21, v94, v60 dst_sel:DWORD dst_unused:UNUSED_PAD src0_sel:WORD_0 src1_sel:DWORD
	v_mul_u32_u24_sdwa v22, v94, v60 dst_sel:DWORD dst_unused:UNUSED_PAD src0_sel:WORD_1 src1_sel:DWORD
	v_mul_u32_u24_sdwa v23, v95, v60 dst_sel:DWORD dst_unused:UNUSED_PAD src0_sel:WORD_0 src1_sel:DWORD
	v_mul_u32_u24_sdwa v24, v95, v60 dst_sel:DWORD dst_unused:UNUSED_PAD src0_sel:WORD_1 src1_sel:DWORD
	v_add_f32_e32 v5, v68, v79
	v_pk_fma_f16 v8, v17, v21, v8
	v_pk_fma_f16 v12, v17, v22, v12
	;; [unrolled: 1-line block ×7, first 2 shown]
	v_mul_u32_u24_sdwa v17, v96, v60 dst_sel:DWORD dst_unused:UNUSED_PAD src0_sel:WORD_0 src1_sel:DWORD
	v_mul_u32_u24_sdwa v21, v96, v60 dst_sel:DWORD dst_unused:UNUSED_PAD src0_sel:WORD_1 src1_sel:DWORD
	v_mul_u32_u24_sdwa v22, v97, v60 dst_sel:DWORD dst_unused:UNUSED_PAD src0_sel:WORD_0 src1_sel:DWORD
	v_mul_u32_u24_sdwa v23, v97, v60 dst_sel:DWORD dst_unused:UNUSED_PAD src0_sel:WORD_1 src1_sel:DWORD
	v_pk_fma_f16 v16, v18, v24, v16
	v_pk_fma_f16 v8, v19, v17, v8
	;; [unrolled: 1-line block ×7, first 2 shown]
	v_mul_u32_u24_sdwa v18, v106, v60 dst_sel:DWORD dst_unused:UNUSED_PAD src0_sel:WORD_1 src1_sel:DWORD
	v_mul_u32_u24_sdwa v19, v107, v60 dst_sel:DWORD dst_unused:UNUSED_PAD src0_sel:WORD_0 src1_sel:DWORD
	v_pk_fma_f16 v7, v20, v17, v7
	v_mul_u32_u24_sdwa v17, v106, v60 dst_sel:DWORD dst_unused:UNUSED_PAD src0_sel:WORD_0 src1_sel:DWORD
	v_mul_u32_u24_sdwa v21, v107, v60 dst_sel:DWORD dst_unused:UNUSED_PAD src0_sel:WORD_1 src1_sel:DWORD
	v_pk_fma_f16 v16, v20, v23, v16
	v_pk_fma_f16 v12, v98, v18, v12
	v_pk_fma_f16 v14, v98, v19, v14
	v_pk_fma_f16 v11, v99, v18, v11
	v_pk_fma_f16 v13, v99, v19, v13
	v_mul_u32_u24_sdwa v18, v108, v60 dst_sel:DWORD dst_unused:UNUSED_PAD src0_sel:WORD_1 src1_sel:DWORD
	v_mul_u32_u24_sdwa v19, v109, v60 dst_sel:DWORD dst_unused:UNUSED_PAD src0_sel:WORD_0 src1_sel:DWORD
	v_pk_fma_f16 v8, v98, v17, v8
	v_pk_fma_f16 v15, v98, v21, v15
	v_pk_fma_f16 v7, v99, v17, v7
	v_mul_u32_u24_sdwa v17, v108, v60 dst_sel:DWORD dst_unused:UNUSED_PAD src0_sel:WORD_0 src1_sel:DWORD
	v_mul_u32_u24_sdwa v20, v109, v60 dst_sel:DWORD dst_unused:UNUSED_PAD src0_sel:WORD_1 src1_sel:DWORD
	v_pk_fma_f16 v16, v99, v21, v16
	v_pk_fma_f16 v12, v100, v18, v12
	v_pk_fma_f16 v14, v100, v19, v14
	v_pk_fma_f16 v11, v101, v18, v11
	v_pk_fma_f16 v13, v101, v19, v13
	v_mul_u32_u24_sdwa v18, v110, v60 dst_sel:DWORD dst_unused:UNUSED_PAD src0_sel:WORD_1 src1_sel:DWORD
	v_mul_u32_u24_sdwa v19, v111, v60 dst_sel:DWORD dst_unused:UNUSED_PAD src0_sel:WORD_0 src1_sel:DWORD
	v_pk_fma_f16 v8, v100, v17, v8
	v_pk_fma_f16 v15, v100, v20, v15
	;; [unrolled: 12-line block ×17, first 2 shown]
	v_pk_fma_f16 v7, v163, v17, v7
	v_mul_u32_u24_sdwa v17, v172, v60 dst_sel:DWORD dst_unused:UNUSED_PAD src0_sel:WORD_0 src1_sel:DWORD
	v_mul_u32_u24_sdwa v20, v173, v60 dst_sel:DWORD dst_unused:UNUSED_PAD src0_sel:WORD_1 src1_sel:DWORD
	v_pk_fma_f16 v16, v163, v21, v16
	v_pk_fma_f16 v12, v164, v18, v12
	;; [unrolled: 1-line block ×3, first 2 shown]
	v_mul_u32_u24_sdwa v21, v174, v60 dst_sel:DWORD dst_unused:UNUSED_PAD src0_sel:WORD_1 src1_sel:DWORD
	v_mul_u32_u24_sdwa v22, v175, v60 dst_sel:DWORD dst_unused:UNUSED_PAD src0_sel:WORD_0 src1_sel:DWORD
	v_add_f32_e32 v6, v69, v80
	v_fmac_f32_e32 v5, v61, v70
	v_pk_fma_f16 v8, v164, v17, v8
	v_pk_fma_f16 v15, v164, v20, v15
	v_pk_fma_f16 v7, v165, v17, v7
	v_pk_fma_f16 v17, v165, v18, v11
	v_pk_fma_f16 v18, v165, v19, v13
	v_mul_u32_u24_sdwa v19, v174, v60 dst_sel:DWORD dst_unused:UNUSED_PAD src0_sel:WORD_0 src1_sel:DWORD
	v_mul_u32_u24_sdwa v23, v175, v60 dst_sel:DWORD dst_unused:UNUSED_PAD src0_sel:WORD_1 src1_sel:DWORD
	v_pk_fma_f16 v24, v166, v21, v12
	v_pk_fma_f16 v61, v166, v22, v14
	s_waitcnt vmcnt(3)
	ds_write_b128 v53, v[178:181]
	s_waitcnt vmcnt(2)
	ds_write_b128 v55, v[182:185]
	;; [unrolled: 2-line block ×4, first 2 shown]
	s_waitcnt lgkmcnt(0)
	s_barrier
	buffer_gl0_inv
	ds_read_b128 v[11:14], v54 offset:512
	v_fmac_f32_e32 v6, v62, v71
	v_pk_fma_f16 v20, v165, v20, v16
	v_pk_fma_f16 v8, v166, v19, v8
	;; [unrolled: 1-line block ×6, first 2 shown]
	ds_read2_b64 v[15:18], v44 offset1:32
	v_mul_u32_u24_sdwa v22, v176, v60 dst_sel:DWORD dst_unused:UNUSED_PAD src0_sel:WORD_0 src1_sel:DWORD
	v_mul_u32_u24_sdwa v68, v176, v60 dst_sel:DWORD dst_unused:UNUSED_PAD src0_sel:WORD_1 src1_sel:DWORD
	v_mul_u32_u24_sdwa v69, v177, v60 dst_sel:DWORD dst_unused:UNUSED_PAD src0_sel:WORD_0 src1_sel:DWORD
	v_mul_u32_u24_sdwa v70, v177, v60 dst_sel:DWORD dst_unused:UNUSED_PAD src0_sel:WORD_1 src1_sel:DWORD
	v_pk_fma_f16 v20, v167, v23, v20
	v_pk_fma_f16 v8, v168, v22, v8
	v_pk_fma_f16 v23, v168, v68, v24
	v_pk_fma_f16 v24, v168, v69, v61
	v_pk_fma_f16 v61, v168, v70, v62
	v_pk_fma_f16 v7, v169, v22, v7
	v_pk_fma_f16 v62, v169, v68, v19
	v_pk_fma_f16 v87, v169, v69, v21
	v_pk_fma_f16 v88, v169, v70, v20
	ds_read_b128 v[19:22], v54 offset:528
	s_waitcnt lgkmcnt(2)
	v_mul_u32_u24_sdwa v83, v11, v60 dst_sel:DWORD dst_unused:UNUSED_PAD src0_sel:WORD_0 src1_sel:DWORD
	ds_read_b128 v[68:71], v54 offset:544
	ds_read_b128 v[79:82], v54 offset:560
	v_mul_u32_u24_sdwa v11, v11, v60 dst_sel:DWORD dst_unused:UNUSED_PAD src0_sel:WORD_1 src1_sel:DWORD
	v_mul_u32_u24_sdwa v89, v12, v60 dst_sel:DWORD dst_unused:UNUSED_PAD src0_sel:WORD_0 src1_sel:DWORD
	v_mul_u32_u24_sdwa v12, v12, v60 dst_sel:DWORD dst_unused:UNUSED_PAD src0_sel:WORD_1 src1_sel:DWORD
	s_waitcnt lgkmcnt(3)
	v_pk_fma_f16 v8, v15, v83, v8
	v_pk_fma_f16 v7, v16, v83, v7
	ds_read2_b64 v[83:86], v44 offset0:64 offset1:96
	v_pk_fma_f16 v23, v15, v11, v23
	v_pk_fma_f16 v24, v15, v89, v24
	;; [unrolled: 1-line block ×5, first 2 shown]
	v_mul_u32_u24_sdwa v62, v13, v60 dst_sel:DWORD dst_unused:UNUSED_PAD src0_sel:WORD_0 src1_sel:DWORD
	v_mul_u32_u24_sdwa v13, v13, v60 dst_sel:DWORD dst_unused:UNUSED_PAD src0_sel:WORD_1 src1_sel:DWORD
	v_mul_u32_u24_sdwa v87, v14, v60 dst_sel:DWORD dst_unused:UNUSED_PAD src0_sel:WORD_0 src1_sel:DWORD
	v_mul_u32_u24_sdwa v14, v14, v60 dst_sel:DWORD dst_unused:UNUSED_PAD src0_sel:WORD_1 src1_sel:DWORD
	v_pk_fma_f16 v12, v16, v12, v88
	v_pk_fma_f16 v8, v17, v62, v8
	;; [unrolled: 1-line block ×7, first 2 shown]
	s_waitcnt lgkmcnt(3)
	v_mul_u32_u24_sdwa v11, v19, v60 dst_sel:DWORD dst_unused:UNUSED_PAD src0_sel:WORD_0 src1_sel:DWORD
	v_pk_fma_f16 v24, v18, v87, v61
	v_pk_fma_f16 v18, v18, v14, v12
	v_mul_u32_u24_sdwa v19, v19, v60 dst_sel:DWORD dst_unused:UNUSED_PAD src0_sel:WORD_1 src1_sel:DWORD
	v_mul_u32_u24_sdwa v61, v20, v60 dst_sel:DWORD dst_unused:UNUSED_PAD src0_sel:WORD_0 src1_sel:DWORD
	s_waitcnt lgkmcnt(0)
	v_pk_fma_f16 v8, v83, v11, v8
	v_pk_fma_f16 v7, v84, v11, v7
	ds_read2_b64 v[11:14], v44 offset0:128 offset1:160
	v_mul_u32_u24_sdwa v20, v20, v60 dst_sel:DWORD dst_unused:UNUSED_PAD src0_sel:WORD_1 src1_sel:DWORD
	v_pk_fma_f16 v16, v83, v19, v16
	v_pk_fma_f16 v23, v83, v61, v23
	;; [unrolled: 1-line block ×5, first 2 shown]
	v_mul_u32_u24_sdwa v24, v21, v60 dst_sel:DWORD dst_unused:UNUSED_PAD src0_sel:WORD_0 src1_sel:DWORD
	v_mul_u32_u24_sdwa v21, v21, v60 dst_sel:DWORD dst_unused:UNUSED_PAD src0_sel:WORD_1 src1_sel:DWORD
	v_mul_u32_u24_sdwa v61, v22, v60 dst_sel:DWORD dst_unused:UNUSED_PAD src0_sel:WORD_0 src1_sel:DWORD
	v_mul_u32_u24_sdwa v22, v22, v60 dst_sel:DWORD dst_unused:UNUSED_PAD src0_sel:WORD_1 src1_sel:DWORD
	v_pk_fma_f16 v18, v84, v20, v18
	v_pk_fma_f16 v8, v85, v24, v8
	;; [unrolled: 1-line block ×8, first 2 shown]
	v_mul_u32_u24_sdwa v17, v68, v60 dst_sel:DWORD dst_unused:UNUSED_PAD src0_sel:WORD_0 src1_sel:DWORD
	v_mul_u32_u24_sdwa v23, v68, v60 dst_sel:DWORD dst_unused:UNUSED_PAD src0_sel:WORD_1 src1_sel:DWORD
	v_mul_u32_u24_sdwa v24, v69, v60 dst_sel:DWORD dst_unused:UNUSED_PAD src0_sel:WORD_0 src1_sel:DWORD
	v_mul_u32_u24_sdwa v61, v69, v60 dst_sel:DWORD dst_unused:UNUSED_PAD src0_sel:WORD_1 src1_sel:DWORD
	v_pk_fma_f16 v22, v86, v22, v18
	s_waitcnt lgkmcnt(0)
	v_pk_fma_f16 v8, v11, v17, v8
	v_pk_fma_f16 v62, v11, v23, v16
	;; [unrolled: 1-line block ×5, first 2 shown]
	ds_read2_b64 v[15:18], v44 offset0:192 offset1:224
	v_pk_fma_f16 v21, v12, v23, v21
	v_pk_fma_f16 v19, v12, v24, v19
	v_mul_u32_u24_sdwa v23, v70, v60 dst_sel:DWORD dst_unused:UNUSED_PAD src0_sel:WORD_0 src1_sel:DWORD
	v_mul_u32_u24_sdwa v24, v70, v60 dst_sel:DWORD dst_unused:UNUSED_PAD src0_sel:WORD_1 src1_sel:DWORD
	v_mul_u32_u24_sdwa v68, v71, v60 dst_sel:DWORD dst_unused:UNUSED_PAD src0_sel:WORD_0 src1_sel:DWORD
	v_mul_u32_u24_sdwa v69, v71, v60 dst_sel:DWORD dst_unused:UNUSED_PAD src0_sel:WORD_1 src1_sel:DWORD
	v_pk_fma_f16 v12, v12, v61, v22
	v_pk_fma_f16 v8, v13, v23, v8
	;; [unrolled: 1-line block ×8, first 2 shown]
	v_mul_u32_u24_sdwa v19, v79, v60 dst_sel:DWORD dst_unused:UNUSED_PAD src0_sel:WORD_0 src1_sel:DWORD
	v_mul_u32_u24_sdwa v24, v79, v60 dst_sel:DWORD dst_unused:UNUSED_PAD src0_sel:WORD_1 src1_sel:DWORD
	v_pk_fma_f16 v62, v14, v69, v12
	v_mul_u32_u24_sdwa v68, v80, v60 dst_sel:DWORD dst_unused:UNUSED_PAD src0_sel:WORD_0 src1_sel:DWORD
	ds_read_b128 v[11:14], v54 offset:576
	s_waitcnt lgkmcnt(1)
	v_pk_fma_f16 v8, v15, v19, v8
	v_pk_fma_f16 v70, v15, v24, v22
	;; [unrolled: 1-line block ×5, first 2 shown]
	ds_read2_b64 v[19:22], v63 offset1:32
	v_mul_u32_u24_sdwa v69, v80, v60 dst_sel:DWORD dst_unused:UNUSED_PAD src0_sel:WORD_1 src1_sel:DWORD
	v_pk_fma_f16 v23, v16, v68, v23
	v_mul_u32_u24_sdwa v68, v81, v60 dst_sel:DWORD dst_unused:UNUSED_PAD src0_sel:WORD_1 src1_sel:DWORD
	v_mul_u32_u24_sdwa v79, v82, v60 dst_sel:DWORD dst_unused:UNUSED_PAD src0_sel:WORD_0 src1_sel:DWORD
	v_mul_u32_u24_sdwa v80, v82, v60 dst_sel:DWORD dst_unused:UNUSED_PAD src0_sel:WORD_1 src1_sel:DWORD
	v_pk_fma_f16 v15, v15, v69, v61
	v_mul_u32_u24_sdwa v61, v81, v60 dst_sel:DWORD dst_unused:UNUSED_PAD src0_sel:WORD_0 src1_sel:DWORD
	v_pk_fma_f16 v16, v16, v69, v62
	v_pk_fma_f16 v62, v17, v68, v70
	;; [unrolled: 1-line block ×7, first 2 shown]
	ds_read_b128 v[68:71], v54 offset:592
	s_waitcnt lgkmcnt(2)
	v_mul_u32_u24_sdwa v17, v11, v60 dst_sel:DWORD dst_unused:UNUSED_PAD src0_sel:WORD_0 src1_sel:DWORD
	v_mul_u32_u24_sdwa v11, v11, v60 dst_sel:DWORD dst_unused:UNUSED_PAD src0_sel:WORD_1 src1_sel:DWORD
	v_mul_u32_u24_sdwa v61, v12, v60 dst_sel:DWORD dst_unused:UNUSED_PAD src0_sel:WORD_0 src1_sel:DWORD
	v_mul_u32_u24_sdwa v12, v12, v60 dst_sel:DWORD dst_unused:UNUSED_PAD src0_sel:WORD_1 src1_sel:DWORD
	v_pk_fma_f16 v23, v18, v79, v23
	v_pk_fma_f16 v79, v18, v80, v16
	s_waitcnt lgkmcnt(1)
	v_pk_fma_f16 v8, v19, v17, v8
	v_pk_fma_f16 v62, v19, v11, v62
	;; [unrolled: 1-line block ×5, first 2 shown]
	ds_read2_b64 v[15:18], v63 offset0:64 offset1:96
	v_pk_fma_f16 v11, v20, v11, v24
	v_pk_fma_f16 v23, v20, v61, v23
	v_mul_u32_u24_sdwa v24, v13, v60 dst_sel:DWORD dst_unused:UNUSED_PAD src0_sel:WORD_0 src1_sel:DWORD
	v_mul_u32_u24_sdwa v13, v13, v60 dst_sel:DWORD dst_unused:UNUSED_PAD src0_sel:WORD_1 src1_sel:DWORD
	v_mul_u32_u24_sdwa v61, v14, v60 dst_sel:DWORD dst_unused:UNUSED_PAD src0_sel:WORD_0 src1_sel:DWORD
	v_mul_u32_u24_sdwa v14, v14, v60 dst_sel:DWORD dst_unused:UNUSED_PAD src0_sel:WORD_1 src1_sel:DWORD
	v_pk_fma_f16 v12, v20, v12, v79
	v_pk_fma_f16 v8, v21, v24, v8
	;; [unrolled: 1-line block ×8, first 2 shown]
	s_waitcnt lgkmcnt(1)
	v_mul_u32_u24_sdwa v24, v68, v60 dst_sel:DWORD dst_unused:UNUSED_PAD src0_sel:WORD_0 src1_sel:DWORD
	v_mul_u32_u24_sdwa v61, v68, v60 dst_sel:DWORD dst_unused:UNUSED_PAD src0_sel:WORD_1 src1_sel:DWORD
	v_pk_fma_f16 v68, v22, v14, v12
	v_mul_u32_u24_sdwa v79, v69, v60 dst_sel:DWORD dst_unused:UNUSED_PAD src0_sel:WORD_0 src1_sel:DWORD
	v_mul_u32_u24_sdwa v69, v69, v60 dst_sel:DWORD dst_unused:UNUSED_PAD src0_sel:WORD_1 src1_sel:DWORD
	ds_read_b128 v[11:14], v54 offset:608
	s_waitcnt lgkmcnt(1)
	v_pk_fma_f16 v8, v15, v24, v8
	v_pk_fma_f16 v80, v15, v61, v20
	;; [unrolled: 1-line block ×6, first 2 shown]
	ds_read2_b64 v[19:22], v63 offset0:128 offset1:160
	v_pk_fma_f16 v23, v16, v79, v23
	v_mul_u32_u24_sdwa v61, v70, v60 dst_sel:DWORD dst_unused:UNUSED_PAD src0_sel:WORD_0 src1_sel:DWORD
	v_mul_u32_u24_sdwa v70, v70, v60 dst_sel:DWORD dst_unused:UNUSED_PAD src0_sel:WORD_1 src1_sel:DWORD
	v_mul_u32_u24_sdwa v79, v71, v60 dst_sel:DWORD dst_unused:UNUSED_PAD src0_sel:WORD_0 src1_sel:DWORD
	v_mul_u32_u24_sdwa v81, v71, v60 dst_sel:DWORD dst_unused:UNUSED_PAD src0_sel:WORD_1 src1_sel:DWORD
	v_pk_fma_f16 v16, v16, v69, v68
	v_pk_fma_f16 v8, v17, v61, v8
	;; [unrolled: 1-line block ×7, first 2 shown]
	ds_read_b128 v[68:71], v54 offset:624
	s_waitcnt lgkmcnt(2)
	v_mul_u32_u24_sdwa v17, v11, v60 dst_sel:DWORD dst_unused:UNUSED_PAD src0_sel:WORD_0 src1_sel:DWORD
	v_mul_u32_u24_sdwa v11, v11, v60 dst_sel:DWORD dst_unused:UNUSED_PAD src0_sel:WORD_1 src1_sel:DWORD
	v_mul_u32_u24_sdwa v61, v12, v60 dst_sel:DWORD dst_unused:UNUSED_PAD src0_sel:WORD_0 src1_sel:DWORD
	v_mul_u32_u24_sdwa v12, v12, v60 dst_sel:DWORD dst_unused:UNUSED_PAD src0_sel:WORD_1 src1_sel:DWORD
	v_pk_fma_f16 v23, v18, v79, v23
	v_pk_fma_f16 v79, v18, v81, v16
	s_waitcnt lgkmcnt(1)
	v_pk_fma_f16 v8, v19, v17, v8
	v_pk_fma_f16 v80, v19, v11, v80
	v_pk_fma_f16 v62, v19, v61, v62
	v_pk_fma_f16 v19, v19, v12, v15
	v_pk_fma_f16 v7, v20, v17, v7
	ds_read2_b64 v[15:18], v63 offset0:192 offset1:224
	v_pk_fma_f16 v11, v20, v11, v24
	v_pk_fma_f16 v23, v20, v61, v23
	v_mul_u32_u24_sdwa v24, v13, v60 dst_sel:DWORD dst_unused:UNUSED_PAD src0_sel:WORD_0 src1_sel:DWORD
	v_mul_u32_u24_sdwa v13, v13, v60 dst_sel:DWORD dst_unused:UNUSED_PAD src0_sel:WORD_1 src1_sel:DWORD
	v_mul_u32_u24_sdwa v61, v14, v60 dst_sel:DWORD dst_unused:UNUSED_PAD src0_sel:WORD_0 src1_sel:DWORD
	v_mul_u32_u24_sdwa v14, v14, v60 dst_sel:DWORD dst_unused:UNUSED_PAD src0_sel:WORD_1 src1_sel:DWORD
	v_pk_fma_f16 v12, v20, v12, v79
	v_pk_fma_f16 v8, v21, v24, v8
	;; [unrolled: 1-line block ×8, first 2 shown]
	s_waitcnt lgkmcnt(1)
	v_mul_u32_u24_sdwa v24, v68, v60 dst_sel:DWORD dst_unused:UNUSED_PAD src0_sel:WORD_0 src1_sel:DWORD
	v_mul_u32_u24_sdwa v61, v68, v60 dst_sel:DWORD dst_unused:UNUSED_PAD src0_sel:WORD_1 src1_sel:DWORD
	v_pk_fma_f16 v63, v22, v14, v12
	v_mul_u32_u24_sdwa v68, v69, v60 dst_sel:DWORD dst_unused:UNUSED_PAD src0_sel:WORD_0 src1_sel:DWORD
	v_mul_u32_u24_sdwa v69, v69, v60 dst_sel:DWORD dst_unused:UNUSED_PAD src0_sel:WORD_1 src1_sel:DWORD
	ds_read_b128 v[11:14], v54 offset:640
	s_waitcnt lgkmcnt(1)
	v_pk_fma_f16 v8, v15, v24, v8
	v_pk_fma_f16 v79, v15, v61, v20
	;; [unrolled: 1-line block ×6, first 2 shown]
	ds_read2_b64 v[19:22], v64 offset1:32
	v_pk_fma_f16 v23, v16, v68, v23
	v_mul_u32_u24_sdwa v61, v70, v60 dst_sel:DWORD dst_unused:UNUSED_PAD src0_sel:WORD_0 src1_sel:DWORD
	v_mul_u32_u24_sdwa v68, v70, v60 dst_sel:DWORD dst_unused:UNUSED_PAD src0_sel:WORD_1 src1_sel:DWORD
	v_mul_u32_u24_sdwa v70, v71, v60 dst_sel:DWORD dst_unused:UNUSED_PAD src0_sel:WORD_0 src1_sel:DWORD
	v_mul_u32_u24_sdwa v80, v71, v60 dst_sel:DWORD dst_unused:UNUSED_PAD src0_sel:WORD_1 src1_sel:DWORD
	v_pk_fma_f16 v16, v16, v69, v63
	v_pk_fma_f16 v8, v17, v61, v8
	;; [unrolled: 1-line block ×8, first 2 shown]
	ds_read_b128 v[68:71], v54 offset:656
	s_waitcnt lgkmcnt(2)
	v_mul_u32_u24_sdwa v17, v11, v60 dst_sel:DWORD dst_unused:UNUSED_PAD src0_sel:WORD_0 src1_sel:DWORD
	v_mul_u32_u24_sdwa v11, v11, v60 dst_sel:DWORD dst_unused:UNUSED_PAD src0_sel:WORD_1 src1_sel:DWORD
	v_mul_u32_u24_sdwa v61, v12, v60 dst_sel:DWORD dst_unused:UNUSED_PAD src0_sel:WORD_0 src1_sel:DWORD
	v_mul_u32_u24_sdwa v12, v12, v60 dst_sel:DWORD dst_unused:UNUSED_PAD src0_sel:WORD_1 src1_sel:DWORD
	v_pk_fma_f16 v79, v18, v80, v16
	s_waitcnt lgkmcnt(1)
	v_pk_fma_f16 v8, v19, v17, v8
	v_pk_fma_f16 v63, v19, v11, v63
	;; [unrolled: 1-line block ×5, first 2 shown]
	ds_read2_b64 v[15:18], v64 offset0:64 offset1:96
	v_pk_fma_f16 v11, v20, v11, v24
	v_pk_fma_f16 v23, v20, v61, v23
	v_mul_u32_u24_sdwa v24, v13, v60 dst_sel:DWORD dst_unused:UNUSED_PAD src0_sel:WORD_0 src1_sel:DWORD
	v_mul_u32_u24_sdwa v13, v13, v60 dst_sel:DWORD dst_unused:UNUSED_PAD src0_sel:WORD_1 src1_sel:DWORD
	v_mul_u32_u24_sdwa v61, v14, v60 dst_sel:DWORD dst_unused:UNUSED_PAD src0_sel:WORD_0 src1_sel:DWORD
	v_mul_u32_u24_sdwa v14, v14, v60 dst_sel:DWORD dst_unused:UNUSED_PAD src0_sel:WORD_1 src1_sel:DWORD
	v_pk_fma_f16 v12, v20, v12, v79
	v_pk_fma_f16 v8, v21, v24, v8
	;; [unrolled: 1-line block ×8, first 2 shown]
	s_waitcnt lgkmcnt(1)
	v_mul_u32_u24_sdwa v24, v68, v60 dst_sel:DWORD dst_unused:UNUSED_PAD src0_sel:WORD_0 src1_sel:DWORD
	v_mul_u32_u24_sdwa v61, v68, v60 dst_sel:DWORD dst_unused:UNUSED_PAD src0_sel:WORD_1 src1_sel:DWORD
	v_pk_fma_f16 v63, v22, v14, v12
	v_mul_u32_u24_sdwa v68, v69, v60 dst_sel:DWORD dst_unused:UNUSED_PAD src0_sel:WORD_0 src1_sel:DWORD
	v_mul_u32_u24_sdwa v69, v69, v60 dst_sel:DWORD dst_unused:UNUSED_PAD src0_sel:WORD_1 src1_sel:DWORD
	ds_read_b128 v[11:14], v54 offset:672
	s_waitcnt lgkmcnt(1)
	v_pk_fma_f16 v8, v15, v24, v8
	v_pk_fma_f16 v79, v15, v61, v20
	;; [unrolled: 1-line block ×6, first 2 shown]
	ds_read2_b64 v[19:22], v64 offset0:128 offset1:160
	v_pk_fma_f16 v23, v16, v68, v23
	v_mul_u32_u24_sdwa v61, v70, v60 dst_sel:DWORD dst_unused:UNUSED_PAD src0_sel:WORD_0 src1_sel:DWORD
	v_mul_u32_u24_sdwa v68, v70, v60 dst_sel:DWORD dst_unused:UNUSED_PAD src0_sel:WORD_1 src1_sel:DWORD
	v_mul_u32_u24_sdwa v70, v71, v60 dst_sel:DWORD dst_unused:UNUSED_PAD src0_sel:WORD_0 src1_sel:DWORD
	v_mul_u32_u24_sdwa v80, v71, v60 dst_sel:DWORD dst_unused:UNUSED_PAD src0_sel:WORD_1 src1_sel:DWORD
	v_pk_fma_f16 v16, v16, v69, v63
	v_pk_fma_f16 v8, v17, v61, v8
	;; [unrolled: 1-line block ×8, first 2 shown]
	ds_read_b128 v[68:71], v54 offset:688
	s_waitcnt lgkmcnt(2)
	v_mul_u32_u24_sdwa v17, v11, v60 dst_sel:DWORD dst_unused:UNUSED_PAD src0_sel:WORD_0 src1_sel:DWORD
	v_mul_u32_u24_sdwa v11, v11, v60 dst_sel:DWORD dst_unused:UNUSED_PAD src0_sel:WORD_1 src1_sel:DWORD
	v_mul_u32_u24_sdwa v61, v12, v60 dst_sel:DWORD dst_unused:UNUSED_PAD src0_sel:WORD_0 src1_sel:DWORD
	v_mul_u32_u24_sdwa v12, v12, v60 dst_sel:DWORD dst_unused:UNUSED_PAD src0_sel:WORD_1 src1_sel:DWORD
	v_pk_fma_f16 v79, v18, v80, v16
	s_waitcnt lgkmcnt(1)
	v_pk_fma_f16 v8, v19, v17, v8
	v_pk_fma_f16 v63, v19, v11, v63
	;; [unrolled: 1-line block ×5, first 2 shown]
	ds_read2_b64 v[15:18], v64 offset0:192 offset1:224
	v_pk_fma_f16 v11, v20, v11, v24
	v_pk_fma_f16 v23, v20, v61, v23
	v_mul_u32_u24_sdwa v24, v13, v60 dst_sel:DWORD dst_unused:UNUSED_PAD src0_sel:WORD_0 src1_sel:DWORD
	v_mul_u32_u24_sdwa v13, v13, v60 dst_sel:DWORD dst_unused:UNUSED_PAD src0_sel:WORD_1 src1_sel:DWORD
	v_mul_u32_u24_sdwa v61, v14, v60 dst_sel:DWORD dst_unused:UNUSED_PAD src0_sel:WORD_0 src1_sel:DWORD
	v_mul_u32_u24_sdwa v14, v14, v60 dst_sel:DWORD dst_unused:UNUSED_PAD src0_sel:WORD_1 src1_sel:DWORD
	v_pk_fma_f16 v12, v20, v12, v79
	v_pk_fma_f16 v8, v21, v24, v8
	;; [unrolled: 1-line block ×8, first 2 shown]
	s_waitcnt lgkmcnt(1)
	v_mul_u32_u24_sdwa v24, v68, v60 dst_sel:DWORD dst_unused:UNUSED_PAD src0_sel:WORD_0 src1_sel:DWORD
	v_mul_u32_u24_sdwa v61, v68, v60 dst_sel:DWORD dst_unused:UNUSED_PAD src0_sel:WORD_1 src1_sel:DWORD
	v_pk_fma_f16 v63, v22, v14, v12
	v_mul_u32_u24_sdwa v64, v69, v60 dst_sel:DWORD dst_unused:UNUSED_PAD src0_sel:WORD_0 src1_sel:DWORD
	v_mul_u32_u24_sdwa v68, v69, v60 dst_sel:DWORD dst_unused:UNUSED_PAD src0_sel:WORD_1 src1_sel:DWORD
	ds_read_b128 v[11:14], v54 offset:704
	s_waitcnt lgkmcnt(1)
	v_pk_fma_f16 v8, v15, v24, v8
	v_pk_fma_f16 v69, v15, v61, v20
	;; [unrolled: 1-line block ×6, first 2 shown]
	ds_read2_b64 v[19:22], v65 offset1:32
	v_pk_fma_f16 v23, v16, v64, v23
	v_mul_u32_u24_sdwa v61, v70, v60 dst_sel:DWORD dst_unused:UNUSED_PAD src0_sel:WORD_0 src1_sel:DWORD
	v_mul_u32_u24_sdwa v64, v70, v60 dst_sel:DWORD dst_unused:UNUSED_PAD src0_sel:WORD_1 src1_sel:DWORD
	v_mul_u32_u24_sdwa v70, v71, v60 dst_sel:DWORD dst_unused:UNUSED_PAD src0_sel:WORD_0 src1_sel:DWORD
	v_mul_u32_u24_sdwa v71, v71, v60 dst_sel:DWORD dst_unused:UNUSED_PAD src0_sel:WORD_1 src1_sel:DWORD
	v_pk_fma_f16 v16, v16, v68, v63
	v_pk_fma_f16 v8, v17, v61, v8
	;; [unrolled: 1-line block ×8, first 2 shown]
	ds_read_b128 v[61:64], v54 offset:720
	s_waitcnt lgkmcnt(2)
	v_mul_u32_u24_sdwa v17, v11, v60 dst_sel:DWORD dst_unused:UNUSED_PAD src0_sel:WORD_0 src1_sel:DWORD
	v_mul_u32_u24_sdwa v11, v11, v60 dst_sel:DWORD dst_unused:UNUSED_PAD src0_sel:WORD_1 src1_sel:DWORD
	v_mul_u32_u24_sdwa v70, v12, v60 dst_sel:DWORD dst_unused:UNUSED_PAD src0_sel:WORD_0 src1_sel:DWORD
	v_mul_u32_u24_sdwa v12, v12, v60 dst_sel:DWORD dst_unused:UNUSED_PAD src0_sel:WORD_1 src1_sel:DWORD
	v_pk_fma_f16 v71, v18, v71, v16
	s_waitcnt lgkmcnt(1)
	v_pk_fma_f16 v8, v19, v17, v8
	v_pk_fma_f16 v68, v19, v11, v68
	v_pk_fma_f16 v69, v19, v70, v69
	v_pk_fma_f16 v19, v19, v12, v15
	v_pk_fma_f16 v7, v20, v17, v7
	ds_read2_b64 v[15:18], v65 offset0:64 offset1:96
	v_pk_fma_f16 v11, v20, v11, v24
	v_pk_fma_f16 v23, v20, v70, v23
	v_mul_u32_u24_sdwa v24, v13, v60 dst_sel:DWORD dst_unused:UNUSED_PAD src0_sel:WORD_0 src1_sel:DWORD
	v_mul_u32_u24_sdwa v13, v13, v60 dst_sel:DWORD dst_unused:UNUSED_PAD src0_sel:WORD_1 src1_sel:DWORD
	v_mul_u32_u24_sdwa v70, v14, v60 dst_sel:DWORD dst_unused:UNUSED_PAD src0_sel:WORD_0 src1_sel:DWORD
	v_mul_u32_u24_sdwa v14, v14, v60 dst_sel:DWORD dst_unused:UNUSED_PAD src0_sel:WORD_1 src1_sel:DWORD
	v_pk_fma_f16 v12, v20, v12, v71
	v_pk_fma_f16 v8, v21, v24, v8
	;; [unrolled: 1-line block ×8, first 2 shown]
	s_waitcnt lgkmcnt(1)
	v_mul_u32_u24_sdwa v24, v61, v60 dst_sel:DWORD dst_unused:UNUSED_PAD src0_sel:WORD_0 src1_sel:DWORD
	v_mul_u32_u24_sdwa v61, v61, v60 dst_sel:DWORD dst_unused:UNUSED_PAD src0_sel:WORD_1 src1_sel:DWORD
	v_pk_fma_f16 v69, v22, v14, v12
	v_mul_u32_u24_sdwa v70, v62, v60 dst_sel:DWORD dst_unused:UNUSED_PAD src0_sel:WORD_0 src1_sel:DWORD
	v_mul_u32_u24_sdwa v62, v62, v60 dst_sel:DWORD dst_unused:UNUSED_PAD src0_sel:WORD_1 src1_sel:DWORD
	ds_read_b128 v[11:14], v54 offset:736
	s_waitcnt lgkmcnt(1)
	v_pk_fma_f16 v8, v15, v24, v8
	v_pk_fma_f16 v71, v15, v61, v20
	v_pk_fma_f16 v68, v15, v70, v68
	v_pk_fma_f16 v15, v15, v62, v19
	v_pk_fma_f16 v7, v16, v24, v7
	v_pk_fma_f16 v24, v16, v61, v21
	ds_read2_b64 v[19:22], v65 offset0:128 offset1:160
	v_pk_fma_f16 v23, v16, v70, v23
	v_mul_u32_u24_sdwa v61, v63, v60 dst_sel:DWORD dst_unused:UNUSED_PAD src0_sel:WORD_0 src1_sel:DWORD
	v_mul_u32_u24_sdwa v63, v63, v60 dst_sel:DWORD dst_unused:UNUSED_PAD src0_sel:WORD_1 src1_sel:DWORD
	v_mul_u32_u24_sdwa v70, v64, v60 dst_sel:DWORD dst_unused:UNUSED_PAD src0_sel:WORD_0 src1_sel:DWORD
	v_mul_u32_u24_sdwa v79, v64, v60 dst_sel:DWORD dst_unused:UNUSED_PAD src0_sel:WORD_1 src1_sel:DWORD
	v_pk_fma_f16 v16, v16, v62, v69
	v_pk_fma_f16 v8, v17, v61, v8
	;; [unrolled: 1-line block ×8, first 2 shown]
	ds_read_b128 v[61:64], v54 offset:752
	s_waitcnt lgkmcnt(2)
	v_mul_u32_u24_sdwa v17, v11, v60 dst_sel:DWORD dst_unused:UNUSED_PAD src0_sel:WORD_0 src1_sel:DWORD
	v_mul_u32_u24_sdwa v11, v11, v60 dst_sel:DWORD dst_unused:UNUSED_PAD src0_sel:WORD_1 src1_sel:DWORD
	v_mul_u32_u24_sdwa v70, v12, v60 dst_sel:DWORD dst_unused:UNUSED_PAD src0_sel:WORD_0 src1_sel:DWORD
	v_mul_u32_u24_sdwa v12, v12, v60 dst_sel:DWORD dst_unused:UNUSED_PAD src0_sel:WORD_1 src1_sel:DWORD
	v_pk_fma_f16 v71, v18, v79, v16
	s_waitcnt lgkmcnt(1)
	v_pk_fma_f16 v8, v19, v17, v8
	v_pk_fma_f16 v69, v19, v11, v69
	;; [unrolled: 1-line block ×5, first 2 shown]
	ds_read2_b64 v[15:18], v65 offset0:192 offset1:224
	v_pk_fma_f16 v11, v20, v11, v24
	v_pk_fma_f16 v23, v20, v70, v23
	v_mul_u32_u24_sdwa v24, v13, v60 dst_sel:DWORD dst_unused:UNUSED_PAD src0_sel:WORD_0 src1_sel:DWORD
	v_mul_u32_u24_sdwa v13, v13, v60 dst_sel:DWORD dst_unused:UNUSED_PAD src0_sel:WORD_1 src1_sel:DWORD
	v_mul_u32_u24_sdwa v65, v14, v60 dst_sel:DWORD dst_unused:UNUSED_PAD src0_sel:WORD_0 src1_sel:DWORD
	v_mul_u32_u24_sdwa v14, v14, v60 dst_sel:DWORD dst_unused:UNUSED_PAD src0_sel:WORD_1 src1_sel:DWORD
	v_pk_fma_f16 v12, v20, v12, v71
	v_pk_fma_f16 v8, v21, v24, v8
	;; [unrolled: 1-line block ×8, first 2 shown]
	s_waitcnt lgkmcnt(1)
	v_mul_u32_u24_sdwa v24, v61, v60 dst_sel:DWORD dst_unused:UNUSED_PAD src0_sel:WORD_0 src1_sel:DWORD
	v_mul_u32_u24_sdwa v61, v61, v60 dst_sel:DWORD dst_unused:UNUSED_PAD src0_sel:WORD_1 src1_sel:DWORD
	v_pk_fma_f16 v65, v22, v14, v12
	v_mul_u32_u24_sdwa v69, v62, v60 dst_sel:DWORD dst_unused:UNUSED_PAD src0_sel:WORD_0 src1_sel:DWORD
	v_mul_u32_u24_sdwa v62, v62, v60 dst_sel:DWORD dst_unused:UNUSED_PAD src0_sel:WORD_1 src1_sel:DWORD
	ds_read_b128 v[11:14], v54 offset:768
	s_waitcnt lgkmcnt(1)
	v_pk_fma_f16 v8, v15, v24, v8
	v_pk_fma_f16 v70, v15, v61, v20
	;; [unrolled: 1-line block ×6, first 2 shown]
	ds_read2_b64 v[19:22], v66 offset1:32
	v_pk_fma_f16 v23, v16, v69, v23
	v_mul_u32_u24_sdwa v61, v63, v60 dst_sel:DWORD dst_unused:UNUSED_PAD src0_sel:WORD_0 src1_sel:DWORD
	v_mul_u32_u24_sdwa v63, v63, v60 dst_sel:DWORD dst_unused:UNUSED_PAD src0_sel:WORD_1 src1_sel:DWORD
	v_mul_u32_u24_sdwa v69, v64, v60 dst_sel:DWORD dst_unused:UNUSED_PAD src0_sel:WORD_0 src1_sel:DWORD
	v_mul_u32_u24_sdwa v71, v64, v60 dst_sel:DWORD dst_unused:UNUSED_PAD src0_sel:WORD_1 src1_sel:DWORD
	v_pk_fma_f16 v16, v16, v62, v65
	v_pk_fma_f16 v8, v17, v61, v8
	;; [unrolled: 1-line block ×8, first 2 shown]
	ds_read_b128 v[61:64], v54 offset:784
	s_waitcnt lgkmcnt(2)
	v_mul_u32_u24_sdwa v17, v11, v60 dst_sel:DWORD dst_unused:UNUSED_PAD src0_sel:WORD_0 src1_sel:DWORD
	v_mul_u32_u24_sdwa v11, v11, v60 dst_sel:DWORD dst_unused:UNUSED_PAD src0_sel:WORD_1 src1_sel:DWORD
	v_mul_u32_u24_sdwa v69, v12, v60 dst_sel:DWORD dst_unused:UNUSED_PAD src0_sel:WORD_0 src1_sel:DWORD
	v_mul_u32_u24_sdwa v12, v12, v60 dst_sel:DWORD dst_unused:UNUSED_PAD src0_sel:WORD_1 src1_sel:DWORD
	v_pk_fma_f16 v70, v18, v71, v16
	s_waitcnt lgkmcnt(1)
	v_pk_fma_f16 v8, v19, v17, v8
	v_pk_fma_f16 v65, v19, v11, v65
	;; [unrolled: 1-line block ×5, first 2 shown]
	ds_read2_b64 v[15:18], v66 offset0:64 offset1:96
	v_pk_fma_f16 v11, v20, v11, v24
	v_pk_fma_f16 v23, v20, v69, v23
	v_mul_u32_u24_sdwa v24, v13, v60 dst_sel:DWORD dst_unused:UNUSED_PAD src0_sel:WORD_0 src1_sel:DWORD
	v_mul_u32_u24_sdwa v13, v13, v60 dst_sel:DWORD dst_unused:UNUSED_PAD src0_sel:WORD_1 src1_sel:DWORD
	v_mul_u32_u24_sdwa v69, v14, v60 dst_sel:DWORD dst_unused:UNUSED_PAD src0_sel:WORD_0 src1_sel:DWORD
	v_mul_u32_u24_sdwa v14, v14, v60 dst_sel:DWORD dst_unused:UNUSED_PAD src0_sel:WORD_1 src1_sel:DWORD
	v_pk_fma_f16 v12, v20, v12, v70
	v_pk_fma_f16 v8, v21, v24, v8
	;; [unrolled: 1-line block ×8, first 2 shown]
	s_waitcnt lgkmcnt(1)
	v_mul_u32_u24_sdwa v24, v61, v60 dst_sel:DWORD dst_unused:UNUSED_PAD src0_sel:WORD_0 src1_sel:DWORD
	v_mul_u32_u24_sdwa v61, v61, v60 dst_sel:DWORD dst_unused:UNUSED_PAD src0_sel:WORD_1 src1_sel:DWORD
	v_pk_fma_f16 v68, v22, v14, v12
	v_mul_u32_u24_sdwa v69, v62, v60 dst_sel:DWORD dst_unused:UNUSED_PAD src0_sel:WORD_0 src1_sel:DWORD
	v_mul_u32_u24_sdwa v62, v62, v60 dst_sel:DWORD dst_unused:UNUSED_PAD src0_sel:WORD_1 src1_sel:DWORD
	ds_read_b128 v[11:14], v54 offset:800
	s_waitcnt lgkmcnt(1)
	v_pk_fma_f16 v8, v15, v24, v8
	v_pk_fma_f16 v70, v15, v61, v20
	;; [unrolled: 1-line block ×6, first 2 shown]
	ds_read2_b64 v[19:22], v66 offset0:128 offset1:160
	v_pk_fma_f16 v23, v16, v69, v23
	v_mul_u32_u24_sdwa v61, v63, v60 dst_sel:DWORD dst_unused:UNUSED_PAD src0_sel:WORD_0 src1_sel:DWORD
	v_mul_u32_u24_sdwa v63, v63, v60 dst_sel:DWORD dst_unused:UNUSED_PAD src0_sel:WORD_1 src1_sel:DWORD
	v_mul_u32_u24_sdwa v69, v64, v60 dst_sel:DWORD dst_unused:UNUSED_PAD src0_sel:WORD_0 src1_sel:DWORD
	v_mul_u32_u24_sdwa v71, v64, v60 dst_sel:DWORD dst_unused:UNUSED_PAD src0_sel:WORD_1 src1_sel:DWORD
	v_pk_fma_f16 v16, v16, v62, v68
	v_pk_fma_f16 v8, v17, v61, v8
	;; [unrolled: 1-line block ×8, first 2 shown]
	ds_read_b128 v[61:64], v54 offset:816
	s_waitcnt lgkmcnt(2)
	v_mul_u32_u24_sdwa v17, v11, v60 dst_sel:DWORD dst_unused:UNUSED_PAD src0_sel:WORD_0 src1_sel:DWORD
	v_mul_u32_u24_sdwa v11, v11, v60 dst_sel:DWORD dst_unused:UNUSED_PAD src0_sel:WORD_1 src1_sel:DWORD
	v_mul_u32_u24_sdwa v69, v12, v60 dst_sel:DWORD dst_unused:UNUSED_PAD src0_sel:WORD_0 src1_sel:DWORD
	v_mul_u32_u24_sdwa v12, v12, v60 dst_sel:DWORD dst_unused:UNUSED_PAD src0_sel:WORD_1 src1_sel:DWORD
	v_pk_fma_f16 v70, v18, v71, v16
	s_waitcnt lgkmcnt(1)
	v_pk_fma_f16 v8, v19, v17, v8
	v_pk_fma_f16 v68, v19, v11, v68
	;; [unrolled: 1-line block ×5, first 2 shown]
	ds_read2_b64 v[15:18], v66 offset0:192 offset1:224
	v_pk_fma_f16 v11, v20, v11, v24
	v_pk_fma_f16 v23, v20, v69, v23
	v_mul_u32_u24_sdwa v24, v13, v60 dst_sel:DWORD dst_unused:UNUSED_PAD src0_sel:WORD_0 src1_sel:DWORD
	v_mul_u32_u24_sdwa v13, v13, v60 dst_sel:DWORD dst_unused:UNUSED_PAD src0_sel:WORD_1 src1_sel:DWORD
	v_mul_u32_u24_sdwa v66, v14, v60 dst_sel:DWORD dst_unused:UNUSED_PAD src0_sel:WORD_0 src1_sel:DWORD
	v_mul_u32_u24_sdwa v14, v14, v60 dst_sel:DWORD dst_unused:UNUSED_PAD src0_sel:WORD_1 src1_sel:DWORD
	v_pk_fma_f16 v12, v20, v12, v70
	v_pk_fma_f16 v8, v21, v24, v8
	;; [unrolled: 1-line block ×8, first 2 shown]
	s_waitcnt lgkmcnt(1)
	v_mul_u32_u24_sdwa v24, v61, v60 dst_sel:DWORD dst_unused:UNUSED_PAD src0_sel:WORD_0 src1_sel:DWORD
	v_mul_u32_u24_sdwa v61, v61, v60 dst_sel:DWORD dst_unused:UNUSED_PAD src0_sel:WORD_1 src1_sel:DWORD
	v_pk_fma_f16 v66, v22, v14, v12
	v_mul_u32_u24_sdwa v68, v62, v60 dst_sel:DWORD dst_unused:UNUSED_PAD src0_sel:WORD_0 src1_sel:DWORD
	v_mul_u32_u24_sdwa v62, v62, v60 dst_sel:DWORD dst_unused:UNUSED_PAD src0_sel:WORD_1 src1_sel:DWORD
	ds_read_b128 v[11:14], v54 offset:832
	s_waitcnt lgkmcnt(1)
	v_pk_fma_f16 v8, v15, v24, v8
	v_pk_fma_f16 v69, v15, v61, v20
	;; [unrolled: 1-line block ×6, first 2 shown]
	ds_read2_b64 v[19:22], v67 offset1:32
	v_pk_fma_f16 v23, v16, v68, v23
	v_mul_u32_u24_sdwa v61, v63, v60 dst_sel:DWORD dst_unused:UNUSED_PAD src0_sel:WORD_0 src1_sel:DWORD
	v_mul_u32_u24_sdwa v63, v63, v60 dst_sel:DWORD dst_unused:UNUSED_PAD src0_sel:WORD_1 src1_sel:DWORD
	v_mul_u32_u24_sdwa v68, v64, v60 dst_sel:DWORD dst_unused:UNUSED_PAD src0_sel:WORD_0 src1_sel:DWORD
	v_mul_u32_u24_sdwa v70, v64, v60 dst_sel:DWORD dst_unused:UNUSED_PAD src0_sel:WORD_1 src1_sel:DWORD
	v_pk_fma_f16 v16, v16, v62, v66
	v_pk_fma_f16 v8, v17, v61, v8
	;; [unrolled: 1-line block ×8, first 2 shown]
	ds_read_b128 v[61:64], v54 offset:848
	s_waitcnt lgkmcnt(2)
	v_mul_u32_u24_sdwa v17, v11, v60 dst_sel:DWORD dst_unused:UNUSED_PAD src0_sel:WORD_0 src1_sel:DWORD
	v_mul_u32_u24_sdwa v11, v11, v60 dst_sel:DWORD dst_unused:UNUSED_PAD src0_sel:WORD_1 src1_sel:DWORD
	v_mul_u32_u24_sdwa v68, v12, v60 dst_sel:DWORD dst_unused:UNUSED_PAD src0_sel:WORD_0 src1_sel:DWORD
	v_mul_u32_u24_sdwa v12, v12, v60 dst_sel:DWORD dst_unused:UNUSED_PAD src0_sel:WORD_1 src1_sel:DWORD
	v_pk_fma_f16 v69, v18, v70, v16
	s_waitcnt lgkmcnt(1)
	v_pk_fma_f16 v8, v19, v17, v8
	v_pk_fma_f16 v66, v19, v11, v66
	;; [unrolled: 1-line block ×5, first 2 shown]
	ds_read2_b64 v[15:18], v67 offset0:64 offset1:96
	v_pk_fma_f16 v11, v20, v11, v24
	v_pk_fma_f16 v23, v20, v68, v23
	v_mul_u32_u24_sdwa v24, v13, v60 dst_sel:DWORD dst_unused:UNUSED_PAD src0_sel:WORD_0 src1_sel:DWORD
	v_mul_u32_u24_sdwa v13, v13, v60 dst_sel:DWORD dst_unused:UNUSED_PAD src0_sel:WORD_1 src1_sel:DWORD
	v_mul_u32_u24_sdwa v68, v14, v60 dst_sel:DWORD dst_unused:UNUSED_PAD src0_sel:WORD_0 src1_sel:DWORD
	v_mul_u32_u24_sdwa v14, v14, v60 dst_sel:DWORD dst_unused:UNUSED_PAD src0_sel:WORD_1 src1_sel:DWORD
	v_pk_fma_f16 v12, v20, v12, v69
	v_pk_fma_f16 v8, v21, v24, v8
	;; [unrolled: 1-line block ×8, first 2 shown]
	s_waitcnt lgkmcnt(1)
	v_mul_u32_u24_sdwa v24, v61, v60 dst_sel:DWORD dst_unused:UNUSED_PAD src0_sel:WORD_0 src1_sel:DWORD
	v_mul_u32_u24_sdwa v61, v61, v60 dst_sel:DWORD dst_unused:UNUSED_PAD src0_sel:WORD_1 src1_sel:DWORD
	v_pk_fma_f16 v66, v22, v14, v12
	v_mul_u32_u24_sdwa v68, v62, v60 dst_sel:DWORD dst_unused:UNUSED_PAD src0_sel:WORD_0 src1_sel:DWORD
	v_mul_u32_u24_sdwa v62, v62, v60 dst_sel:DWORD dst_unused:UNUSED_PAD src0_sel:WORD_1 src1_sel:DWORD
	ds_read_b128 v[11:14], v54 offset:864
	s_waitcnt lgkmcnt(1)
	v_pk_fma_f16 v8, v15, v24, v8
	v_pk_fma_f16 v69, v15, v61, v20
	;; [unrolled: 1-line block ×6, first 2 shown]
	ds_read2_b64 v[19:22], v67 offset0:128 offset1:160
	v_pk_fma_f16 v23, v16, v68, v23
	v_mul_u32_u24_sdwa v61, v63, v60 dst_sel:DWORD dst_unused:UNUSED_PAD src0_sel:WORD_0 src1_sel:DWORD
	v_mul_u32_u24_sdwa v63, v63, v60 dst_sel:DWORD dst_unused:UNUSED_PAD src0_sel:WORD_1 src1_sel:DWORD
	v_mul_u32_u24_sdwa v68, v64, v60 dst_sel:DWORD dst_unused:UNUSED_PAD src0_sel:WORD_0 src1_sel:DWORD
	v_mul_u32_u24_sdwa v70, v64, v60 dst_sel:DWORD dst_unused:UNUSED_PAD src0_sel:WORD_1 src1_sel:DWORD
	v_pk_fma_f16 v16, v16, v62, v66
	v_pk_fma_f16 v8, v17, v61, v8
	;; [unrolled: 1-line block ×8, first 2 shown]
	ds_read_b128 v[61:64], v54 offset:880
	s_waitcnt lgkmcnt(2)
	v_mul_u32_u24_sdwa v17, v11, v60 dst_sel:DWORD dst_unused:UNUSED_PAD src0_sel:WORD_0 src1_sel:DWORD
	v_mul_u32_u24_sdwa v11, v11, v60 dst_sel:DWORD dst_unused:UNUSED_PAD src0_sel:WORD_1 src1_sel:DWORD
	v_mul_u32_u24_sdwa v68, v12, v60 dst_sel:DWORD dst_unused:UNUSED_PAD src0_sel:WORD_0 src1_sel:DWORD
	v_mul_u32_u24_sdwa v12, v12, v60 dst_sel:DWORD dst_unused:UNUSED_PAD src0_sel:WORD_1 src1_sel:DWORD
	v_pk_fma_f16 v69, v18, v70, v16
	s_waitcnt lgkmcnt(1)
	v_pk_fma_f16 v8, v19, v17, v8
	v_pk_fma_f16 v66, v19, v11, v66
	;; [unrolled: 1-line block ×5, first 2 shown]
	ds_read2_b64 v[15:18], v67 offset0:192 offset1:224
	v_pk_fma_f16 v11, v20, v11, v24
	v_pk_fma_f16 v23, v20, v68, v23
	v_mul_u32_u24_sdwa v24, v13, v60 dst_sel:DWORD dst_unused:UNUSED_PAD src0_sel:WORD_0 src1_sel:DWORD
	v_mul_u32_u24_sdwa v13, v13, v60 dst_sel:DWORD dst_unused:UNUSED_PAD src0_sel:WORD_1 src1_sel:DWORD
	v_mul_u32_u24_sdwa v67, v14, v60 dst_sel:DWORD dst_unused:UNUSED_PAD src0_sel:WORD_0 src1_sel:DWORD
	v_mul_u32_u24_sdwa v14, v14, v60 dst_sel:DWORD dst_unused:UNUSED_PAD src0_sel:WORD_1 src1_sel:DWORD
	v_pk_fma_f16 v12, v20, v12, v69
	v_pk_fma_f16 v8, v21, v24, v8
	;; [unrolled: 1-line block ×8, first 2 shown]
	s_waitcnt lgkmcnt(1)
	v_mul_u32_u24_sdwa v24, v61, v60 dst_sel:DWORD dst_unused:UNUSED_PAD src0_sel:WORD_0 src1_sel:DWORD
	v_mul_u32_u24_sdwa v61, v61, v60 dst_sel:DWORD dst_unused:UNUSED_PAD src0_sel:WORD_1 src1_sel:DWORD
	v_pk_fma_f16 v66, v22, v14, v12
	v_mul_u32_u24_sdwa v67, v62, v60 dst_sel:DWORD dst_unused:UNUSED_PAD src0_sel:WORD_0 src1_sel:DWORD
	v_mul_u32_u24_sdwa v62, v62, v60 dst_sel:DWORD dst_unused:UNUSED_PAD src0_sel:WORD_1 src1_sel:DWORD
	ds_read_b128 v[11:14], v54 offset:896
	s_waitcnt lgkmcnt(1)
	v_pk_fma_f16 v8, v15, v24, v8
	v_pk_fma_f16 v68, v15, v61, v20
	;; [unrolled: 1-line block ×6, first 2 shown]
	ds_read2_b64 v[19:22], v10 offset1:32
	v_pk_fma_f16 v23, v16, v67, v23
	v_mul_u32_u24_sdwa v61, v63, v60 dst_sel:DWORD dst_unused:UNUSED_PAD src0_sel:WORD_0 src1_sel:DWORD
	v_mul_u32_u24_sdwa v63, v63, v60 dst_sel:DWORD dst_unused:UNUSED_PAD src0_sel:WORD_1 src1_sel:DWORD
	v_mul_u32_u24_sdwa v67, v64, v60 dst_sel:DWORD dst_unused:UNUSED_PAD src0_sel:WORD_0 src1_sel:DWORD
	v_mul_u32_u24_sdwa v69, v64, v60 dst_sel:DWORD dst_unused:UNUSED_PAD src0_sel:WORD_1 src1_sel:DWORD
	v_pk_fma_f16 v16, v16, v62, v66
	v_pk_fma_f16 v8, v17, v61, v8
	;; [unrolled: 1-line block ×8, first 2 shown]
	ds_read_b128 v[61:64], v54 offset:912
	s_waitcnt lgkmcnt(2)
	v_mul_u32_u24_sdwa v17, v11, v60 dst_sel:DWORD dst_unused:UNUSED_PAD src0_sel:WORD_0 src1_sel:DWORD
	v_mul_u32_u24_sdwa v11, v11, v60 dst_sel:DWORD dst_unused:UNUSED_PAD src0_sel:WORD_1 src1_sel:DWORD
	v_mul_u32_u24_sdwa v67, v12, v60 dst_sel:DWORD dst_unused:UNUSED_PAD src0_sel:WORD_0 src1_sel:DWORD
	v_mul_u32_u24_sdwa v12, v12, v60 dst_sel:DWORD dst_unused:UNUSED_PAD src0_sel:WORD_1 src1_sel:DWORD
	v_pk_fma_f16 v68, v18, v69, v16
	s_waitcnt lgkmcnt(1)
	v_pk_fma_f16 v8, v19, v17, v8
	v_pk_fma_f16 v66, v19, v11, v66
	;; [unrolled: 1-line block ×5, first 2 shown]
	ds_read2_b64 v[15:18], v10 offset0:64 offset1:96
	v_pk_fma_f16 v11, v20, v11, v24
	v_pk_fma_f16 v23, v20, v67, v23
	v_mul_u32_u24_sdwa v24, v13, v60 dst_sel:DWORD dst_unused:UNUSED_PAD src0_sel:WORD_0 src1_sel:DWORD
	v_mul_u32_u24_sdwa v13, v13, v60 dst_sel:DWORD dst_unused:UNUSED_PAD src0_sel:WORD_1 src1_sel:DWORD
	v_mul_u32_u24_sdwa v67, v14, v60 dst_sel:DWORD dst_unused:UNUSED_PAD src0_sel:WORD_0 src1_sel:DWORD
	v_mul_u32_u24_sdwa v14, v14, v60 dst_sel:DWORD dst_unused:UNUSED_PAD src0_sel:WORD_1 src1_sel:DWORD
	v_pk_fma_f16 v12, v20, v12, v68
	v_pk_fma_f16 v8, v21, v24, v8
	;; [unrolled: 1-line block ×8, first 2 shown]
	s_waitcnt lgkmcnt(1)
	v_mul_u32_u24_sdwa v24, v61, v60 dst_sel:DWORD dst_unused:UNUSED_PAD src0_sel:WORD_0 src1_sel:DWORD
	v_mul_u32_u24_sdwa v61, v61, v60 dst_sel:DWORD dst_unused:UNUSED_PAD src0_sel:WORD_1 src1_sel:DWORD
	v_pk_fma_f16 v66, v22, v14, v12
	v_mul_u32_u24_sdwa v67, v62, v60 dst_sel:DWORD dst_unused:UNUSED_PAD src0_sel:WORD_0 src1_sel:DWORD
	v_mul_u32_u24_sdwa v62, v62, v60 dst_sel:DWORD dst_unused:UNUSED_PAD src0_sel:WORD_1 src1_sel:DWORD
	ds_read_b128 v[11:14], v54 offset:928
	s_waitcnt lgkmcnt(1)
	v_pk_fma_f16 v8, v15, v24, v8
	v_pk_fma_f16 v68, v15, v61, v20
	;; [unrolled: 1-line block ×6, first 2 shown]
	ds_read2_b64 v[19:22], v10 offset0:128 offset1:160
	v_pk_fma_f16 v23, v16, v67, v23
	v_mul_u32_u24_sdwa v61, v63, v60 dst_sel:DWORD dst_unused:UNUSED_PAD src0_sel:WORD_0 src1_sel:DWORD
	v_mul_u32_u24_sdwa v63, v63, v60 dst_sel:DWORD dst_unused:UNUSED_PAD src0_sel:WORD_1 src1_sel:DWORD
	v_mul_u32_u24_sdwa v67, v64, v60 dst_sel:DWORD dst_unused:UNUSED_PAD src0_sel:WORD_0 src1_sel:DWORD
	v_mul_u32_u24_sdwa v69, v64, v60 dst_sel:DWORD dst_unused:UNUSED_PAD src0_sel:WORD_1 src1_sel:DWORD
	v_pk_fma_f16 v16, v16, v62, v66
	v_pk_fma_f16 v8, v17, v61, v8
	;; [unrolled: 1-line block ×8, first 2 shown]
	ds_read_b128 v[61:64], v54 offset:944
	s_waitcnt lgkmcnt(2)
	v_mul_u32_u24_sdwa v17, v11, v60 dst_sel:DWORD dst_unused:UNUSED_PAD src0_sel:WORD_0 src1_sel:DWORD
	v_mul_u32_u24_sdwa v11, v11, v60 dst_sel:DWORD dst_unused:UNUSED_PAD src0_sel:WORD_1 src1_sel:DWORD
	v_mul_u32_u24_sdwa v67, v12, v60 dst_sel:DWORD dst_unused:UNUSED_PAD src0_sel:WORD_0 src1_sel:DWORD
	v_mul_u32_u24_sdwa v12, v12, v60 dst_sel:DWORD dst_unused:UNUSED_PAD src0_sel:WORD_1 src1_sel:DWORD
	v_pk_fma_f16 v68, v18, v69, v16
	s_waitcnt lgkmcnt(1)
	v_pk_fma_f16 v8, v19, v17, v8
	v_pk_fma_f16 v66, v19, v11, v66
	;; [unrolled: 1-line block ×5, first 2 shown]
	ds_read2_b64 v[15:18], v10 offset0:192 offset1:224
	v_pk_fma_f16 v10, v20, v11, v24
	v_pk_fma_f16 v11, v20, v67, v23
	v_mul_u32_u24_sdwa v23, v13, v60 dst_sel:DWORD dst_unused:UNUSED_PAD src0_sel:WORD_0 src1_sel:DWORD
	v_mul_u32_u24_sdwa v13, v13, v60 dst_sel:DWORD dst_unused:UNUSED_PAD src0_sel:WORD_1 src1_sel:DWORD
	v_mul_u32_u24_sdwa v24, v14, v60 dst_sel:DWORD dst_unused:UNUSED_PAD src0_sel:WORD_0 src1_sel:DWORD
	v_mul_u32_u24_sdwa v14, v14, v60 dst_sel:DWORD dst_unused:UNUSED_PAD src0_sel:WORD_1 src1_sel:DWORD
	v_pk_fma_f16 v12, v20, v12, v68
	v_pk_fma_f16 v8, v21, v23, v8
	;; [unrolled: 1-line block ×8, first 2 shown]
	s_waitcnt lgkmcnt(1)
	v_mul_u32_u24_sdwa v24, v61, v60 dst_sel:DWORD dst_unused:UNUSED_PAD src0_sel:WORD_0 src1_sel:DWORD
	v_mul_u32_u24_sdwa v61, v61, v60 dst_sel:DWORD dst_unused:UNUSED_PAD src0_sel:WORD_1 src1_sel:DWORD
	v_pk_fma_f16 v14, v22, v14, v12
	v_mul_u32_u24_sdwa v66, v62, v60 dst_sel:DWORD dst_unused:UNUSED_PAD src0_sel:WORD_0 src1_sel:DWORD
	v_mul_u32_u24_sdwa v62, v62, v60 dst_sel:DWORD dst_unused:UNUSED_PAD src0_sel:WORD_1 src1_sel:DWORD
	ds_read_b128 v[10:13], v54 offset:960
	s_waitcnt lgkmcnt(1)
	v_pk_fma_f16 v8, v15, v24, v8
	v_pk_fma_f16 v67, v15, v61, v20
	;; [unrolled: 1-line block ×6, first 2 shown]
	ds_read2_b64 v[19:22], v9 offset1:32
	v_pk_fma_f16 v23, v16, v66, v23
	v_mul_u32_u24_sdwa v61, v63, v60 dst_sel:DWORD dst_unused:UNUSED_PAD src0_sel:WORD_0 src1_sel:DWORD
	v_mul_u32_u24_sdwa v63, v63, v60 dst_sel:DWORD dst_unused:UNUSED_PAD src0_sel:WORD_1 src1_sel:DWORD
	v_mul_u32_u24_sdwa v66, v64, v60 dst_sel:DWORD dst_unused:UNUSED_PAD src0_sel:WORD_0 src1_sel:DWORD
	v_mul_u32_u24_sdwa v64, v64, v60 dst_sel:DWORD dst_unused:UNUSED_PAD src0_sel:WORD_1 src1_sel:DWORD
	v_pk_fma_f16 v62, v16, v62, v14
	v_pk_fma_f16 v8, v17, v61, v8
	;; [unrolled: 1-line block ×6, first 2 shown]
	ds_read_b128 v[14:17], v54 offset:976
	s_waitcnt lgkmcnt(2)
	v_mul_u32_u24_sdwa v61, v10, v60 dst_sel:DWORD dst_unused:UNUSED_PAD src0_sel:WORD_0 src1_sel:DWORD
	v_pk_fma_f16 v24, v18, v63, v24
	v_pk_fma_f16 v23, v18, v66, v23
	;; [unrolled: 1-line block ×3, first 2 shown]
	v_mul_u32_u24_sdwa v10, v10, v60 dst_sel:DWORD dst_unused:UNUSED_PAD src0_sel:WORD_1 src1_sel:DWORD
	v_mul_u32_u24_sdwa v66, v11, v60 dst_sel:DWORD dst_unused:UNUSED_PAD src0_sel:WORD_0 src1_sel:DWORD
	v_mul_u32_u24_sdwa v11, v11, v60 dst_sel:DWORD dst_unused:UNUSED_PAD src0_sel:WORD_1 src1_sel:DWORD
	s_waitcnt lgkmcnt(1)
	v_pk_fma_f16 v8, v19, v61, v8
	v_pk_fma_f16 v7, v20, v61, v7
	ds_read2_b64 v[61:64], v9 offset0:64 offset1:96
	v_pk_fma_f16 v67, v19, v10, v67
	v_pk_fma_f16 v65, v19, v66, v65
	;; [unrolled: 1-line block ×5, first 2 shown]
	v_mul_u32_u24_sdwa v24, v12, v60 dst_sel:DWORD dst_unused:UNUSED_PAD src0_sel:WORD_0 src1_sel:DWORD
	v_mul_u32_u24_sdwa v12, v12, v60 dst_sel:DWORD dst_unused:UNUSED_PAD src0_sel:WORD_1 src1_sel:DWORD
	v_mul_u32_u24_sdwa v66, v13, v60 dst_sel:DWORD dst_unused:UNUSED_PAD src0_sel:WORD_0 src1_sel:DWORD
	v_mul_u32_u24_sdwa v13, v13, v60 dst_sel:DWORD dst_unused:UNUSED_PAD src0_sel:WORD_1 src1_sel:DWORD
	v_pk_fma_f16 v11, v20, v11, v18
	v_pk_fma_f16 v8, v21, v24, v8
	;; [unrolled: 1-line block ×8, first 2 shown]
	s_waitcnt lgkmcnt(1)
	v_mul_u32_u24_sdwa v24, v14, v60 dst_sel:DWORD dst_unused:UNUSED_PAD src0_sel:WORD_0 src1_sel:DWORD
	v_mul_u32_u24_sdwa v14, v14, v60 dst_sel:DWORD dst_unused:UNUSED_PAD src0_sel:WORD_1 src1_sel:DWORD
	v_pk_fma_f16 v22, v22, v13, v11
	v_mul_u32_u24_sdwa v65, v15, v60 dst_sel:DWORD dst_unused:UNUSED_PAD src0_sel:WORD_0 src1_sel:DWORD
	v_mul_u32_u24_sdwa v15, v15, v60 dst_sel:DWORD dst_unused:UNUSED_PAD src0_sel:WORD_1 src1_sel:DWORD
	ds_read_b128 v[10:13], v54 offset:992
	s_waitcnt lgkmcnt(1)
	v_pk_fma_f16 v8, v61, v24, v8
	v_pk_fma_f16 v66, v61, v14, v18
	;; [unrolled: 1-line block ×5, first 2 shown]
	ds_read2_b64 v[18:21], v9 offset0:128 offset1:160
	v_pk_fma_f16 v7, v62, v24, v7
	v_pk_fma_f16 v23, v62, v65, v23
	v_mul_u32_u24_sdwa v24, v16, v60 dst_sel:DWORD dst_unused:UNUSED_PAD src0_sel:WORD_0 src1_sel:DWORD
	v_mul_u32_u24_sdwa v16, v16, v60 dst_sel:DWORD dst_unused:UNUSED_PAD src0_sel:WORD_1 src1_sel:DWORD
	v_mul_u32_u24_sdwa v65, v17, v60 dst_sel:DWORD dst_unused:UNUSED_PAD src0_sel:WORD_0 src1_sel:DWORD
	v_mul_u32_u24_sdwa v68, v17, v60 dst_sel:DWORD dst_unused:UNUSED_PAD src0_sel:WORD_1 src1_sel:DWORD
	v_pk_fma_f16 v22, v62, v15, v22
	v_pk_fma_f16 v8, v63, v24, v8
	;; [unrolled: 1-line block ×8, first 2 shown]
	ds_read_b128 v[14:17], v54 offset:1008
	s_waitcnt lgkmcnt(2)
	v_mul_u32_u24_sdwa v63, v10, v60 dst_sel:DWORD dst_unused:UNUSED_PAD src0_sel:WORD_0 src1_sel:DWORD
	v_mul_u32_u24_sdwa v10, v10, v60 dst_sel:DWORD dst_unused:UNUSED_PAD src0_sel:WORD_1 src1_sel:DWORD
	v_mul_u32_u24_sdwa v65, v11, v60 dst_sel:DWORD dst_unused:UNUSED_PAD src0_sel:WORD_0 src1_sel:DWORD
	v_mul_u32_u24_sdwa v11, v11, v60 dst_sel:DWORD dst_unused:UNUSED_PAD src0_sel:WORD_1 src1_sel:DWORD
	v_pk_fma_f16 v22, v64, v68, v22
	s_waitcnt lgkmcnt(1)
	v_pk_fma_f16 v64, v18, v63, v8
	v_pk_fma_f16 v62, v18, v10, v62
	;; [unrolled: 1-line block ×6, first 2 shown]
	ds_read2_b64 v[7:10], v9 offset0:192 offset1:224
	s_waitcnt lgkmcnt(0)
	s_barrier
	buffer_gl0_inv
	s_load_dword s18, s[0:1], 0x4
	v_pk_fma_f16 v23, v19, v65, v23
	v_mul_u32_u24_sdwa v63, v12, v60 dst_sel:DWORD dst_unused:UNUSED_PAD src0_sel:WORD_0 src1_sel:DWORD
	v_mul_u32_u24_sdwa v12, v12, v60 dst_sel:DWORD dst_unused:UNUSED_PAD src0_sel:WORD_1 src1_sel:DWORD
	v_mul_u32_u24_sdwa v65, v13, v60 dst_sel:DWORD dst_unused:UNUSED_PAD src0_sel:WORD_0 src1_sel:DWORD
	v_mul_u32_u24_sdwa v13, v13, v60 dst_sel:DWORD dst_unused:UNUSED_PAD src0_sel:WORD_1 src1_sel:DWORD
	v_pk_fma_f16 v11, v19, v11, v22
	v_pk_fma_f16 v19, v20, v63, v64
	;; [unrolled: 1-line block ×9, first 2 shown]
	v_mul_u32_u24_sdwa v13, v14, v60 dst_sel:DWORD dst_unused:UNUSED_PAD src0_sel:WORD_0 src1_sel:DWORD
	v_mul_u32_u24_sdwa v14, v14, v60 dst_sel:DWORD dst_unused:UNUSED_PAD src0_sel:WORD_1 src1_sel:DWORD
	v_mul_u32_u24_sdwa v21, v15, v60 dst_sel:DWORD dst_unused:UNUSED_PAD src0_sel:WORD_0 src1_sel:DWORD
	v_mul_u32_u24_sdwa v15, v15, v60 dst_sel:DWORD dst_unused:UNUSED_PAD src0_sel:WORD_1 src1_sel:DWORD
	v_pk_fma_f16 v19, v7, v13, v19
	v_pk_fma_f16 v22, v7, v14, v22
	;; [unrolled: 1-line block ×7, first 2 shown]
	v_mul_u32_u24_sdwa v18, v16, v60 dst_sel:DWORD dst_unused:UNUSED_PAD src0_sel:WORD_0 src1_sel:DWORD
	v_mul_u32_u24_sdwa v16, v16, v60 dst_sel:DWORD dst_unused:UNUSED_PAD src0_sel:WORD_1 src1_sel:DWORD
	v_mul_u32_u24_sdwa v20, v17, v60 dst_sel:DWORD dst_unused:UNUSED_PAD src0_sel:WORD_0 src1_sel:DWORD
	v_mul_u32_u24_sdwa v17, v17, v60 dst_sel:DWORD dst_unused:UNUSED_PAD src0_sel:WORD_1 src1_sel:DWORD
	v_pk_fma_f16 v8, v8, v15, v11
	s_waitcnt lgkmcnt(0)
	s_lshl_b32 s18, s18, 7
	v_pk_fma_f16 v65, v9, v18, v19
	v_pk_fma_f16 v63, v9, v16, v22
	;; [unrolled: 1-line block ×8, first 2 shown]
	s_add_i32 s6, s18, s6
	s_cmp_ge_i32 s6, s34
	s_cbranch_scc1 .LBB76_75
; %bb.74:                               ;   in Loop: Header=BB76_9 Depth=1
	v_mov_b32_e32 v9, v1
	v_mov_b32_e32 v70, v2
	;; [unrolled: 1-line block ×8, first 2 shown]
	s_branch .LBB76_9
.LBB76_75:
	v_mov_b32_e32 v7, v46
.LBB76_76:
	v_cmp_lt_i32_e32 vcc_lo, v76, v47
	s_cmp_lg_u64 s[16:17], 0
	s_cselect_b32 s0, -1, 0
	s_cmp_eq_u32 s28, 0
	v_cndmask_b32_e32 v8, v7, v76, vcc_lo
	v_cmp_lt_i32_e32 vcc_lo, v75, v47
	s_cselect_b32 s1, -1, 0
	s_and_b32 s0, s1, s0
	v_lshlrev_b32_e32 v8, 2, v8
	v_cndmask_b32_e32 v12, v7, v75, vcc_lo
	v_cmp_lt_i32_e32 vcc_lo, v74, v47
	ds_bpermute_b32 v9, v8, v77
	ds_bpermute_b32 v10, v8, v78
	;; [unrolled: 1-line block ×4, first 2 shown]
	v_lshlrev_b32_e32 v12, 2, v12
	v_cndmask_b32_e32 v14, v7, v74, vcc_lo
	v_cmp_lt_i32_e32 vcc_lo, v73, v47
	v_lshlrev_b32_e32 v14, 2, v14
	s_waitcnt lgkmcnt(3)
	v_add_f32_e32 v9, v77, v9
	s_waitcnt lgkmcnt(2)
	v_add_f32_e32 v10, v78, v10
	;; [unrolled: 2-line block ×4, first 2 shown]
	ds_bpermute_b32 v8, v12, v9
	ds_bpermute_b32 v11, v12, v10
	;; [unrolled: 1-line block ×4, first 2 shown]
	s_waitcnt lgkmcnt(3)
	v_add_f32_e32 v8, v9, v8
	s_waitcnt lgkmcnt(2)
	v_add_f32_e32 v9, v10, v11
	;; [unrolled: 2-line block ×4, first 2 shown]
	ds_bpermute_b32 v10, v14, v8
	ds_bpermute_b32 v11, v14, v9
	;; [unrolled: 1-line block ×4, first 2 shown]
	v_cndmask_b32_e32 v14, v7, v73, vcc_lo
	v_cmp_lt_i32_e32 vcc_lo, v72, v47
	v_lshlrev_b32_e32 v14, 2, v14
	v_cndmask_b32_e32 v7, v7, v72, vcc_lo
	s_and_b32 vcc_lo, exec_lo, s0
	v_lshlrev_b32_e32 v7, 2, v7
	s_waitcnt lgkmcnt(3)
	v_add_f32_e32 v8, v8, v10
	s_waitcnt lgkmcnt(2)
	v_add_f32_e32 v9, v9, v11
	;; [unrolled: 2-line block ×4, first 2 shown]
	ds_bpermute_b32 v10, v14, v8
	ds_bpermute_b32 v11, v14, v9
	;; [unrolled: 1-line block ×4, first 2 shown]
	s_waitcnt lgkmcnt(3)
	v_add_f32_e32 v8, v8, v10
	s_waitcnt lgkmcnt(2)
	v_add_f32_e32 v9, v9, v11
	;; [unrolled: 2-line block ×4, first 2 shown]
	ds_bpermute_b32 v5, v7, v8
	ds_bpermute_b32 v6, v7, v9
	;; [unrolled: 1-line block ×4, first 2 shown]
	s_waitcnt lgkmcnt(3)
	v_add_f32_e32 v5, v8, v5
	s_waitcnt lgkmcnt(2)
	v_add_f32_e32 v6, v9, v6
	;; [unrolled: 2-line block ×4, first 2 shown]
	s_cbranch_vccz .LBB76_79
; %bb.77:
	s_ashr_i32 s31, s30, 31
	v_mov_b32_e32 v9, 0
	s_lshl_b64 s[0:1], s[30:31], 2
	v_max_f32_e32 v13, v1, v1
	s_add_u32 s0, s16, s0
	s_addc_u32 s1, s17, s1
	v_max_f32_e32 v14, v2, v2
	global_load_dwordx4 v[9:12], v9, s[0:1]
	v_max_f32_e32 v15, v3, v3
	v_max_f32_e32 v17, v4, v4
	v_mov_b32_e32 v26, 0x10001
	s_waitcnt vmcnt(0)
	v_max_f32_e32 v16, v9, v9
	v_max_f32_e32 v18, v10, v10
	;; [unrolled: 1-line block ×8, first 2 shown]
	v_sub_f32_e32 v17, v1, v13
	v_sub_f32_e32 v18, v2, v14
	;; [unrolled: 1-line block ×4, first 2 shown]
	v_mov_b32_e32 v1, v13
	v_sub_f32_e32 v9, v9, v13
	v_mov_b32_e32 v2, v14
	v_mov_b32_e32 v3, v15
	;; [unrolled: 1-line block ×3, first 2 shown]
	v_mul_f32_e32 v13, 0x3fb8aa3b, v17
	v_sub_f32_e32 v10, v10, v14
	v_mul_f32_e32 v14, 0x3fb8aa3b, v9
	v_sub_f32_e32 v11, v11, v15
	v_mul_f32_e32 v15, 0x3fb8aa3b, v18
	v_fma_f32 v31, 0x3fb8aa3b, v17, -v13
	v_rndne_f32_e32 v32, v13
	v_fma_f32 v33, 0x3fb8aa3b, v9, -v14
	v_rndne_f32_e32 v34, v14
	v_sub_f32_e32 v12, v12, v16
	v_fmac_f32_e32 v31, 0x32a5705f, v17
	v_sub_f32_e32 v13, v13, v32
	v_mul_f32_e32 v16, 0x3fb8aa3b, v10
	v_fma_f32 v35, 0x3fb8aa3b, v18, -v15
	v_rndne_f32_e32 v36, v15
	v_fmac_f32_e32 v33, 0x32a5705f, v9
	v_sub_f32_e32 v14, v14, v34
	v_add_f32_e32 v13, v13, v31
	v_mul_f32_e32 v27, 0x3fb8aa3b, v19
	v_fma_f32 v37, 0x3fb8aa3b, v10, -v16
	v_rndne_f32_e32 v38, v16
	v_fmac_f32_e32 v35, 0x32a5705f, v18
	v_sub_f32_e32 v15, v15, v36
	v_add_f32_e32 v14, v14, v33
	v_exp_f32_e32 v13, v13
	v_mul_f32_e32 v28, 0x3fb8aa3b, v11
	v_fma_f32 v39, 0x3fb8aa3b, v19, -v27
	v_rndne_f32_e32 v40, v27
	v_cvt_i32_f32_e32 v32, v32
	v_fmac_f32_e32 v37, 0x32a5705f, v10
	v_sub_f32_e32 v16, v16, v38
	v_add_f32_e32 v15, v15, v35
	v_exp_f32_e32 v14, v14
	v_mul_f32_e32 v29, 0x3fb8aa3b, v20
	v_fma_f32 v41, 0x3fb8aa3b, v11, -v28
	v_rndne_f32_e32 v42, v28
	v_cvt_i32_f32_e32 v34, v34
	v_fmac_f32_e32 v39, 0x32a5705f, v19
	v_sub_f32_e32 v27, v27, v40
	v_add_f32_e32 v16, v16, v37
	v_exp_f32_e32 v15, v15
	v_ldexp_f32 v13, v13, v32
	v_cmp_ngt_f32_e32 vcc_lo, 0xc2ce8ed0, v17
	v_mul_f32_e32 v30, 0x3fb8aa3b, v12
	v_fma_f32 v44, 0x3fb8aa3b, v20, -v29
	v_rndne_f32_e32 v45, v29
	v_cvt_i32_f32_e32 v36, v36
	v_fmac_f32_e32 v41, 0x32a5705f, v11
	v_sub_f32_e32 v28, v28, v42
	v_add_f32_e32 v27, v27, v39
	v_exp_f32_e32 v16, v16
	v_ldexp_f32 v14, v14, v34
	v_cndmask_b32_e32 v13, 0, v13, vcc_lo
	v_cmp_ngt_f32_e32 vcc_lo, 0xc2ce8ed0, v9
	v_fma_f32 v46, 0x3fb8aa3b, v12, -v30
	v_rndne_f32_e32 v47, v30
	v_cvt_i32_f32_e32 v38, v38
	v_fmac_f32_e32 v44, 0x32a5705f, v20
	v_sub_f32_e32 v29, v29, v45
	v_add_f32_e32 v28, v28, v41
	v_exp_f32_e32 v27, v27
	v_ldexp_f32 v15, v15, v36
	v_cndmask_b32_e32 v14, 0, v14, vcc_lo
	v_cmp_ngt_f32_e32 vcc_lo, 0xc2ce8ed0, v18
	v_cvt_i32_f32_e32 v40, v40
	v_fmac_f32_e32 v46, 0x32a5705f, v12
	v_sub_f32_e32 v30, v30, v47
	v_add_f32_e32 v29, v29, v44
	v_exp_f32_e32 v28, v28
	v_ldexp_f32 v16, v16, v38
	v_cndmask_b32_e32 v15, 0, v15, vcc_lo
	v_cmp_ngt_f32_e32 vcc_lo, 0xc2ce8ed0, v10
	v_cvt_i32_f32_e32 v42, v42
	v_add_f32_e32 v30, v30, v46
	v_exp_f32_e32 v29, v29
	v_ldexp_f32 v27, v27, v40
	v_cndmask_b32_e32 v16, 0, v16, vcc_lo
	v_cmp_ngt_f32_e32 vcc_lo, 0xc2ce8ed0, v19
	v_exp_f32_e32 v30, v30
	v_cvt_i32_f32_e32 v31, v45
	v_ldexp_f32 v28, v28, v42
	v_cvt_i32_f32_e32 v33, v47
	v_cndmask_b32_e32 v27, 0, v27, vcc_lo
	v_cmp_ngt_f32_e32 vcc_lo, 0xc2ce8ed0, v11
	v_ldexp_f32 v29, v29, v31
	v_cndmask_b32_e32 v28, 0, v28, vcc_lo
	v_cmp_ngt_f32_e32 vcc_lo, 0xc2ce8ed0, v20
	v_ldexp_f32 v30, v30, v33
	v_cndmask_b32_e32 v29, 0, v29, vcc_lo
	v_cmp_ngt_f32_e32 vcc_lo, 0xc2ce8ed0, v12
	v_cndmask_b32_e32 v30, 0, v30, vcc_lo
	v_cmp_nlt_f32_e32 vcc_lo, 0x42b17218, v17
	v_cndmask_b32_e32 v13, 0x7f800000, v13, vcc_lo
	v_cmp_nlt_f32_e32 vcc_lo, 0x42b17218, v9
	;; [unrolled: 2-line block ×3, first 2 shown]
	v_fmac_f32_e32 v9, v5, v13
	v_cndmask_b32_e32 v14, 0x7f800000, v15, vcc_lo
	v_cmp_nlt_f32_e32 vcc_lo, 0x42b17218, v10
	v_cvt_f16_f32_e32 v5, v13
	v_cndmask_b32_e32 v10, 0x7f800000, v16, vcc_lo
	v_cmp_nlt_f32_e32 vcc_lo, 0x42b17218, v19
	v_fmac_f32_e32 v10, v6, v14
	v_cndmask_b32_e32 v15, 0x7f800000, v27, vcc_lo
	v_cmp_nlt_f32_e32 vcc_lo, 0x42b17218, v11
	v_cvt_f16_f32_e32 v6, v14
	v_cndmask_b32_e32 v11, 0x7f800000, v28, vcc_lo
	v_cmp_nlt_f32_e32 vcc_lo, 0x42b17218, v20
	v_mul_u32_u24_sdwa v14, v6, v26 dst_sel:DWORD dst_unused:UNUSED_PAD src0_sel:WORD_0 src1_sel:DWORD
	v_mov_b32_e32 v6, v10
	v_fmac_f32_e32 v11, v7, v15
	v_cndmask_b32_e32 v16, 0x7f800000, v29, vcc_lo
	v_cmp_nlt_f32_e32 vcc_lo, 0x42b17218, v12
	v_cvt_f16_f32_e32 v7, v15
	v_pk_mul_f16 v63, v63, v14
	v_pk_mul_f16 v64, v64, v14
	v_cvt_f16_f32_e32 v13, v16
	v_cndmask_b32_e32 v12, 0x7f800000, v30, vcc_lo
	v_mul_u32_u24_sdwa v15, v7, v26 dst_sel:DWORD dst_unused:UNUSED_PAD src0_sel:WORD_0 src1_sel:DWORD
	v_mov_b32_e32 v7, v11
	v_mul_u32_u24_sdwa v13, v13, v26 dst_sel:DWORD dst_unused:UNUSED_PAD src0_sel:WORD_0 src1_sel:DWORD
	v_fmac_f32_e32 v12, v8, v16
	v_mul_u32_u24_sdwa v8, v5, v26 dst_sel:DWORD dst_unused:UNUSED_PAD src0_sel:WORD_0 src1_sel:DWORD
	v_mov_b32_e32 v5, v9
	v_pk_mul_f16 v23, v23, v15
	v_pk_mul_f16 v24, v24, v15
	;; [unrolled: 1-line block ×6, first 2 shown]
	v_mov_b32_e32 v8, v12
	s_mov_b32 s0, exec_lo
	v_cmpx_gt_i32_e64 s2, v25
	s_cbranch_execnz .LBB76_80
.LBB76_78:
	s_endpgm
.LBB76_79:
	v_mov_b32_e32 v12, v8
	v_mov_b32_e32 v11, v7
	;; [unrolled: 1-line block ×4, first 2 shown]
	s_mov_b32 s0, exec_lo
	v_cmpx_gt_i32_e64 s2, v25
	s_cbranch_execz .LBB76_78
.LBB76_80:
	s_load_dword s1, s[4:5], 0xd4
	v_mov_b32_e32 v15, 1.0
	s_waitcnt lgkmcnt(0)
	s_cmp_lg_u32 s1, 1
	s_cselect_b32 s5, -1, 0
	s_cmp_eq_u32 s1, 1
	s_cselect_b32 s4, -1, 0
	s_and_b32 vcc_lo, exec_lo, s5
	s_cbranch_vccnz .LBB76_82
; %bb.81:
	v_div_scale_f32 v13, null, v5, v5, 1.0
	v_rcp_f32_e32 v14, v13
	v_fma_f32 v15, -v13, v14, 1.0
	v_fmac_f32_e32 v14, v15, v14
	v_div_scale_f32 v15, vcc_lo, 1.0, v5, 1.0
	v_mul_f32_e32 v16, v15, v14
	v_fma_f32 v17, -v13, v16, v15
	v_fmac_f32_e32 v16, v17, v14
	v_fma_f32 v13, -v13, v16, v15
	v_div_fmas_f32 v13, v13, v14, v16
	v_div_fixup_f32 v15, v13, v5, 1.0
.LBB76_82:
	v_mad_u64_u32 v[13:14], null, s7, s2, v[25:26]
	v_mov_b32_e32 v17, 0
	v_cmp_eq_u32_e32 vcc_lo, 0, v0
	v_cvt_f32_f16_e32 v0, v65
	v_cvt_f32_f16_sdwa v5, v65 dst_sel:DWORD dst_unused:UNUSED_PAD src0_sel:WORD_1
	v_cvt_f32_f16_sdwa v19, v66 dst_sel:DWORD dst_unused:UNUSED_PAD src0_sel:WORD_1
	v_mad_u64_u32 v[13:14], null, v13, s3, s[30:31]
	v_mul_f32_e32 v19, v15, v19
	v_mad_u64_u32 v[13:14], null, s1, v13, s[28:29]
	v_cvt_f32_f16_e32 v14, v66
	v_mul_f32_e32 v18, v15, v14
	v_lshl_add_u32 v16, v13, 7, v43
	v_lshlrev_b64 v[25:26], 2, v[16:17]
	v_mul_f32_e32 v16, v15, v0
	v_mul_f32_e32 v17, v15, v5
	v_add_co_u32 v14, s0, s20, v25
	v_add_co_ci_u32_e64 v15, null, s21, v26, s0
	s_and_b32 s0, vcc_lo, s5
	global_store_dwordx4 v[14:15], v[16:19], off
	s_and_saveexec_b32 s2, s0
	s_cbranch_execz .LBB76_84
; %bb.83:
	v_ashrrev_i32_e32 v14, 31, v13
	v_mov_b32_e32 v0, v1
	v_mov_b32_e32 v1, v9
	v_lshlrev_b64 v[14:15], 3, v[13:14]
	v_add_co_u32 v14, vcc_lo, s22, v14
	v_add_co_ci_u32_e64 v15, null, s23, v15, vcc_lo
	global_store_dwordx2 v[14:15], v[0:1], off
.LBB76_84:
	s_or_b32 exec_lo, exec_lo, s2
	v_cndmask_b32_e64 v5, 0, 1, s4
	v_mov_b32_e32 v1, 1.0
	s_andn2_b32 vcc_lo, exec_lo, s4
	s_cbranch_vccnz .LBB76_86
; %bb.85:
	v_div_scale_f32 v0, null, v6, v6, 1.0
	v_rcp_f32_e32 v1, v0
	v_fma_f32 v9, -v0, v1, 1.0
	v_fmac_f32_e32 v1, v9, v1
	v_div_scale_f32 v9, vcc_lo, 1.0, v6, 1.0
	v_mul_f32_e32 v14, v9, v1
	v_fma_f32 v15, -v0, v14, v9
	v_fmac_f32_e32 v14, v15, v1
	v_fma_f32 v0, -v0, v14, v9
	v_div_fmas_f32 v0, v0, v1, v14
	v_div_fixup_f32 v1, v0, v6, 1.0
.LBB76_86:
	v_add_nc_u32_e32 v0, s1, v13
	v_mov_b32_e32 v14, 0
	v_cvt_f32_f16_e32 v6, v63
	v_cvt_f32_f16_sdwa v9, v63 dst_sel:DWORD dst_unused:UNUSED_PAD src0_sel:WORD_1
	v_cvt_f32_f16_e32 v15, v64
	v_lshl_add_u32 v13, v0, 7, v43
	v_cvt_f32_f16_sdwa v16, v64 dst_sel:DWORD dst_unused:UNUSED_PAD src0_sel:WORD_1
	v_mul_f32_e32 v15, v1, v15
	v_lshlrev_b64 v[17:18], 2, v[13:14]
	v_mul_f32_e32 v13, v1, v6
	v_mul_f32_e32 v14, v1, v9
	;; [unrolled: 1-line block ×3, first 2 shown]
	v_add_co_u32 v17, vcc_lo, s20, v17
	v_add_co_ci_u32_e64 v18, null, s21, v18, vcc_lo
	global_store_dwordx4 v[17:18], v[13:16], off
	s_and_saveexec_b32 s2, s0
	s_cbranch_execz .LBB76_88
; %bb.87:
	v_ashrrev_i32_e32 v1, 31, v0
	v_mov_b32_e32 v9, v2
	v_lshlrev_b64 v[13:14], 3, v[0:1]
	v_add_co_u32 v13, vcc_lo, s22, v13
	v_add_co_ci_u32_e64 v14, null, s23, v14, vcc_lo
	global_store_dwordx2 v[13:14], v[9:10], off
.LBB76_88:
	s_or_b32 exec_lo, exec_lo, s2
	v_cmp_ne_u32_e32 vcc_lo, 1, v5
	v_mov_b32_e32 v1, 1.0
	s_cbranch_vccnz .LBB76_90
; %bb.89:
	v_div_scale_f32 v1, null, v7, v7, 1.0
	v_rcp_f32_e32 v2, v1
	v_fma_f32 v6, -v1, v2, 1.0
	v_fmac_f32_e32 v2, v6, v2
	v_div_scale_f32 v6, vcc_lo, 1.0, v7, 1.0
	v_mul_f32_e32 v9, v6, v2
	v_fma_f32 v10, -v1, v9, v6
	v_fmac_f32_e32 v9, v10, v2
	v_fma_f32 v1, -v1, v9, v6
	v_div_fmas_f32 v1, v1, v2, v9
	v_div_fixup_f32 v1, v1, v7, 1.0
.LBB76_90:
	v_add_nc_u32_e32 v0, s1, v0
	v_mov_b32_e32 v7, 0
	v_cvt_f32_f16_e32 v2, v23
	v_cvt_f32_f16_sdwa v9, v23 dst_sel:DWORD dst_unused:UNUSED_PAD src0_sel:WORD_1
	v_cvt_f32_f16_e32 v10, v24
	v_lshl_add_u32 v6, v0, 7, v43
	v_cvt_f32_f16_sdwa v16, v24 dst_sel:DWORD dst_unused:UNUSED_PAD src0_sel:WORD_1
	v_mul_f32_e32 v13, v1, v2
	v_mul_f32_e32 v14, v1, v9
	;; [unrolled: 1-line block ×3, first 2 shown]
	v_lshlrev_b64 v[6:7], 2, v[6:7]
	v_mul_f32_e32 v16, v1, v16
	v_add_co_u32 v1, vcc_lo, s20, v6
	v_add_co_ci_u32_e64 v2, null, s21, v7, vcc_lo
	global_store_dwordx4 v[1:2], v[13:16], off
	s_and_saveexec_b32 s2, s0
	s_cbranch_execz .LBB76_92
; %bb.91:
	v_ashrrev_i32_e32 v1, 31, v0
	v_mov_b32_e32 v10, v3
	v_lshlrev_b64 v[1:2], 3, v[0:1]
	v_add_co_u32 v1, vcc_lo, s22, v1
	v_add_co_ci_u32_e64 v2, null, s23, v2, vcc_lo
	global_store_dwordx2 v[1:2], v[10:11], off
.LBB76_92:
	s_or_b32 exec_lo, exec_lo, s2
	v_cmp_ne_u32_e32 vcc_lo, 1, v5
	v_mov_b32_e32 v1, 1.0
	s_cbranch_vccnz .LBB76_94
; %bb.93:
	v_div_scale_f32 v1, null, v8, v8, 1.0
	v_rcp_f32_e32 v2, v1
	v_fma_f32 v3, -v1, v2, 1.0
	v_fmac_f32_e32 v2, v3, v2
	v_div_scale_f32 v3, vcc_lo, 1.0, v8, 1.0
	v_mul_f32_e32 v5, v3, v2
	v_fma_f32 v6, -v1, v5, v3
	v_fmac_f32_e32 v5, v6, v2
	v_fma_f32 v1, -v1, v5, v3
	v_div_fmas_f32 v1, v1, v2, v5
	v_div_fixup_f32 v1, v1, v8, 1.0
.LBB76_94:
	v_add_nc_u32_e32 v0, s1, v0
	v_mov_b32_e32 v3, 0
	v_cvt_f32_f16_e32 v5, v22
	v_cvt_f32_f16_sdwa v6, v22 dst_sel:DWORD dst_unused:UNUSED_PAD src0_sel:WORD_1
	v_cvt_f32_f16_e32 v7, v21
	v_lshl_add_u32 v2, v0, 7, v43
	v_cvt_f32_f16_sdwa v8, v21 dst_sel:DWORD dst_unused:UNUSED_PAD src0_sel:WORD_1
	v_mul_f32_e32 v5, v1, v5
	v_mul_f32_e32 v6, v1, v6
	;; [unrolled: 1-line block ×3, first 2 shown]
	v_lshlrev_b64 v[2:3], 2, v[2:3]
	v_mul_f32_e32 v8, v1, v8
	v_add_co_u32 v1, vcc_lo, s20, v2
	v_add_co_ci_u32_e64 v2, null, s21, v3, vcc_lo
	global_store_dwordx4 v[1:2], v[5:8], off
	s_and_b32 exec_lo, exec_lo, s0
	s_cbranch_execz .LBB76_78
; %bb.95:
	v_ashrrev_i32_e32 v1, 31, v0
	v_mov_b32_e32 v11, v4
	v_lshlrev_b64 v[0:1], 3, v[0:1]
	v_add_co_u32 v0, vcc_lo, s22, v0
	v_add_co_ci_u32_e64 v1, null, s23, v1, vcc_lo
	global_store_dwordx2 v[0:1], v[11:12], off
	s_endpgm
	.section	.rodata,"a",@progbits
	.p2align	6, 0x0
	.amdhsa_kernel _ZL15flash_attn_tileILi128ELi128ELi8ELi4ELb1EEvPKcS1_S1_S1_S1_PKiPfP15HIP_vector_typeIfLj2EEffffjfiS5_IjLj3EEiiiiiiiiiiiliiliiiiil
		.amdhsa_group_segment_fixed_size 34816
		.amdhsa_private_segment_fixed_size 0
		.amdhsa_kernarg_size 464
		.amdhsa_user_sgpr_count 6
		.amdhsa_user_sgpr_private_segment_buffer 1
		.amdhsa_user_sgpr_dispatch_ptr 0
		.amdhsa_user_sgpr_queue_ptr 0
		.amdhsa_user_sgpr_kernarg_segment_ptr 1
		.amdhsa_user_sgpr_dispatch_id 0
		.amdhsa_user_sgpr_flat_scratch_init 0
		.amdhsa_user_sgpr_private_segment_size 0
		.amdhsa_wavefront_size32 1
		.amdhsa_uses_dynamic_stack 0
		.amdhsa_system_sgpr_private_segment_wavefront_offset 0
		.amdhsa_system_sgpr_workgroup_id_x 1
		.amdhsa_system_sgpr_workgroup_id_y 1
		.amdhsa_system_sgpr_workgroup_id_z 1
		.amdhsa_system_sgpr_workgroup_info 0
		.amdhsa_system_vgpr_workitem_id 1
		.amdhsa_next_free_vgpr 201
		.amdhsa_next_free_sgpr 40
		.amdhsa_reserve_vcc 1
		.amdhsa_reserve_flat_scratch 0
		.amdhsa_float_round_mode_32 0
		.amdhsa_float_round_mode_16_64 0
		.amdhsa_float_denorm_mode_32 3
		.amdhsa_float_denorm_mode_16_64 3
		.amdhsa_dx10_clamp 1
		.amdhsa_ieee_mode 1
		.amdhsa_fp16_overflow 0
		.amdhsa_workgroup_processor_mode 1
		.amdhsa_memory_ordered 1
		.amdhsa_forward_progress 1
		.amdhsa_shared_vgpr_count 0
		.amdhsa_exception_fp_ieee_invalid_op 0
		.amdhsa_exception_fp_denorm_src 0
		.amdhsa_exception_fp_ieee_div_zero 0
		.amdhsa_exception_fp_ieee_overflow 0
		.amdhsa_exception_fp_ieee_underflow 0
		.amdhsa_exception_fp_ieee_inexact 0
		.amdhsa_exception_int_div_zero 0
	.end_amdhsa_kernel
	.section	.text._ZL15flash_attn_tileILi128ELi128ELi8ELi4ELb1EEvPKcS1_S1_S1_S1_PKiPfP15HIP_vector_typeIfLj2EEffffjfiS5_IjLj3EEiiiiiiiiiiiliiliiiiil,"axG",@progbits,_ZL15flash_attn_tileILi128ELi128ELi8ELi4ELb1EEvPKcS1_S1_S1_S1_PKiPfP15HIP_vector_typeIfLj2EEffffjfiS5_IjLj3EEiiiiiiiiiiiliiliiiiil,comdat
.Lfunc_end76:
	.size	_ZL15flash_attn_tileILi128ELi128ELi8ELi4ELb1EEvPKcS1_S1_S1_S1_PKiPfP15HIP_vector_typeIfLj2EEffffjfiS5_IjLj3EEiiiiiiiiiiiliiliiiiil, .Lfunc_end76-_ZL15flash_attn_tileILi128ELi128ELi8ELi4ELb1EEvPKcS1_S1_S1_S1_PKiPfP15HIP_vector_typeIfLj2EEffffjfiS5_IjLj3EEiiiiiiiiiiiliiliiiiil
                                        ; -- End function
	.set _ZL15flash_attn_tileILi128ELi128ELi8ELi4ELb1EEvPKcS1_S1_S1_S1_PKiPfP15HIP_vector_typeIfLj2EEffffjfiS5_IjLj3EEiiiiiiiiiiiliiliiiiil.num_vgpr, 201
	.set _ZL15flash_attn_tileILi128ELi128ELi8ELi4ELb1EEvPKcS1_S1_S1_S1_PKiPfP15HIP_vector_typeIfLj2EEffffjfiS5_IjLj3EEiiiiiiiiiiiliiliiiiil.num_agpr, 0
	.set _ZL15flash_attn_tileILi128ELi128ELi8ELi4ELb1EEvPKcS1_S1_S1_S1_PKiPfP15HIP_vector_typeIfLj2EEffffjfiS5_IjLj3EEiiiiiiiiiiiliiliiiiil.numbered_sgpr, 40
	.set _ZL15flash_attn_tileILi128ELi128ELi8ELi4ELb1EEvPKcS1_S1_S1_S1_PKiPfP15HIP_vector_typeIfLj2EEffffjfiS5_IjLj3EEiiiiiiiiiiiliiliiiiil.num_named_barrier, 0
	.set _ZL15flash_attn_tileILi128ELi128ELi8ELi4ELb1EEvPKcS1_S1_S1_S1_PKiPfP15HIP_vector_typeIfLj2EEffffjfiS5_IjLj3EEiiiiiiiiiiiliiliiiiil.private_seg_size, 0
	.set _ZL15flash_attn_tileILi128ELi128ELi8ELi4ELb1EEvPKcS1_S1_S1_S1_PKiPfP15HIP_vector_typeIfLj2EEffffjfiS5_IjLj3EEiiiiiiiiiiiliiliiiiil.uses_vcc, 1
	.set _ZL15flash_attn_tileILi128ELi128ELi8ELi4ELb1EEvPKcS1_S1_S1_S1_PKiPfP15HIP_vector_typeIfLj2EEffffjfiS5_IjLj3EEiiiiiiiiiiiliiliiiiil.uses_flat_scratch, 0
	.set _ZL15flash_attn_tileILi128ELi128ELi8ELi4ELb1EEvPKcS1_S1_S1_S1_PKiPfP15HIP_vector_typeIfLj2EEffffjfiS5_IjLj3EEiiiiiiiiiiiliiliiiiil.has_dyn_sized_stack, 0
	.set _ZL15flash_attn_tileILi128ELi128ELi8ELi4ELb1EEvPKcS1_S1_S1_S1_PKiPfP15HIP_vector_typeIfLj2EEffffjfiS5_IjLj3EEiiiiiiiiiiiliiliiiiil.has_recursion, 0
	.set _ZL15flash_attn_tileILi128ELi128ELi8ELi4ELb1EEvPKcS1_S1_S1_S1_PKiPfP15HIP_vector_typeIfLj2EEffffjfiS5_IjLj3EEiiiiiiiiiiiliiliiiiil.has_indirect_call, 0
	.section	.AMDGPU.csdata,"",@progbits
; Kernel info:
; codeLenInByte = 47352
; TotalNumSgprs: 42
; NumVgprs: 201
; ScratchSize: 0
; MemoryBound: 0
; FloatMode: 240
; IeeeMode: 1
; LDSByteSize: 34816 bytes/workgroup (compile time only)
; SGPRBlocks: 0
; VGPRBlocks: 25
; NumSGPRsForWavesPerEU: 42
; NumVGPRsForWavesPerEU: 201
; Occupancy: 4
; WaveLimiterHint : 1
; COMPUTE_PGM_RSRC2:SCRATCH_EN: 0
; COMPUTE_PGM_RSRC2:USER_SGPR: 6
; COMPUTE_PGM_RSRC2:TRAP_HANDLER: 0
; COMPUTE_PGM_RSRC2:TGID_X_EN: 1
; COMPUTE_PGM_RSRC2:TGID_Y_EN: 1
; COMPUTE_PGM_RSRC2:TGID_Z_EN: 1
; COMPUTE_PGM_RSRC2:TIDIG_COMP_CNT: 1
	.section	.text._ZL15flash_attn_tileILi128ELi128ELi4ELi4ELb1EEvPKcS1_S1_S1_S1_PKiPfP15HIP_vector_typeIfLj2EEffffjfiS5_IjLj3EEiiiiiiiiiiiliiliiiiil,"axG",@progbits,_ZL15flash_attn_tileILi128ELi128ELi4ELi4ELb1EEvPKcS1_S1_S1_S1_PKiPfP15HIP_vector_typeIfLj2EEffffjfiS5_IjLj3EEiiiiiiiiiiiliiliiiiil,comdat
	.globl	_ZL15flash_attn_tileILi128ELi128ELi4ELi4ELb1EEvPKcS1_S1_S1_S1_PKiPfP15HIP_vector_typeIfLj2EEffffjfiS5_IjLj3EEiiiiiiiiiiiliiliiiiil ; -- Begin function _ZL15flash_attn_tileILi128ELi128ELi4ELi4ELb1EEvPKcS1_S1_S1_S1_PKiPfP15HIP_vector_typeIfLj2EEffffjfiS5_IjLj3EEiiiiiiiiiiiliiliiiiil
	.p2align	8
	.type	_ZL15flash_attn_tileILi128ELi128ELi4ELi4ELb1EEvPKcS1_S1_S1_S1_PKiPfP15HIP_vector_typeIfLj2EEffffjfiS5_IjLj3EEiiiiiiiiiiiliiliiiiil,@function
_ZL15flash_attn_tileILi128ELi128ELi4ELi4ELb1EEvPKcS1_S1_S1_S1_PKiPfP15HIP_vector_typeIfLj2EEffffjfiS5_IjLj3EEiiiiiiiiiiiliiliiiiil: ; @_ZL15flash_attn_tileILi128ELi128ELi4ELi4ELb1EEvPKcS1_S1_S1_S1_PKiPfP15HIP_vector_typeIfLj2EEffffjfiS5_IjLj3EEiiiiiiiiiiiliiliiiiil
; %bb.0:
	s_clause 0x1
	s_load_dwordx4 s[0:3], s[4:5], 0x5c
	s_load_dwordx2 s[30:31], s[4:5], 0x80
	s_mov_b32 s28, s7
	s_mov_b64 s[34:35], 0
	s_waitcnt lgkmcnt(0)
	s_ashr_i32 s7, s3, 31
	s_lshr_b32 s7, s7, 30
	s_add_i32 s7, s3, s7
	s_ashr_i32 s7, s7, 2
	v_cvt_f32_u32_e32 v2, s7
	s_sub_i32 s10, 0, s7
	v_rcp_iflag_f32_e32 v2, v2
	v_mul_f32_e32 v2, 0x4f7ffffe, v2
	v_cvt_u32_f32_e32 v2, v2
	v_readfirstlane_b32 s9, v2
	s_mul_i32 s10, s10, s9
	s_mul_hi_u32 s10, s9, s10
	s_add_i32 s9, s9, s10
	s_mul_hi_u32 s9, s8, s9
	s_mul_i32 s10, s9, s7
	s_add_i32 s11, s9, 1
	s_sub_i32 s10, s8, s10
	s_sub_i32 s12, s10, s7
	s_cmp_ge_u32 s10, s7
	s_cselect_b32 s9, s11, s9
	s_cselect_b32 s10, s12, s10
	s_add_i32 s11, s9, 1
	s_cmp_ge_u32 s10, s7
	s_cselect_b32 s7, s11, s9
	s_abs_i32 s9, s31
	s_lshl_b32 s8, s8, 2
	v_cvt_f32_u32_e32 v2, s9
	s_sub_i32 s11, 0, s9
	s_mul_i32 s12, s7, s3
	s_abs_i32 s13, s3
	s_sub_i32 s29, s8, s12
	v_rcp_iflag_f32_e32 v2, v2
	v_mul_f32_e32 v2, 0x4f7ffffe, v2
	v_cvt_u32_f32_e32 v2, v2
	v_readfirstlane_b32 s10, v2
	s_mul_i32 s11, s11, s10
	s_mul_hi_u32 s11, s10, s11
	s_add_i32 s10, s10, s11
	s_mul_hi_u32 s8, s13, s10
	s_xor_b32 s10, s3, s31
	s_mul_i32 s11, s8, s9
	s_ashr_i32 s10, s10, 31
	s_sub_i32 s11, s13, s11
	s_add_i32 s12, s8, 1
	s_sub_i32 s13, s11, s9
	s_cmp_ge_u32 s11, s9
	s_cselect_b32 s8, s12, s8
	s_cselect_b32 s11, s13, s11
	s_add_i32 s12, s8, 1
	s_cmp_ge_u32 s11, s9
	s_cselect_b32 s8, s12, s8
	s_xor_b32 s8, s8, s10
	s_sub_i32 s33, s8, s10
	s_clause 0x1
	s_load_dwordx16 s[8:23], s[4:5], 0x0
	s_load_dwordx2 s[36:37], s[4:5], 0xb8
	s_abs_i32 s31, s33
	v_cvt_f32_u32_e32 v2, s31
	v_rcp_iflag_f32_e32 v2, v2
	v_mul_f32_e32 v2, 0x4f7ffffe, v2
	s_waitcnt lgkmcnt(0)
	s_cmp_eq_u64 s[14:15], 0
	v_cvt_u32_f32_e32 v2, v2
	v_readfirstlane_b32 s38, v2
	s_cbranch_scc1 .LBB77_2
; %bb.1:
	s_abs_i32 s26, s36
	s_abs_i32 s27, s7
	v_cvt_f32_u32_e32 v2, s26
	s_sub_i32 s25, 0, s26
	v_rcp_iflag_f32_e32 v2, v2
	v_mul_f32_e32 v2, 0x4f7ffffe, v2
	v_cvt_u32_f32_e32 v2, v2
	v_readfirstlane_b32 s24, v2
	s_mul_i32 s25, s25, s24
	s_mul_hi_u32 s25, s24, s25
	s_add_i32 s24, s24, s25
	s_mul_hi_u32 s34, s27, s24
	s_load_dwordx2 s[24:25], s[4:5], 0xc8
	s_mul_i32 s34, s34, s26
	s_sub_i32 s27, s27, s34
	s_ashr_i32 s34, s7, 31
	s_sub_i32 s35, s27, s26
	s_cmp_ge_u32 s27, s26
	s_cselect_b32 s27, s35, s27
	s_sub_i32 s35, s27, s26
	s_cmp_ge_u32 s27, s26
	s_cselect_b32 s26, s35, s27
	s_xor_b32 s26, s26, s34
	s_sub_i32 s26, s26, s34
	s_ashr_i32 s27, s26, 31
	s_waitcnt lgkmcnt(0)
	s_mul_hi_u32 s34, s24, s26
	s_mul_i32 s27, s24, s27
	s_mul_i32 s25, s25, s26
	s_add_i32 s27, s34, s27
	s_mul_i32 s24, s24, s26
	s_add_i32 s27, s27, s25
	s_add_u32 s34, s14, s24
	s_addc_u32 s35, s15, s27
.LBB77_2:
	v_lshrrev_b32_e32 v2, 1, v1
	s_load_dwordx4 s[24:27], s[4:5], 0x70
	v_lshlrev_b32_e32 v3, 1, v1
	v_lshlrev_b32_e32 v71, 3, v0
	;; [unrolled: 1-line block ×3, first 2 shown]
	v_lshl_add_u32 v33, s6, 2, v2
	v_or_b32_e32 v12, 1, v3
	v_and_b32_e32 v69, 2, v3
	v_or_b32_e32 v13, 0x9800, v71
	v_mul_hi_u32 v2, s0, v33
	v_and_b32_e32 v10, 3, v12
	v_add_nc_u32_e32 v14, v13, v1
	v_add_nc_u32_e32 v2, v33, v2
	s_waitcnt lgkmcnt(0)
	s_mul_i32 s14, s29, s25
	s_mov_b32 s0, s25
	v_lshrrev_b32_e32 v2, s1, v2
	s_mul_i32 s1, s7, s26
	s_ashr_i32 s15, s1, 31
	s_add_u32 s1, s8, s1
	v_mul_lo_u32 v2, v2, s2
	s_addc_u32 s8, s9, s15
	s_ashr_i32 s9, s14, 31
	s_add_u32 s14, s1, s14
	s_addc_u32 s15, s8, s9
	s_ashr_i32 s1, s25, 31
	s_ashr_i32 s25, s24, 31
	s_lshr_b64 s[8:9], s[24:25], 2
	v_sub_nc_u32_e32 v2, v33, v2
	v_mad_u64_u32 v[4:5], null, s8, v2, 0
	s_lshr_b64 s[8:9], s[0:1], 2
	s_lshr_b32 s0, s1, 2
	s_lshr_b32 s1, s25, 2
	v_mul_lo_u32 v11, s0, v69
	v_mad_u64_u32 v[8:9], null, s8, v69, 0
	v_mad_u64_u32 v[5:6], null, s1, v2, v[5:6]
	;; [unrolled: 1-line block ×3, first 2 shown]
	s_cmp_eq_u64 s[18:19], 0
	v_or_b32_e32 v9, v9, v11
	v_lshlrev_b64 v[4:5], 2, v[4:5]
	v_mad_u64_u32 v[10:11], null, s0, v10, v[7:8]
	v_lshlrev_b32_e32 v11, 4, v0
	v_lshlrev_b64 v[8:9], 2, v[8:9]
	v_add_co_u32 v4, vcc_lo, s14, v4
	v_add_co_ci_u32_e64 v5, null, s15, v5, vcc_lo
	v_mov_b32_e32 v7, v10
	v_add_co_u32 v10, vcc_lo, v4, v11
	v_add_co_ci_u32_e64 v11, null, 0, v5, vcc_lo
	v_lshlrev_b64 v[4:5], 2, v[6:7]
	v_add_co_u32 v6, vcc_lo, v10, v8
	v_add_co_ci_u32_e64 v7, null, v11, v9, vcc_lo
	s_load_dword s0, s[4:5], 0x40
	v_add_co_u32 v8, vcc_lo, v10, v4
	v_add_co_ci_u32_e64 v9, null, v11, v5, vcc_lo
	s_clause 0x1
	global_load_dwordx4 v[4:7], v[6:7], off
	global_load_dwordx4 v[8:11], v[8:9], off
	s_waitcnt vmcnt(1) lgkmcnt(0)
	v_fma_mixlo_f16 v4, s0, v4, 0
	v_fma_mixlo_f16 v5, s0, v5, 0
	s_waitcnt vmcnt(0)
	v_fma_mixlo_f16 v8, s0, v8, 0
	v_fma_mixlo_f16 v9, s0, v9, 0
	;; [unrolled: 1-line block ×4, first 2 shown]
	v_lshlrev_b32_e32 v5, 16, v5
	v_and_b32_e32 v4, 0xffff, v4
	v_fma_mixlo_f16 v10, s0, v10, 0
	v_fma_mixlo_f16 v11, s0, v11, 0
	v_lshlrev_b32_e32 v9, 16, v9
	v_and_b32_e32 v8, 0xffff, v8
	v_lshlrev_b32_e32 v7, 16, v7
	v_and_b32_e32 v6, 0xffff, v6
	v_or_b32_e32 v4, v5, v4
	v_lshlrev_b32_e32 v11, 16, v11
	v_and_b32_e32 v10, 0xffff, v10
	v_or_b32_e32 v8, v9, v8
	v_or3_b32 v5, v7, v6, 0
	v_or3_b32 v4, 0, 0, v4
	v_lshl_add_u32 v9, v12, 8, v13
	v_or3_b32 v7, v11, v10, 0
	v_or3_b32 v6, 0, 0, v8
	ds_write_b64 v14, v[4:5]
	ds_write_b64 v9, v[6:7]
	s_waitcnt lgkmcnt(0)
	s_barrier
	buffer_gl0_inv
	s_cbranch_scc1 .LBB77_4
; %bb.3:
	s_load_dword s0, s[4:5], 0xd0
	s_mov_b32 s1, 0
	s_waitcnt lgkmcnt(0)
	s_mul_i32 s0, s0, s7
	s_add_i32 s0, s0, s6
	s_lshl_b64 s[0:1], s[0:1], 2
	s_add_u32 s0, s18, s0
	s_addc_u32 s1, s19, s1
	s_load_dword s30, s[0:1], 0x0
.LBB77_4:
	v_mbcnt_lo_u32_b32 v72, -1, 0
	s_lshl_b32 s6, s28, 7
	s_waitcnt lgkmcnt(0)
	s_cmp_lt_i32 s6, s30
	s_cbranch_scc1 .LBB77_7
; %bb.5:
	v_mbcnt_lo_u32_b32 v4, -1, 0
	v_mov_b32_e32 v73, 32
	v_xor_b32_e32 v107, 16, v4
	v_xor_b32_e32 v103, 8, v4
	;; [unrolled: 1-line block ×5, first 2 shown]
	v_lshlrev_b32_e32 v70, 2, v0
	s_cbranch_execz .LBB77_8
; %bb.6:
	v_mov_b32_e32 v98, 0
	v_mov_b32_e32 v2, 0
	;; [unrolled: 1-line block ×8, first 2 shown]
	s_branch .LBB77_44
.LBB77_7:
                                        ; implicit-def: $vgpr4
                                        ; implicit-def: $vgpr73
                                        ; implicit-def: $vgpr107
                                        ; implicit-def: $vgpr103
                                        ; implicit-def: $vgpr104
                                        ; implicit-def: $vgpr105
                                        ; implicit-def: $vgpr106
	v_lshlrev_b32_e32 v70, 2, v0
.LBB77_8:
	s_clause 0x1
	s_load_dwordx4 s[24:27], s[4:5], 0x98
	s_load_dwordx2 s[0:1], s[4:5], 0x8c
	s_sub_i32 s8, 0, s31
	s_abs_i32 s18, s29
	s_mul_i32 s8, s8, s38
	s_ashr_i32 s36, s37, 1
	s_mul_hi_u32 s8, s38, s8
	s_ashr_i32 s19, s29, 31
	s_add_i32 s38, s38, s8
	s_ashr_i32 s33, s33, 31
	s_mul_hi_u32 s37, s18, s38
	s_ashr_i32 s38, s7, 31
	s_load_dwordx2 s[14:15], s[4:5], 0xa8
	s_mul_i32 s39, s37, s31
	v_lshrrev_b32_e32 v4, 4, v0
	v_add_nc_u32_e32 v75, 0x9800, v1
	v_mad_u64_u32 v[34:35], null, v2, s36, v[0:1]
	v_add_nc_u32_e32 v85, 0x8800, v1
	v_add_nc_u32_e32 v12, v4, v3
	s_waitcnt lgkmcnt(0)
	s_ashr_i32 s8, s26, 2
	s_ashr_i32 s9, s0, 2
	s_mul_hi_u32 s0, s24, s7
	s_mul_i32 s26, s24, s38
	s_mul_i32 s25, s25, s7
	s_add_i32 s0, s0, s26
	s_mul_i32 s24, s24, s7
	s_add_i32 s0, s0, s25
	s_add_u32 s10, s10, s24
	s_addc_u32 s0, s11, s0
	s_sub_i32 s18, s18, s39
	s_xor_b32 s11, s19, s33
	s_add_i32 s19, s37, 1
	s_sub_i32 s24, s18, s31
	s_cmp_ge_u32 s18, s31
	s_mul_i32 s15, s15, s7
	s_cselect_b32 s19, s19, s37
	s_cselect_b32 s18, s24, s18
	s_add_i32 s24, s19, 1
	s_cmp_ge_u32 s18, s31
	v_mul_lo_u32 v3, s9, v12
	s_cselect_b32 s18, s24, s19
	s_mul_hi_u32 s19, s14, s7
	s_xor_b32 s18, s18, s11
	s_mul_i32 s24, s14, s38
	s_sub_i32 s18, s18, s11
	v_mul_lo_u32 v11, s8, v12
	s_mul_i32 s1, s18, s1
	s_mul_i32 s14, s14, s7
	s_ashr_i32 s11, s1, 31
	s_add_u32 s10, s10, s1
	s_addc_u32 s11, s0, s11
	s_add_i32 s0, s19, s24
	s_mul_i32 s18, s18, s27
	s_add_i32 s0, s0, s15
	s_add_u32 s1, s12, s14
	s_addc_u32 s0, s13, s0
	s_ashr_i32 s13, s18, 31
	s_add_u32 s12, s1, s18
	s_addc_u32 s13, s0, s13
	s_lshl_b32 s0, s9, 4
	s_lshl_b32 s1, s8, 4
	v_add_nc_u32_e32 v5, s0, v3
	v_add_nc_u32_e32 v15, s1, v11
	v_and_b32_e32 v37, 60, v70
	s_load_dword s14, s[4:5], 0x54
	v_ashrrev_i32_e32 v4, 31, v3
	v_add_nc_u32_e32 v7, s0, v5
	v_add_nc_u32_e32 v19, s1, v15
	v_lshlrev_b32_e32 v16, 2, v37
	v_ashrrev_i32_e32 v6, 31, v5
	v_lshlrev_b64 v[35:36], 2, v[3:4]
	v_add_nc_u32_e32 v9, s0, v7
	v_add_nc_u32_e32 v23, s1, v19
	v_mad_u32_u24 v74, 0x110, v12, v16
	v_ashrrev_i32_e32 v8, 31, v7
	v_lshl_or_b32 v84, v12, 8, v16
	v_add_nc_u32_e32 v13, s0, v9
	v_add_nc_u32_e32 v27, s1, v23
	v_ashrrev_i32_e32 v10, 31, v9
	v_ashrrev_i32_e32 v12, 31, v11
	v_ashrrev_i32_e32 v16, 31, v15
	v_add_nc_u32_e32 v17, s0, v13
	v_add_nc_u32_e32 v1, s1, v27
	v_ashrrev_i32_e32 v14, 31, v13
	v_ashrrev_i32_e32 v20, 31, v19
	v_ashrrev_i32_e32 v24, 31, v23
	;; [unrolled: 5-line block ×3, first 2 shown]
	v_add_nc_u32_e32 v25, s0, v21
	v_add_nc_u32_e32 v31, s1, v29
	v_ashrrev_i32_e32 v22, 31, v21
	v_ashrrev_i32_e32 v30, 31, v29
	v_lshlrev_b32_e32 v93, 2, v37
	v_ashrrev_i32_e32 v26, 31, v25
	v_ashrrev_i32_e32 v32, 31, v31
	v_lshlrev_b64 v[37:38], 2, v[5:6]
	v_lshlrev_b64 v[39:40], 2, v[7:8]
	;; [unrolled: 1-line block ×15, first 2 shown]
	v_mov_b32_e32 v99, 0
	v_mul_u32_u24_e32 v76, 0x110, v0
	v_add_nc_u32_e32 v77, 0x1100, v74
	v_add_nc_u32_e32 v78, 0x2200, v74
	;; [unrolled: 1-line block ×14, first 2 shown]
	v_mov_b32_e32 v102, 0xfeffffff
	v_mov_b32_e32 v73, 32
	;; [unrolled: 1-line block ×9, first 2 shown]
	s_add_u32 s0, s4, 0xd0
	s_addc_u32 s1, s5, 0
	s_mov_b32 s15, 0xbbbac73d
.LBB77_9:                               ; =>This Inner Loop Header: Depth=1
	s_mul_hi_i32 s19, s6, s9
	s_mul_i32 s18, s6, s9
	v_mov_b32_e32 v67, 0
	s_lshl_b64 s[18:19], s[18:19], 2
	v_mov_b32_e32 v68, 0
	s_add_u32 s18, s10, s18
	s_addc_u32 s19, s11, s19
	v_add_co_u32 v1, vcc_lo, s18, v35
	v_add_co_ci_u32_e64 v2, null, s19, v36, vcc_lo
	v_add_co_u32 v3, vcc_lo, s18, v37
	v_add_co_ci_u32_e64 v4, null, s19, v38, vcc_lo
	;; [unrolled: 2-line block ×16, first 2 shown]
	s_clause 0x7
	global_load_dwordx4 v[1:4], v[1:2], off
	global_load_dwordx4 v[5:8], v[5:6], off
	;; [unrolled: 1-line block ×8, first 2 shown]
	v_mov_b32_e32 v108, 0
	v_mov_b32_e32 v109, 0
	s_waitcnt vmcnt(7)
	ds_write_b128 v74, v[1:4]
	s_waitcnt vmcnt(6)
	ds_write_b128 v77, v[5:8]
	;; [unrolled: 2-line block ×8, first 2 shown]
	s_waitcnt lgkmcnt(0)
	s_barrier
	buffer_gl0_inv
	ds_read_b128 v[7:10], v76
	ds_read_b128 v[11:14], v75
	ds_read_b128 v[15:18], v75 offset:256
	ds_read_b128 v[19:22], v76 offset:8704
	v_mov_b32_e32 v3, 0
	ds_read_b128 v[23:26], v76 offset:17408
	ds_read_b128 v[27:30], v76 offset:26112
	s_waitcnt lgkmcnt(4)
	;;#ASMSTART
	v_dot2_f32_f16 v3, v7, v11, v3
	;;#ASMEND
	;;#ASMSTART
	v_dot2_f32_f16 v3, v8, v12, v3
	;;#ASMEND
	;; [unrolled: 3-line block ×4, first 2 shown]
	s_waitcnt lgkmcnt(3)
	;;#ASMSTART
	v_dot2_f32_f16 v67, v7, v15, v67
	;;#ASMEND
	;;#ASMSTART
	v_dot2_f32_f16 v67, v8, v16, v67
	;;#ASMEND
	v_mov_b32_e32 v4, 0
	;;#ASMSTART
	v_dot2_f32_f16 v67, v9, v17, v67
	;;#ASMEND
	;;#ASMSTART
	v_dot2_f32_f16 v67, v10, v18, v67
	;;#ASMEND
	s_waitcnt lgkmcnt(2)
	;;#ASMSTART
	v_dot2_f32_f16 v4, v19, v11, v4
	;;#ASMEND
	;;#ASMSTART
	v_dot2_f32_f16 v4, v20, v12, v4
	;;#ASMEND
	;;#ASMSTART
	v_dot2_f32_f16 v4, v21, v13, v4
	;;#ASMEND
	;;#ASMSTART
	v_dot2_f32_f16 v4, v22, v14, v4
	;;#ASMEND
	;;#ASMSTART
	v_dot2_f32_f16 v68, v19, v15, v68
	;;#ASMEND
	;;#ASMSTART
	v_dot2_f32_f16 v68, v20, v16, v68
	;;#ASMEND
	v_mov_b32_e32 v5, 0
	;;#ASMSTART
	v_dot2_f32_f16 v68, v21, v17, v68
	;;#ASMEND
	;;#ASMSTART
	v_dot2_f32_f16 v68, v22, v18, v68
	;;#ASMEND
	s_waitcnt lgkmcnt(1)
	;;#ASMSTART
	v_dot2_f32_f16 v5, v23, v11, v5
	;;#ASMEND
	;;#ASMSTART
	v_dot2_f32_f16 v5, v24, v12, v5
	;;#ASMEND
	;;#ASMSTART
	v_dot2_f32_f16 v5, v25, v13, v5
	;;#ASMEND
	;;#ASMSTART
	v_dot2_f32_f16 v5, v26, v14, v5
	;;#ASMEND
	;; [unrolled: 26-line block ×3, first 2 shown]
	;;#ASMSTART
	v_dot2_f32_f16 v109, v27, v15, v109
	;;#ASMEND
	;;#ASMSTART
	v_dot2_f32_f16 v109, v28, v16, v109
	;;#ASMEND
	;; [unrolled: 3-line block ×4, first 2 shown]
	ds_read_b128 v[7:10], v76 offset:16
	ds_read_b128 v[11:14], v75 offset:16
	;; [unrolled: 1-line block ×6, first 2 shown]
	s_waitcnt lgkmcnt(4)
	;;#ASMSTART
	v_dot2_f32_f16 v3, v7, v11, v3
	;;#ASMEND
	;;#ASMSTART
	v_dot2_f32_f16 v3, v8, v12, v3
	;;#ASMEND
	;;#ASMSTART
	v_dot2_f32_f16 v3, v9, v13, v3
	;;#ASMEND
	;;#ASMSTART
	v_dot2_f32_f16 v3, v10, v14, v3
	;;#ASMEND
	s_waitcnt lgkmcnt(3)
	;;#ASMSTART
	v_dot2_f32_f16 v67, v7, v15, v67
	;;#ASMEND
	;;#ASMSTART
	v_dot2_f32_f16 v67, v8, v16, v67
	;;#ASMEND
	;;#ASMSTART
	v_dot2_f32_f16 v67, v9, v17, v67
	;;#ASMEND
	;;#ASMSTART
	v_dot2_f32_f16 v67, v10, v18, v67
	;;#ASMEND
	;; [unrolled: 13-line block ×3, first 2 shown]
	;;#ASMSTART
	v_dot2_f32_f16 v68, v19, v15, v68
	;;#ASMEND
	;;#ASMSTART
	v_dot2_f32_f16 v68, v20, v16, v68
	;;#ASMEND
	;; [unrolled: 3-line block ×4, first 2 shown]
	s_waitcnt lgkmcnt(1)
	;;#ASMSTART
	v_dot2_f32_f16 v5, v23, v11, v5
	;;#ASMEND
	;;#ASMSTART
	v_dot2_f32_f16 v5, v24, v12, v5
	;;#ASMEND
	;; [unrolled: 3-line block ×8, first 2 shown]
	s_waitcnt lgkmcnt(0)
	;;#ASMSTART
	v_dot2_f32_f16 v6, v27, v11, v6
	;;#ASMEND
	;;#ASMSTART
	v_dot2_f32_f16 v6, v28, v12, v6
	;;#ASMEND
	;; [unrolled: 3-line block ×8, first 2 shown]
	ds_read_b128 v[7:10], v76 offset:32
	ds_read_b128 v[11:14], v75 offset:32
	;; [unrolled: 1-line block ×6, first 2 shown]
	s_waitcnt lgkmcnt(4)
	;;#ASMSTART
	v_dot2_f32_f16 v3, v7, v11, v3
	;;#ASMEND
	;;#ASMSTART
	v_dot2_f32_f16 v3, v8, v12, v3
	;;#ASMEND
	;;#ASMSTART
	v_dot2_f32_f16 v3, v9, v13, v3
	;;#ASMEND
	;;#ASMSTART
	v_dot2_f32_f16 v3, v10, v14, v3
	;;#ASMEND
	s_waitcnt lgkmcnt(3)
	;;#ASMSTART
	v_dot2_f32_f16 v67, v7, v15, v67
	;;#ASMEND
	;;#ASMSTART
	v_dot2_f32_f16 v67, v8, v16, v67
	;;#ASMEND
	;;#ASMSTART
	v_dot2_f32_f16 v67, v9, v17, v67
	;;#ASMEND
	;;#ASMSTART
	v_dot2_f32_f16 v67, v10, v18, v67
	;;#ASMEND
	;; [unrolled: 13-line block ×3, first 2 shown]
	;;#ASMSTART
	v_dot2_f32_f16 v68, v19, v15, v68
	;;#ASMEND
	;;#ASMSTART
	v_dot2_f32_f16 v68, v20, v16, v68
	;;#ASMEND
	;; [unrolled: 3-line block ×4, first 2 shown]
	s_waitcnt lgkmcnt(1)
	;;#ASMSTART
	v_dot2_f32_f16 v5, v23, v11, v5
	;;#ASMEND
	;;#ASMSTART
	v_dot2_f32_f16 v5, v24, v12, v5
	;;#ASMEND
	;; [unrolled: 3-line block ×8, first 2 shown]
	s_waitcnt lgkmcnt(0)
	;;#ASMSTART
	v_dot2_f32_f16 v6, v27, v11, v6
	;;#ASMEND
	;;#ASMSTART
	v_dot2_f32_f16 v6, v28, v12, v6
	;;#ASMEND
	;; [unrolled: 3-line block ×8, first 2 shown]
	ds_read_b128 v[7:10], v76 offset:48
	ds_read_b128 v[11:14], v75 offset:48
	;; [unrolled: 1-line block ×6, first 2 shown]
	s_waitcnt lgkmcnt(4)
	;;#ASMSTART
	v_dot2_f32_f16 v3, v7, v11, v3
	;;#ASMEND
	;;#ASMSTART
	v_dot2_f32_f16 v3, v8, v12, v3
	;;#ASMEND
	;;#ASMSTART
	v_dot2_f32_f16 v3, v9, v13, v3
	;;#ASMEND
	;;#ASMSTART
	v_dot2_f32_f16 v3, v10, v14, v3
	;;#ASMEND
	s_waitcnt lgkmcnt(3)
	;;#ASMSTART
	v_dot2_f32_f16 v67, v7, v15, v67
	;;#ASMEND
	;;#ASMSTART
	v_dot2_f32_f16 v67, v8, v16, v67
	;;#ASMEND
	;;#ASMSTART
	v_dot2_f32_f16 v67, v9, v17, v67
	;;#ASMEND
	;;#ASMSTART
	v_dot2_f32_f16 v67, v10, v18, v67
	;;#ASMEND
	;; [unrolled: 13-line block ×3, first 2 shown]
	;;#ASMSTART
	v_dot2_f32_f16 v68, v19, v15, v68
	;;#ASMEND
	;;#ASMSTART
	v_dot2_f32_f16 v68, v20, v16, v68
	;;#ASMEND
	;; [unrolled: 3-line block ×4, first 2 shown]
	s_waitcnt lgkmcnt(1)
	;;#ASMSTART
	v_dot2_f32_f16 v5, v23, v11, v5
	;;#ASMEND
	;;#ASMSTART
	v_dot2_f32_f16 v5, v24, v12, v5
	;;#ASMEND
	;; [unrolled: 3-line block ×8, first 2 shown]
	s_waitcnt lgkmcnt(0)
	;;#ASMSTART
	v_dot2_f32_f16 v6, v27, v11, v6
	;;#ASMEND
	;;#ASMSTART
	v_dot2_f32_f16 v6, v28, v12, v6
	;;#ASMEND
	;;#ASMSTART
	v_dot2_f32_f16 v6, v29, v13, v6
	;;#ASMEND
	;;#ASMSTART
	v_dot2_f32_f16 v6, v30, v14, v6
	;;#ASMEND
	;;#ASMSTART
	v_dot2_f32_f16 v109, v27, v15, v109
	;;#ASMEND
	;;#ASMSTART
	v_dot2_f32_f16 v109, v28, v16, v109
	;;#ASMEND
	;;#ASMSTART
	v_dot2_f32_f16 v109, v29, v17, v109
	;;#ASMEND
	;;#ASMSTART
	v_dot2_f32_f16 v109, v30, v18, v109
	;;#ASMEND
	ds_read_b128 v[7:10], v76 offset:64
	ds_read_b128 v[11:14], v75 offset:64
	;; [unrolled: 1-line block ×6, first 2 shown]
	s_waitcnt lgkmcnt(4)
	;;#ASMSTART
	v_dot2_f32_f16 v3, v7, v11, v3
	;;#ASMEND
	;;#ASMSTART
	v_dot2_f32_f16 v3, v8, v12, v3
	;;#ASMEND
	;;#ASMSTART
	v_dot2_f32_f16 v3, v9, v13, v3
	;;#ASMEND
	;;#ASMSTART
	v_dot2_f32_f16 v3, v10, v14, v3
	;;#ASMEND
	s_waitcnt lgkmcnt(3)
	;;#ASMSTART
	v_dot2_f32_f16 v67, v7, v15, v67
	;;#ASMEND
	;;#ASMSTART
	v_dot2_f32_f16 v67, v8, v16, v67
	;;#ASMEND
	;;#ASMSTART
	v_dot2_f32_f16 v67, v9, v17, v67
	;;#ASMEND
	;;#ASMSTART
	v_dot2_f32_f16 v67, v10, v18, v67
	;;#ASMEND
	;; [unrolled: 13-line block ×3, first 2 shown]
	;;#ASMSTART
	v_dot2_f32_f16 v68, v19, v15, v68
	;;#ASMEND
	;;#ASMSTART
	v_dot2_f32_f16 v68, v20, v16, v68
	;;#ASMEND
	;; [unrolled: 3-line block ×4, first 2 shown]
	s_waitcnt lgkmcnt(1)
	;;#ASMSTART
	v_dot2_f32_f16 v5, v23, v11, v5
	;;#ASMEND
	;;#ASMSTART
	v_dot2_f32_f16 v5, v24, v12, v5
	;;#ASMEND
	;; [unrolled: 3-line block ×8, first 2 shown]
	s_waitcnt lgkmcnt(0)
	;;#ASMSTART
	v_dot2_f32_f16 v6, v27, v11, v6
	;;#ASMEND
	;;#ASMSTART
	v_dot2_f32_f16 v6, v28, v12, v6
	;;#ASMEND
	;; [unrolled: 3-line block ×8, first 2 shown]
	ds_read_b128 v[7:10], v76 offset:80
	ds_read_b128 v[11:14], v75 offset:80
	;; [unrolled: 1-line block ×6, first 2 shown]
	s_waitcnt lgkmcnt(4)
	;;#ASMSTART
	v_dot2_f32_f16 v3, v7, v11, v3
	;;#ASMEND
	;;#ASMSTART
	v_dot2_f32_f16 v3, v8, v12, v3
	;;#ASMEND
	;;#ASMSTART
	v_dot2_f32_f16 v3, v9, v13, v3
	;;#ASMEND
	;;#ASMSTART
	v_dot2_f32_f16 v3, v10, v14, v3
	;;#ASMEND
	s_waitcnt lgkmcnt(3)
	;;#ASMSTART
	v_dot2_f32_f16 v67, v7, v15, v67
	;;#ASMEND
	;;#ASMSTART
	v_dot2_f32_f16 v67, v8, v16, v67
	;;#ASMEND
	;;#ASMSTART
	v_dot2_f32_f16 v67, v9, v17, v67
	;;#ASMEND
	;;#ASMSTART
	v_dot2_f32_f16 v67, v10, v18, v67
	;;#ASMEND
	;; [unrolled: 13-line block ×3, first 2 shown]
	;;#ASMSTART
	v_dot2_f32_f16 v68, v19, v15, v68
	;;#ASMEND
	;;#ASMSTART
	v_dot2_f32_f16 v68, v20, v16, v68
	;;#ASMEND
	;; [unrolled: 3-line block ×4, first 2 shown]
	s_waitcnt lgkmcnt(1)
	;;#ASMSTART
	v_dot2_f32_f16 v5, v23, v11, v5
	;;#ASMEND
	;;#ASMSTART
	v_dot2_f32_f16 v5, v24, v12, v5
	;;#ASMEND
	;; [unrolled: 3-line block ×8, first 2 shown]
	s_waitcnt lgkmcnt(0)
	;;#ASMSTART
	v_dot2_f32_f16 v6, v27, v11, v6
	;;#ASMEND
	;;#ASMSTART
	v_dot2_f32_f16 v6, v28, v12, v6
	;;#ASMEND
	;; [unrolled: 3-line block ×8, first 2 shown]
	ds_read_b128 v[7:10], v76 offset:96
	ds_read_b128 v[11:14], v75 offset:96
	;; [unrolled: 1-line block ×6, first 2 shown]
	s_waitcnt lgkmcnt(4)
	;;#ASMSTART
	v_dot2_f32_f16 v3, v7, v11, v3
	;;#ASMEND
	;;#ASMSTART
	v_dot2_f32_f16 v3, v8, v12, v3
	;;#ASMEND
	;;#ASMSTART
	v_dot2_f32_f16 v3, v9, v13, v3
	;;#ASMEND
	;;#ASMSTART
	v_dot2_f32_f16 v3, v10, v14, v3
	;;#ASMEND
	s_waitcnt lgkmcnt(3)
	;;#ASMSTART
	v_dot2_f32_f16 v67, v7, v15, v67
	;;#ASMEND
	;;#ASMSTART
	v_dot2_f32_f16 v67, v8, v16, v67
	;;#ASMEND
	;;#ASMSTART
	v_dot2_f32_f16 v67, v9, v17, v67
	;;#ASMEND
	;;#ASMSTART
	v_dot2_f32_f16 v67, v10, v18, v67
	;;#ASMEND
	;; [unrolled: 13-line block ×3, first 2 shown]
	;;#ASMSTART
	v_dot2_f32_f16 v68, v19, v15, v68
	;;#ASMEND
	;;#ASMSTART
	v_dot2_f32_f16 v68, v20, v16, v68
	;;#ASMEND
	;; [unrolled: 3-line block ×4, first 2 shown]
	s_waitcnt lgkmcnt(1)
	;;#ASMSTART
	v_dot2_f32_f16 v5, v23, v11, v5
	;;#ASMEND
	;;#ASMSTART
	v_dot2_f32_f16 v5, v24, v12, v5
	;;#ASMEND
	;; [unrolled: 3-line block ×8, first 2 shown]
	s_waitcnt lgkmcnt(0)
	;;#ASMSTART
	v_dot2_f32_f16 v6, v27, v11, v6
	;;#ASMEND
	;;#ASMSTART
	v_dot2_f32_f16 v6, v28, v12, v6
	;;#ASMEND
	;; [unrolled: 3-line block ×8, first 2 shown]
	ds_read_b128 v[7:10], v76 offset:112
	ds_read_b128 v[11:14], v75 offset:112
	;; [unrolled: 1-line block ×6, first 2 shown]
	s_waitcnt lgkmcnt(4)
	;;#ASMSTART
	v_dot2_f32_f16 v3, v7, v11, v3
	;;#ASMEND
	;;#ASMSTART
	v_dot2_f32_f16 v3, v8, v12, v3
	;;#ASMEND
	;;#ASMSTART
	v_dot2_f32_f16 v3, v9, v13, v3
	;;#ASMEND
	;;#ASMSTART
	v_dot2_f32_f16 v3, v10, v14, v3
	;;#ASMEND
	s_waitcnt lgkmcnt(3)
	;;#ASMSTART
	v_dot2_f32_f16 v67, v7, v15, v67
	;;#ASMEND
	;;#ASMSTART
	v_dot2_f32_f16 v67, v8, v16, v67
	;;#ASMEND
	;;#ASMSTART
	v_dot2_f32_f16 v67, v9, v17, v67
	;;#ASMEND
	;;#ASMSTART
	v_dot2_f32_f16 v67, v10, v18, v67
	;;#ASMEND
	;; [unrolled: 13-line block ×3, first 2 shown]
	;;#ASMSTART
	v_dot2_f32_f16 v68, v19, v15, v68
	;;#ASMEND
	;;#ASMSTART
	v_dot2_f32_f16 v68, v20, v16, v68
	;;#ASMEND
	;;#ASMSTART
	v_dot2_f32_f16 v68, v21, v17, v68
	;;#ASMEND
	;;#ASMSTART
	v_dot2_f32_f16 v68, v22, v18, v68
	;;#ASMEND
	s_waitcnt lgkmcnt(1)
	;;#ASMSTART
	v_dot2_f32_f16 v5, v23, v11, v5
	;;#ASMEND
	;;#ASMSTART
	v_dot2_f32_f16 v5, v24, v12, v5
	;;#ASMEND
	;; [unrolled: 3-line block ×8, first 2 shown]
	s_waitcnt lgkmcnt(0)
	;;#ASMSTART
	v_dot2_f32_f16 v6, v27, v11, v6
	;;#ASMEND
	;;#ASMSTART
	v_dot2_f32_f16 v6, v28, v12, v6
	;;#ASMEND
	;; [unrolled: 3-line block ×8, first 2 shown]
	ds_read_b128 v[7:10], v76 offset:128
	ds_read_b128 v[11:14], v75 offset:128
	;; [unrolled: 1-line block ×6, first 2 shown]
	s_waitcnt lgkmcnt(4)
	;;#ASMSTART
	v_dot2_f32_f16 v3, v7, v11, v3
	;;#ASMEND
	;;#ASMSTART
	v_dot2_f32_f16 v3, v8, v12, v3
	;;#ASMEND
	;;#ASMSTART
	v_dot2_f32_f16 v3, v9, v13, v3
	;;#ASMEND
	;;#ASMSTART
	v_dot2_f32_f16 v3, v10, v14, v3
	;;#ASMEND
	s_waitcnt lgkmcnt(3)
	;;#ASMSTART
	v_dot2_f32_f16 v67, v7, v15, v67
	;;#ASMEND
	;;#ASMSTART
	v_dot2_f32_f16 v67, v8, v16, v67
	;;#ASMEND
	;;#ASMSTART
	v_dot2_f32_f16 v67, v9, v17, v67
	;;#ASMEND
	;;#ASMSTART
	v_dot2_f32_f16 v67, v10, v18, v67
	;;#ASMEND
	;; [unrolled: 13-line block ×3, first 2 shown]
	;;#ASMSTART
	v_dot2_f32_f16 v68, v19, v15, v68
	;;#ASMEND
	;;#ASMSTART
	v_dot2_f32_f16 v68, v20, v16, v68
	;;#ASMEND
	;; [unrolled: 3-line block ×4, first 2 shown]
	s_waitcnt lgkmcnt(1)
	;;#ASMSTART
	v_dot2_f32_f16 v5, v23, v11, v5
	;;#ASMEND
	;;#ASMSTART
	v_dot2_f32_f16 v5, v24, v12, v5
	;;#ASMEND
	;; [unrolled: 3-line block ×8, first 2 shown]
	s_waitcnt lgkmcnt(0)
	;;#ASMSTART
	v_dot2_f32_f16 v6, v27, v11, v6
	;;#ASMEND
	;;#ASMSTART
	v_dot2_f32_f16 v6, v28, v12, v6
	;;#ASMEND
	;; [unrolled: 3-line block ×8, first 2 shown]
	ds_read_b128 v[7:10], v76 offset:144
	ds_read_b128 v[11:14], v75 offset:144
	;; [unrolled: 1-line block ×6, first 2 shown]
	s_waitcnt lgkmcnt(4)
	;;#ASMSTART
	v_dot2_f32_f16 v3, v7, v11, v3
	;;#ASMEND
	;;#ASMSTART
	v_dot2_f32_f16 v3, v8, v12, v3
	;;#ASMEND
	;;#ASMSTART
	v_dot2_f32_f16 v3, v9, v13, v3
	;;#ASMEND
	;;#ASMSTART
	v_dot2_f32_f16 v3, v10, v14, v3
	;;#ASMEND
	s_waitcnt lgkmcnt(3)
	;;#ASMSTART
	v_dot2_f32_f16 v67, v7, v15, v67
	;;#ASMEND
	;;#ASMSTART
	v_dot2_f32_f16 v67, v8, v16, v67
	;;#ASMEND
	;;#ASMSTART
	v_dot2_f32_f16 v67, v9, v17, v67
	;;#ASMEND
	;;#ASMSTART
	v_dot2_f32_f16 v67, v10, v18, v67
	;;#ASMEND
	;; [unrolled: 13-line block ×3, first 2 shown]
	;;#ASMSTART
	v_dot2_f32_f16 v68, v19, v15, v68
	;;#ASMEND
	;;#ASMSTART
	v_dot2_f32_f16 v68, v20, v16, v68
	;;#ASMEND
	;; [unrolled: 3-line block ×4, first 2 shown]
	s_waitcnt lgkmcnt(1)
	;;#ASMSTART
	v_dot2_f32_f16 v5, v23, v11, v5
	;;#ASMEND
	;;#ASMSTART
	v_dot2_f32_f16 v5, v24, v12, v5
	;;#ASMEND
	;; [unrolled: 3-line block ×8, first 2 shown]
	s_waitcnt lgkmcnt(0)
	;;#ASMSTART
	v_dot2_f32_f16 v6, v27, v11, v6
	;;#ASMEND
	;;#ASMSTART
	v_dot2_f32_f16 v6, v28, v12, v6
	;;#ASMEND
	;; [unrolled: 3-line block ×8, first 2 shown]
	ds_read_b128 v[7:10], v76 offset:160
	ds_read_b128 v[11:14], v75 offset:160
	;; [unrolled: 1-line block ×6, first 2 shown]
	s_waitcnt lgkmcnt(4)
	;;#ASMSTART
	v_dot2_f32_f16 v3, v7, v11, v3
	;;#ASMEND
	;;#ASMSTART
	v_dot2_f32_f16 v3, v8, v12, v3
	;;#ASMEND
	;;#ASMSTART
	v_dot2_f32_f16 v3, v9, v13, v3
	;;#ASMEND
	;;#ASMSTART
	v_dot2_f32_f16 v3, v10, v14, v3
	;;#ASMEND
	s_waitcnt lgkmcnt(3)
	;;#ASMSTART
	v_dot2_f32_f16 v67, v7, v15, v67
	;;#ASMEND
	;;#ASMSTART
	v_dot2_f32_f16 v67, v8, v16, v67
	;;#ASMEND
	;;#ASMSTART
	v_dot2_f32_f16 v67, v9, v17, v67
	;;#ASMEND
	;;#ASMSTART
	v_dot2_f32_f16 v67, v10, v18, v67
	;;#ASMEND
	;; [unrolled: 13-line block ×3, first 2 shown]
	;;#ASMSTART
	v_dot2_f32_f16 v68, v19, v15, v68
	;;#ASMEND
	;;#ASMSTART
	v_dot2_f32_f16 v68, v20, v16, v68
	;;#ASMEND
	;; [unrolled: 3-line block ×4, first 2 shown]
	s_waitcnt lgkmcnt(1)
	;;#ASMSTART
	v_dot2_f32_f16 v5, v23, v11, v5
	;;#ASMEND
	;;#ASMSTART
	v_dot2_f32_f16 v5, v24, v12, v5
	;;#ASMEND
	;;#ASMSTART
	v_dot2_f32_f16 v5, v25, v13, v5
	;;#ASMEND
	;;#ASMSTART
	v_dot2_f32_f16 v5, v26, v14, v5
	;;#ASMEND
	;;#ASMSTART
	v_dot2_f32_f16 v108, v23, v15, v108
	;;#ASMEND
	;;#ASMSTART
	v_dot2_f32_f16 v108, v24, v16, v108
	;;#ASMEND
	;;#ASMSTART
	v_dot2_f32_f16 v108, v25, v17, v108
	;;#ASMEND
	;;#ASMSTART
	v_dot2_f32_f16 v108, v26, v18, v108
	;;#ASMEND
	s_waitcnt lgkmcnt(0)
	;;#ASMSTART
	v_dot2_f32_f16 v6, v27, v11, v6
	;;#ASMEND
	;;#ASMSTART
	v_dot2_f32_f16 v6, v28, v12, v6
	;;#ASMEND
	;; [unrolled: 3-line block ×8, first 2 shown]
	ds_read_b128 v[7:10], v76 offset:176
	ds_read_b128 v[11:14], v75 offset:176
	;; [unrolled: 1-line block ×6, first 2 shown]
	s_waitcnt lgkmcnt(4)
	;;#ASMSTART
	v_dot2_f32_f16 v3, v7, v11, v3
	;;#ASMEND
	;;#ASMSTART
	v_dot2_f32_f16 v3, v8, v12, v3
	;;#ASMEND
	;;#ASMSTART
	v_dot2_f32_f16 v3, v9, v13, v3
	;;#ASMEND
	;;#ASMSTART
	v_dot2_f32_f16 v3, v10, v14, v3
	;;#ASMEND
	s_waitcnt lgkmcnt(3)
	;;#ASMSTART
	v_dot2_f32_f16 v67, v7, v15, v67
	;;#ASMEND
	;;#ASMSTART
	v_dot2_f32_f16 v67, v8, v16, v67
	;;#ASMEND
	;;#ASMSTART
	v_dot2_f32_f16 v67, v9, v17, v67
	;;#ASMEND
	;;#ASMSTART
	v_dot2_f32_f16 v67, v10, v18, v67
	;;#ASMEND
	;; [unrolled: 13-line block ×3, first 2 shown]
	;;#ASMSTART
	v_dot2_f32_f16 v68, v19, v15, v68
	;;#ASMEND
	;;#ASMSTART
	v_dot2_f32_f16 v68, v20, v16, v68
	;;#ASMEND
	;; [unrolled: 3-line block ×4, first 2 shown]
	s_waitcnt lgkmcnt(1)
	;;#ASMSTART
	v_dot2_f32_f16 v5, v23, v11, v5
	;;#ASMEND
	;;#ASMSTART
	v_dot2_f32_f16 v5, v24, v12, v5
	;;#ASMEND
	;; [unrolled: 3-line block ×8, first 2 shown]
	s_waitcnt lgkmcnt(0)
	;;#ASMSTART
	v_dot2_f32_f16 v6, v27, v11, v6
	;;#ASMEND
	;;#ASMSTART
	v_dot2_f32_f16 v6, v28, v12, v6
	;;#ASMEND
	;; [unrolled: 3-line block ×8, first 2 shown]
	ds_read_b128 v[7:10], v76 offset:192
	ds_read_b128 v[11:14], v75 offset:192
	;; [unrolled: 1-line block ×6, first 2 shown]
	s_waitcnt lgkmcnt(4)
	;;#ASMSTART
	v_dot2_f32_f16 v3, v7, v11, v3
	;;#ASMEND
	;;#ASMSTART
	v_dot2_f32_f16 v3, v8, v12, v3
	;;#ASMEND
	;;#ASMSTART
	v_dot2_f32_f16 v3, v9, v13, v3
	;;#ASMEND
	;;#ASMSTART
	v_dot2_f32_f16 v3, v10, v14, v3
	;;#ASMEND
	s_waitcnt lgkmcnt(3)
	;;#ASMSTART
	v_dot2_f32_f16 v67, v7, v15, v67
	;;#ASMEND
	;;#ASMSTART
	v_dot2_f32_f16 v67, v8, v16, v67
	;;#ASMEND
	;;#ASMSTART
	v_dot2_f32_f16 v67, v9, v17, v67
	;;#ASMEND
	;;#ASMSTART
	v_dot2_f32_f16 v67, v10, v18, v67
	;;#ASMEND
	;; [unrolled: 13-line block ×3, first 2 shown]
	;;#ASMSTART
	v_dot2_f32_f16 v68, v19, v15, v68
	;;#ASMEND
	;;#ASMSTART
	v_dot2_f32_f16 v68, v20, v16, v68
	;;#ASMEND
	;; [unrolled: 3-line block ×4, first 2 shown]
	s_waitcnt lgkmcnt(1)
	;;#ASMSTART
	v_dot2_f32_f16 v5, v23, v11, v5
	;;#ASMEND
	;;#ASMSTART
	v_dot2_f32_f16 v5, v24, v12, v5
	;;#ASMEND
	;; [unrolled: 3-line block ×8, first 2 shown]
	s_waitcnt lgkmcnt(0)
	;;#ASMSTART
	v_dot2_f32_f16 v6, v27, v11, v6
	;;#ASMEND
	;;#ASMSTART
	v_dot2_f32_f16 v6, v28, v12, v6
	;;#ASMEND
	;; [unrolled: 3-line block ×8, first 2 shown]
	ds_read_b128 v[7:10], v76 offset:208
	ds_read_b128 v[11:14], v75 offset:208
	;; [unrolled: 1-line block ×6, first 2 shown]
	s_waitcnt lgkmcnt(4)
	;;#ASMSTART
	v_dot2_f32_f16 v3, v7, v11, v3
	;;#ASMEND
	;;#ASMSTART
	v_dot2_f32_f16 v3, v8, v12, v3
	;;#ASMEND
	;;#ASMSTART
	v_dot2_f32_f16 v3, v9, v13, v3
	;;#ASMEND
	;;#ASMSTART
	v_dot2_f32_f16 v3, v10, v14, v3
	;;#ASMEND
	s_waitcnt lgkmcnt(3)
	;;#ASMSTART
	v_dot2_f32_f16 v67, v7, v15, v67
	;;#ASMEND
	;;#ASMSTART
	v_dot2_f32_f16 v67, v8, v16, v67
	;;#ASMEND
	;;#ASMSTART
	v_dot2_f32_f16 v67, v9, v17, v67
	;;#ASMEND
	;;#ASMSTART
	v_dot2_f32_f16 v67, v10, v18, v67
	;;#ASMEND
	;; [unrolled: 13-line block ×3, first 2 shown]
	;;#ASMSTART
	v_dot2_f32_f16 v68, v19, v15, v68
	;;#ASMEND
	;;#ASMSTART
	v_dot2_f32_f16 v68, v20, v16, v68
	;;#ASMEND
	;; [unrolled: 3-line block ×4, first 2 shown]
	s_waitcnt lgkmcnt(1)
	;;#ASMSTART
	v_dot2_f32_f16 v5, v23, v11, v5
	;;#ASMEND
	;;#ASMSTART
	v_dot2_f32_f16 v5, v24, v12, v5
	;;#ASMEND
	;; [unrolled: 3-line block ×8, first 2 shown]
	s_waitcnt lgkmcnt(0)
	;;#ASMSTART
	v_dot2_f32_f16 v6, v27, v11, v6
	;;#ASMEND
	;;#ASMSTART
	v_dot2_f32_f16 v6, v28, v12, v6
	;;#ASMEND
	;; [unrolled: 3-line block ×8, first 2 shown]
	ds_read_b128 v[7:10], v76 offset:224
	ds_read_b128 v[11:14], v75 offset:224
	;; [unrolled: 1-line block ×6, first 2 shown]
	s_waitcnt lgkmcnt(4)
	;;#ASMSTART
	v_dot2_f32_f16 v3, v7, v11, v3
	;;#ASMEND
	;;#ASMSTART
	v_dot2_f32_f16 v3, v8, v12, v3
	;;#ASMEND
	;;#ASMSTART
	v_dot2_f32_f16 v3, v9, v13, v3
	;;#ASMEND
	;;#ASMSTART
	v_dot2_f32_f16 v3, v10, v14, v3
	;;#ASMEND
	s_waitcnt lgkmcnt(3)
	;;#ASMSTART
	v_dot2_f32_f16 v67, v7, v15, v67
	;;#ASMEND
	;;#ASMSTART
	v_dot2_f32_f16 v67, v8, v16, v67
	;;#ASMEND
	;;#ASMSTART
	v_dot2_f32_f16 v67, v9, v17, v67
	;;#ASMEND
	;;#ASMSTART
	v_dot2_f32_f16 v67, v10, v18, v67
	;;#ASMEND
	;; [unrolled: 13-line block ×3, first 2 shown]
	;;#ASMSTART
	v_dot2_f32_f16 v68, v19, v15, v68
	;;#ASMEND
	;;#ASMSTART
	v_dot2_f32_f16 v68, v20, v16, v68
	;;#ASMEND
	;; [unrolled: 3-line block ×4, first 2 shown]
	s_waitcnt lgkmcnt(1)
	;;#ASMSTART
	v_dot2_f32_f16 v5, v23, v11, v5
	;;#ASMEND
	;;#ASMSTART
	v_dot2_f32_f16 v5, v24, v12, v5
	;;#ASMEND
	;; [unrolled: 3-line block ×8, first 2 shown]
	s_waitcnt lgkmcnt(0)
	;;#ASMSTART
	v_dot2_f32_f16 v6, v27, v11, v6
	;;#ASMEND
	;;#ASMSTART
	v_dot2_f32_f16 v6, v28, v12, v6
	;;#ASMEND
	;; [unrolled: 3-line block ×8, first 2 shown]
	ds_read_b128 v[7:10], v76 offset:240
	ds_read_b128 v[11:14], v75 offset:240
	;; [unrolled: 1-line block ×6, first 2 shown]
	s_waitcnt lgkmcnt(4)
	;;#ASMSTART
	v_dot2_f32_f16 v3, v7, v11, v3
	;;#ASMEND
	;;#ASMSTART
	v_dot2_f32_f16 v3, v8, v12, v3
	;;#ASMEND
	;;#ASMSTART
	v_dot2_f32_f16 v3, v9, v13, v3
	;;#ASMEND
	;;#ASMSTART
	v_dot2_f32_f16 v3, v10, v14, v3
	;;#ASMEND
	s_waitcnt lgkmcnt(3)
	;;#ASMSTART
	v_dot2_f32_f16 v67, v7, v15, v67
	;;#ASMEND
	;;#ASMSTART
	v_dot2_f32_f16 v67, v8, v16, v67
	;;#ASMEND
	;;#ASMSTART
	v_dot2_f32_f16 v67, v9, v17, v67
	;;#ASMEND
	;;#ASMSTART
	v_dot2_f32_f16 v67, v10, v18, v67
	;;#ASMEND
	;; [unrolled: 13-line block ×3, first 2 shown]
	;;#ASMSTART
	v_dot2_f32_f16 v68, v19, v15, v68
	;;#ASMEND
	;;#ASMSTART
	v_dot2_f32_f16 v68, v20, v16, v68
	;;#ASMEND
	;; [unrolled: 3-line block ×4, first 2 shown]
	s_waitcnt lgkmcnt(1)
	;;#ASMSTART
	v_dot2_f32_f16 v5, v23, v11, v5
	;;#ASMEND
	;;#ASMSTART
	v_dot2_f32_f16 v5, v24, v12, v5
	;;#ASMEND
	;; [unrolled: 3-line block ×8, first 2 shown]
	s_waitcnt lgkmcnt(0)
	;;#ASMSTART
	v_dot2_f32_f16 v6, v27, v11, v6
	;;#ASMEND
	v_cmp_ngt_f32_e64 s18, 0x3f200000, |v3|
	;;#ASMSTART
	v_dot2_f32_f16 v6, v28, v12, v6
	;;#ASMEND
	;;#ASMSTART
	v_dot2_f32_f16 v6, v29, v13, v6
	;;#ASMEND
	;; [unrolled: 3-line block ×7, first 2 shown]
                                        ; implicit-def: $vgpr7
	s_and_saveexec_b32 s19, s18
	s_xor_b32 s18, exec_lo, s19
	s_cbranch_execz .LBB77_11
; %bb.10:                               ;   in Loop: Header=BB77_9 Depth=1
	v_add_f32_e64 v1, |v3|, |v3|
	v_mul_f32_e32 v2, 0x3fb8aa3b, v1
	v_cmp_ngt_f32_e32 vcc_lo, 0xc2ce8ed0, v1
	v_rndne_f32_e32 v7, v2
	v_fma_f32 v8, 0x3fb8aa3b, v1, -v2
	v_sub_f32_e32 v2, v2, v7
	v_fmac_f32_e32 v8, 0x32a5705f, v1
	v_cvt_i32_f32_e32 v7, v7
	v_add_f32_e32 v2, v2, v8
	v_exp_f32_e32 v2, v2
	v_ldexp_f32 v2, v2, v7
	v_cndmask_b32_e32 v2, 0, v2, vcc_lo
	v_cmp_nlt_f32_e32 vcc_lo, 0x42b17218, v1
	v_cndmask_b32_e32 v1, 0x7f800000, v2, vcc_lo
	v_add_f32_e32 v1, 1.0, v1
	v_rcp_f32_e32 v1, v1
	v_fma_f32 v7, v1, -2.0, 1.0
.LBB77_11:                              ;   in Loop: Header=BB77_9 Depth=1
	s_andn2_saveexec_b32 s18, s18
	s_cbranch_execz .LBB77_13
; %bb.12:                               ;   in Loop: Header=BB77_9 Depth=1
	v_mul_f32_e32 v1, v3, v3
	v_fmaak_f32 v2, s15, v1, 0x3ca908c9
	v_fmaak_f32 v2, v1, v2, 0xbd5c1c4e
	;; [unrolled: 1-line block ×4, first 2 shown]
	v_mul_f32_e64 v2, |v3|, v2
	v_fma_f32 v7, v1, v2, |v3|
.LBB77_13:                              ;   in Loop: Header=BB77_9 Depth=1
	s_or_b32 exec_lo, exec_lo, s18
	v_add_nc_u32_e32 v1, s6, v34
	v_cmp_ngt_f32_e64 s18, 0x3f200000, |v4|
                                        ; implicit-def: $vgpr8
	v_ashrrev_i32_e32 v2, 31, v1
	v_lshlrev_b64 v[1:2], 1, v[1:2]
	v_add_co_u32 v1, vcc_lo, s34, v1
	v_add_co_ci_u32_e64 v2, null, s35, v2, vcc_lo
	global_load_ushort v116, v[1:2], off
	s_and_saveexec_b32 s19, s18
	s_xor_b32 s18, exec_lo, s19
	s_cbranch_execz .LBB77_15
; %bb.14:                               ;   in Loop: Header=BB77_9 Depth=1
	v_add_f32_e64 v8, |v4|, |v4|
	v_mul_f32_e32 v9, 0x3fb8aa3b, v8
	v_cmp_ngt_f32_e32 vcc_lo, 0xc2ce8ed0, v8
	v_rndne_f32_e32 v10, v9
	v_fma_f32 v11, 0x3fb8aa3b, v8, -v9
	v_sub_f32_e32 v9, v9, v10
	v_fmac_f32_e32 v11, 0x32a5705f, v8
	v_cvt_i32_f32_e32 v10, v10
	v_add_f32_e32 v9, v9, v11
	v_exp_f32_e32 v9, v9
	v_ldexp_f32 v9, v9, v10
	v_cndmask_b32_e32 v9, 0, v9, vcc_lo
	v_cmp_nlt_f32_e32 vcc_lo, 0x42b17218, v8
	v_cndmask_b32_e32 v8, 0x7f800000, v9, vcc_lo
	v_add_f32_e32 v8, 1.0, v8
	v_rcp_f32_e32 v8, v8
	v_fma_f32 v8, v8, -2.0, 1.0
.LBB77_15:                              ;   in Loop: Header=BB77_9 Depth=1
	s_andn2_saveexec_b32 s18, s18
	s_cbranch_execz .LBB77_17
; %bb.16:                               ;   in Loop: Header=BB77_9 Depth=1
	v_mul_f32_e32 v8, v4, v4
	v_fmaak_f32 v9, s15, v8, 0x3ca908c9
	v_fmaak_f32 v9, v8, v9, 0xbd5c1c4e
	;; [unrolled: 1-line block ×4, first 2 shown]
	v_mul_f32_e64 v9, |v4|, v9
	v_fma_f32 v8, v8, v9, |v4|
.LBB77_17:                              ;   in Loop: Header=BB77_9 Depth=1
	s_or_b32 exec_lo, exec_lo, s18
	global_load_ushort v117, v[1:2], off offset:64
	v_cmp_ngt_f32_e64 s18, 0x3f200000, |v5|
                                        ; implicit-def: $vgpr9
	s_and_saveexec_b32 s19, s18
	s_xor_b32 s18, exec_lo, s19
	s_cbranch_execz .LBB77_19
; %bb.18:                               ;   in Loop: Header=BB77_9 Depth=1
	v_add_f32_e64 v9, |v5|, |v5|
	v_mul_f32_e32 v10, 0x3fb8aa3b, v9
	v_cmp_ngt_f32_e32 vcc_lo, 0xc2ce8ed0, v9
	v_rndne_f32_e32 v11, v10
	v_fma_f32 v12, 0x3fb8aa3b, v9, -v10
	v_sub_f32_e32 v10, v10, v11
	v_fmac_f32_e32 v12, 0x32a5705f, v9
	v_cvt_i32_f32_e32 v11, v11
	v_add_f32_e32 v10, v10, v12
	v_exp_f32_e32 v10, v10
	v_ldexp_f32 v10, v10, v11
	v_cndmask_b32_e32 v10, 0, v10, vcc_lo
	v_cmp_nlt_f32_e32 vcc_lo, 0x42b17218, v9
	v_cndmask_b32_e32 v9, 0x7f800000, v10, vcc_lo
	v_add_f32_e32 v9, 1.0, v9
	v_rcp_f32_e32 v9, v9
	v_fma_f32 v9, v9, -2.0, 1.0
.LBB77_19:                              ;   in Loop: Header=BB77_9 Depth=1
	s_andn2_saveexec_b32 s18, s18
	s_cbranch_execz .LBB77_21
; %bb.20:                               ;   in Loop: Header=BB77_9 Depth=1
	v_mul_f32_e32 v9, v5, v5
	v_fmaak_f32 v10, s15, v9, 0x3ca908c9
	v_fmaak_f32 v10, v9, v10, 0xbd5c1c4e
	;; [unrolled: 1-line block ×4, first 2 shown]
	v_mul_f32_e64 v10, |v5|, v10
	v_fma_f32 v9, v9, v10, |v5|
.LBB77_21:                              ;   in Loop: Header=BB77_9 Depth=1
	s_or_b32 exec_lo, exec_lo, s18
	global_load_ushort v118, v[1:2], off offset:128
	v_cmp_ngt_f32_e64 s18, 0x3f200000, |v6|
                                        ; implicit-def: $vgpr10
	s_and_saveexec_b32 s19, s18
	s_xor_b32 s18, exec_lo, s19
	s_cbranch_execz .LBB77_23
; %bb.22:                               ;   in Loop: Header=BB77_9 Depth=1
	v_add_f32_e64 v10, |v6|, |v6|
	v_mul_f32_e32 v11, 0x3fb8aa3b, v10
	v_cmp_ngt_f32_e32 vcc_lo, 0xc2ce8ed0, v10
	v_rndne_f32_e32 v12, v11
	v_fma_f32 v13, 0x3fb8aa3b, v10, -v11
	v_sub_f32_e32 v11, v11, v12
	v_fmac_f32_e32 v13, 0x32a5705f, v10
	v_cvt_i32_f32_e32 v12, v12
	v_add_f32_e32 v11, v11, v13
	v_exp_f32_e32 v11, v11
	v_ldexp_f32 v11, v11, v12
	v_cndmask_b32_e32 v11, 0, v11, vcc_lo
	v_cmp_nlt_f32_e32 vcc_lo, 0x42b17218, v10
	v_cndmask_b32_e32 v10, 0x7f800000, v11, vcc_lo
	v_add_f32_e32 v10, 1.0, v10
	v_rcp_f32_e32 v10, v10
	v_fma_f32 v10, v10, -2.0, 1.0
.LBB77_23:                              ;   in Loop: Header=BB77_9 Depth=1
	s_andn2_saveexec_b32 s18, s18
	s_cbranch_execz .LBB77_25
; %bb.24:                               ;   in Loop: Header=BB77_9 Depth=1
	v_mul_f32_e32 v10, v6, v6
	v_fmaak_f32 v11, s15, v10, 0x3ca908c9
	v_fmaak_f32 v11, v10, v11, 0xbd5c1c4e
	v_fmaak_f32 v11, v10, v11, 0x3e088382
	v_fmaak_f32 v11, v10, v11, 0xbeaaaa99
	v_mul_f32_e64 v11, |v6|, v11
	v_fma_f32 v10, v10, v11, |v6|
.LBB77_25:                              ;   in Loop: Header=BB77_9 Depth=1
	s_or_b32 exec_lo, exec_lo, s18
	global_load_ushort v119, v[1:2], off offset:192
	v_bfi_b32 v1, 0x7fffffff, v7, v3
	v_bfi_b32 v2, 0x7fffffff, v8, v4
	;; [unrolled: 1-line block ×3, first 2 shown]
	v_xor_b32_e32 v107, 16, v72
	v_xor_b32_e32 v103, 8, v72
	s_waitcnt vmcnt(3)
	v_fma_mix_f32 v112, s14, v1, v116 op_sel_hi:[0,0,1]
	s_waitcnt vmcnt(2)
	v_fma_mix_f32 v113, s14, v2, v117 op_sel_hi:[0,0,1]
	v_bfi_b32 v1, 0x7fffffff, v9, v5
	v_cmp_gt_i32_e32 vcc_lo, 32, v107
	v_xor_b32_e32 v104, 4, v72
	v_add_f32_e32 v2, 0x40051340, v112
	v_add_f32_e32 v4, 0x40051340, v113
	s_waitcnt vmcnt(1)
	v_fma_mix_f32 v114, s14, v1, v118 op_sel_hi:[0,0,1]
	v_xor_b32_e32 v105, 2, v72
	v_xor_b32_e32 v106, 1, v72
	v_cmp_ngt_f32_e64 s18, 0x3f200000, |v67|
	v_max3_f32 v1, v102, v2, v4
	v_add_f32_e32 v2, 0x40051340, v114
                                        ; implicit-def: $vgpr125
	s_waitcnt vmcnt(0)
	v_fma_mix_f32 v115, s14, v3, v119 op_sel_hi:[0,0,1]
	v_cndmask_b32_e32 v3, v72, v107, vcc_lo
	v_cmp_gt_i32_e32 vcc_lo, 32, v103
	v_add_f32_e32 v4, 0x40051340, v115
	v_lshlrev_b32_e32 v120, 2, v3
	v_cndmask_b32_e32 v3, v72, v103, vcc_lo
	v_cmp_gt_i32_e32 vcc_lo, 32, v104
	v_max3_f32 v1, v1, v2, v4
	v_lshlrev_b32_e32 v121, 2, v3
	v_cndmask_b32_e32 v3, v72, v104, vcc_lo
	v_cmp_gt_i32_e32 vcc_lo, 32, v105
	ds_bpermute_b32 v2, v120, v1
	v_lshlrev_b32_e32 v122, 2, v3
	v_cndmask_b32_e32 v3, v72, v105, vcc_lo
	v_cmp_gt_i32_e32 vcc_lo, 32, v106
	v_lshlrev_b32_e32 v111, 2, v3
	v_cndmask_b32_e32 v3, v72, v106, vcc_lo
	v_lshlrev_b32_e32 v110, 2, v3
	s_waitcnt lgkmcnt(0)
	v_max_f32_e32 v2, v2, v2
	v_max_f32_e32 v1, v1, v2
	ds_bpermute_b32 v2, v121, v1
	s_waitcnt lgkmcnt(0)
	v_max_f32_e32 v2, v2, v2
	v_max_f32_e32 v1, v1, v2
	ds_bpermute_b32 v2, v122, v1
	;; [unrolled: 4-line block ×4, first 2 shown]
	s_and_saveexec_b32 s19, s18
	s_xor_b32 s18, exec_lo, s19
	s_cbranch_execz .LBB77_27
; %bb.26:                               ;   in Loop: Header=BB77_9 Depth=1
	v_add_f32_e64 v1, |v67|, |v67|
	v_mul_f32_e32 v2, 0x3fb8aa3b, v1
	v_cmp_ngt_f32_e32 vcc_lo, 0xc2ce8ed0, v1
	v_rndne_f32_e32 v3, v2
	v_fma_f32 v4, 0x3fb8aa3b, v1, -v2
	v_sub_f32_e32 v2, v2, v3
	v_fmac_f32_e32 v4, 0x32a5705f, v1
	v_cvt_i32_f32_e32 v3, v3
	v_add_f32_e32 v2, v2, v4
	v_exp_f32_e32 v2, v2
	v_ldexp_f32 v2, v2, v3
	v_cndmask_b32_e32 v2, 0, v2, vcc_lo
	v_cmp_nlt_f32_e32 vcc_lo, 0x42b17218, v1
	v_cndmask_b32_e32 v1, 0x7f800000, v2, vcc_lo
	v_add_f32_e32 v1, 1.0, v1
	v_rcp_f32_e32 v1, v1
	v_fma_f32 v125, v1, -2.0, 1.0
.LBB77_27:                              ;   in Loop: Header=BB77_9 Depth=1
	s_andn2_saveexec_b32 s18, s18
	s_cbranch_execz .LBB77_29
; %bb.28:                               ;   in Loop: Header=BB77_9 Depth=1
	v_mul_f32_e32 v1, v67, v67
	v_fmaak_f32 v2, s15, v1, 0x3ca908c9
	v_fmaak_f32 v2, v1, v2, 0xbd5c1c4e
	;; [unrolled: 1-line block ×4, first 2 shown]
	v_mul_f32_e64 v2, |v67|, v2
	v_fma_f32 v125, v1, v2, |v67|
.LBB77_29:                              ;   in Loop: Header=BB77_9 Depth=1
	s_or_b32 exec_lo, exec_lo, s18
	v_cmp_ngt_f32_e64 s18, 0x3f200000, |v68|
                                        ; implicit-def: $vgpr126
	s_and_saveexec_b32 s19, s18
	s_xor_b32 s18, exec_lo, s19
	s_cbranch_execz .LBB77_31
; %bb.30:                               ;   in Loop: Header=BB77_9 Depth=1
	v_add_f32_e64 v1, |v68|, |v68|
	v_mul_f32_e32 v2, 0x3fb8aa3b, v1
	v_cmp_ngt_f32_e32 vcc_lo, 0xc2ce8ed0, v1
	v_rndne_f32_e32 v3, v2
	v_fma_f32 v4, 0x3fb8aa3b, v1, -v2
	v_sub_f32_e32 v2, v2, v3
	v_fmac_f32_e32 v4, 0x32a5705f, v1
	v_cvt_i32_f32_e32 v3, v3
	v_add_f32_e32 v2, v2, v4
	v_exp_f32_e32 v2, v2
	v_ldexp_f32 v2, v2, v3
	v_cndmask_b32_e32 v2, 0, v2, vcc_lo
	v_cmp_nlt_f32_e32 vcc_lo, 0x42b17218, v1
	v_cndmask_b32_e32 v1, 0x7f800000, v2, vcc_lo
	v_add_f32_e32 v1, 1.0, v1
	v_rcp_f32_e32 v1, v1
	v_fma_f32 v126, v1, -2.0, 1.0
.LBB77_31:                              ;   in Loop: Header=BB77_9 Depth=1
	s_andn2_saveexec_b32 s18, s18
	s_cbranch_execz .LBB77_33
; %bb.32:                               ;   in Loop: Header=BB77_9 Depth=1
	v_mul_f32_e32 v1, v68, v68
	v_fmaak_f32 v2, s15, v1, 0x3ca908c9
	v_fmaak_f32 v2, v1, v2, 0xbd5c1c4e
	;; [unrolled: 1-line block ×4, first 2 shown]
	v_mul_f32_e64 v2, |v68|, v2
	v_fma_f32 v126, v1, v2, |v68|
.LBB77_33:                              ;   in Loop: Header=BB77_9 Depth=1
	s_or_b32 exec_lo, exec_lo, s18
	v_cmp_ngt_f32_e64 s18, 0x3f200000, |v108|
                                        ; implicit-def: $vgpr127
	s_and_saveexec_b32 s19, s18
	s_xor_b32 s18, exec_lo, s19
	s_cbranch_execz .LBB77_35
; %bb.34:                               ;   in Loop: Header=BB77_9 Depth=1
	v_add_f32_e64 v1, |v108|, |v108|
	v_mul_f32_e32 v2, 0x3fb8aa3b, v1
	v_cmp_ngt_f32_e32 vcc_lo, 0xc2ce8ed0, v1
	v_rndne_f32_e32 v3, v2
	v_fma_f32 v4, 0x3fb8aa3b, v1, -v2
	v_sub_f32_e32 v2, v2, v3
	v_fmac_f32_e32 v4, 0x32a5705f, v1
	v_cvt_i32_f32_e32 v3, v3
	v_add_f32_e32 v2, v2, v4
	v_exp_f32_e32 v2, v2
	v_ldexp_f32 v2, v2, v3
	v_cndmask_b32_e32 v2, 0, v2, vcc_lo
	v_cmp_nlt_f32_e32 vcc_lo, 0x42b17218, v1
	v_cndmask_b32_e32 v1, 0x7f800000, v2, vcc_lo
	v_add_f32_e32 v1, 1.0, v1
	v_rcp_f32_e32 v1, v1
	v_fma_f32 v127, v1, -2.0, 1.0
.LBB77_35:                              ;   in Loop: Header=BB77_9 Depth=1
	s_andn2_saveexec_b32 s18, s18
	s_cbranch_execz .LBB77_37
; %bb.36:                               ;   in Loop: Header=BB77_9 Depth=1
	v_mul_f32_e32 v1, v108, v108
	v_fmaak_f32 v2, s15, v1, 0x3ca908c9
	v_fmaak_f32 v2, v1, v2, 0xbd5c1c4e
	;; [unrolled: 1-line block ×4, first 2 shown]
	v_mul_f32_e64 v2, |v108|, v2
	v_fma_f32 v127, v1, v2, |v108|
.LBB77_37:                              ;   in Loop: Header=BB77_9 Depth=1
	s_or_b32 exec_lo, exec_lo, s18
	v_cmp_ngt_f32_e64 s18, 0x3f200000, |v109|
                                        ; implicit-def: $vgpr128
	s_and_saveexec_b32 s19, s18
	s_xor_b32 s18, exec_lo, s19
	s_cbranch_execz .LBB77_39
; %bb.38:                               ;   in Loop: Header=BB77_9 Depth=1
	v_add_f32_e64 v1, |v109|, |v109|
	v_mul_f32_e32 v2, 0x3fb8aa3b, v1
	v_cmp_ngt_f32_e32 vcc_lo, 0xc2ce8ed0, v1
	v_rndne_f32_e32 v3, v2
	v_fma_f32 v4, 0x3fb8aa3b, v1, -v2
	v_sub_f32_e32 v2, v2, v3
	v_fmac_f32_e32 v4, 0x32a5705f, v1
	v_cvt_i32_f32_e32 v3, v3
	v_add_f32_e32 v2, v2, v4
	v_exp_f32_e32 v2, v2
	v_ldexp_f32 v2, v2, v3
	v_cndmask_b32_e32 v2, 0, v2, vcc_lo
	v_cmp_nlt_f32_e32 vcc_lo, 0x42b17218, v1
	v_cndmask_b32_e32 v1, 0x7f800000, v2, vcc_lo
	v_add_f32_e32 v1, 1.0, v1
	v_rcp_f32_e32 v1, v1
	v_fma_f32 v128, v1, -2.0, 1.0
.LBB77_39:                              ;   in Loop: Header=BB77_9 Depth=1
	s_andn2_saveexec_b32 s18, s18
	s_cbranch_execz .LBB77_41
; %bb.40:                               ;   in Loop: Header=BB77_9 Depth=1
	v_mul_f32_e32 v1, v109, v109
	v_fmaak_f32 v2, s15, v1, 0x3ca908c9
	v_fmaak_f32 v2, v1, v2, 0xbd5c1c4e
	;; [unrolled: 1-line block ×4, first 2 shown]
	v_mul_f32_e64 v2, |v109|, v2
	v_fma_f32 v128, v1, v2, |v109|
.LBB77_41:                              ;   in Loop: Header=BB77_9 Depth=1
	s_or_b32 exec_lo, exec_lo, s18
	s_mul_hi_i32 s19, s6, s8
	s_mul_i32 s18, s6, s8
	s_waitcnt lgkmcnt(0)
	s_lshl_b64 s[18:19], s[18:19], 2
	s_barrier
	s_add_u32 s18, s12, s18
	s_addc_u32 s19, s13, s19
	v_add_co_u32 v1, vcc_lo, s18, v51
	v_add_co_ci_u32_e64 v2, null, s19, v52, vcc_lo
	v_add_co_u32 v3, vcc_lo, s18, v53
	v_add_co_ci_u32_e64 v4, null, s19, v54, vcc_lo
	;; [unrolled: 2-line block ×16, first 2 shown]
	buffer_gl0_inv
	s_clause 0x7
	global_load_dwordx4 v[1:4], v[1:2], off
	global_load_dwordx4 v[5:8], v[5:6], off
	;; [unrolled: 1-line block ×8, first 2 shown]
	v_cvt_f32_f16_e32 v116, v116
	v_bfi_b32 v67, 0x7fffffff, v125, v67
	v_cvt_f32_f16_e32 v125, v117
	v_bfi_b32 v68, 0x7fffffff, v126, v68
	v_cvt_f32_f16_e32 v129, v118
	v_cvt_f32_f16_e32 v126, v119
	v_fmac_f32_e32 v116, s14, v67
	v_bfi_b32 v67, 0x7fffffff, v127, v108
	v_bfi_b32 v108, 0x7fffffff, v128, v109
	v_fmac_f32_e32 v125, s14, v68
	v_add_nc_u32_e32 v117, v85, v70
	v_add_f32_e32 v68, 0x40051340, v116
	v_fmac_f32_e32 v129, s14, v67
	v_fmac_f32_e32 v126, s14, v108
	v_add_f32_e32 v67, 0x40051340, v125
	v_add_nc_u32_e32 v182, 0x1800, v71
	v_add_nc_u32_e32 v118, 0x800, v71
	v_add_f32_e32 v108, 0x40051340, v129
	v_add_f32_e32 v109, 0x40051340, v126
	v_max3_f32 v67, v101, v68, v67
	v_max3_f32 v67, v67, v108, v109
	v_max_f32_e32 v108, v124, v124
	ds_bpermute_b32 v68, v120, v67
	v_add_nc_u32_e32 v120, 0x2000, v71
	s_waitcnt lgkmcnt(0)
	v_max_f32_e32 v68, v68, v68
	v_max_f32_e32 v67, v67, v68
	ds_bpermute_b32 v68, v121, v67
	v_add_nc_u32_e32 v121, 0x1000, v71
	s_waitcnt lgkmcnt(0)
	v_max_f32_e32 v68, v68, v68
	v_max_f32_e32 v68, v67, v68
	;; [unrolled: 1-line block ×3, first 2 shown]
	ds_bpermute_b32 v109, v122, v68
	v_max_f32_e32 v67, v67, v108
	v_sub_f32_e32 v108, v112, v67
	v_sub_f32_e32 v112, v113, v67
	;; [unrolled: 1-line block ×5, first 2 shown]
	v_mul_f32_e32 v115, 0x3fb8aa3b, v108
	v_mul_f32_e32 v119, 0x3fb8aa3b, v112
	;; [unrolled: 1-line block ×5, first 2 shown]
	v_fma_f32 v127, 0x3fb8aa3b, v108, -v115
	v_rndne_f32_e32 v128, v115
	v_fma_f32 v130, 0x3fb8aa3b, v112, -v119
	v_rndne_f32_e32 v131, v119
	s_waitcnt lgkmcnt(0)
	v_max_f32_e32 v109, v109, v109
	v_fmac_f32_e32 v127, 0x32a5705f, v108
	v_sub_f32_e32 v115, v115, v128
	v_fma_f32 v132, 0x3fb8aa3b, v113, -v122
	v_rndne_f32_e32 v133, v122
	v_max_f32_e32 v68, v68, v109
	v_fma_f32 v109, 0x3fb8aa3b, v102, -v124
	v_rndne_f32_e32 v136, v124
	v_fmac_f32_e32 v130, 0x32a5705f, v112
	v_sub_f32_e32 v119, v119, v131
	ds_bpermute_b32 v111, v111, v68
	v_add_f32_e32 v115, v115, v127
	v_fma_f32 v134, 0x3fb8aa3b, v114, -v123
	v_rndne_f32_e32 v135, v123
	v_fmac_f32_e32 v132, 0x32a5705f, v113
	v_sub_f32_e32 v122, v122, v133
	v_fmac_f32_e32 v109, 0x32a5705f, v102
	v_sub_f32_e32 v124, v124, v136
	v_add_f32_e32 v119, v119, v130
	v_exp_f32_e32 v115, v115
	v_fmac_f32_e32 v134, 0x32a5705f, v114
	v_sub_f32_e32 v123, v123, v135
	v_cvt_i32_f32_e32 v128, v128
	v_add_f32_e32 v109, v124, v109
	v_add_f32_e32 v122, v122, v132
	v_exp_f32_e32 v119, v119
	v_cvt_i32_f32_e32 v131, v131
	v_add_f32_e32 v123, v123, v134
	v_exp_f32_e32 v109, v109
	v_exp_f32_e32 v122, v122
	s_waitcnt lgkmcnt(0)
	v_max_f32_e32 v111, v111, v111
	v_cmp_ngt_f32_e32 vcc_lo, 0xc2ce8ed0, v108
	v_exp_f32_e32 v123, v123
	v_cvt_i32_f32_e32 v124, v136
	v_cvt_i32_f32_e32 v127, v133
	v_max_f32_e32 v68, v68, v111
	v_ldexp_f32 v111, v115, v128
	v_ldexp_f32 v115, v119, v131
	v_cvt_i32_f32_e32 v130, v135
	v_ldexp_f32 v109, v109, v124
	v_ldexp_f32 v119, v122, v127
	v_cndmask_b32_e32 v111, 0, v111, vcc_lo
	v_cmp_ngt_f32_e32 vcc_lo, 0xc2ce8ed0, v112
	ds_bpermute_b32 v122, v110, v68
	v_ldexp_f32 v110, v123, v130
	v_cndmask_b32_e32 v115, 0, v115, vcc_lo
	v_cmp_ngt_f32_e32 vcc_lo, 0xc2ce8ed0, v102
	v_cndmask_b32_e32 v123, 0, v109, vcc_lo
	v_cmp_ngt_f32_e32 vcc_lo, 0xc2ce8ed0, v113
	v_cndmask_b32_e32 v119, 0, v119, vcc_lo
	v_cmp_ngt_f32_e32 vcc_lo, 0xc2ce8ed0, v114
	v_cndmask_b32_e32 v124, 0, v110, vcc_lo
	v_cmp_nlt_f32_e32 vcc_lo, 0x42b17218, v108
	v_cndmask_b32_e32 v109, 0x7f800000, v111, vcc_lo
	v_cmp_nlt_f32_e32 vcc_lo, 0x42b17218, v112
	s_waitcnt lgkmcnt(0)
	v_max_f32_e32 v112, v122, v122
	v_cvt_f16_f32_e32 v122, v109
	v_cndmask_b32_e32 v111, 0x7f800000, v115, vcc_lo
	v_cmp_nlt_f32_e32 vcc_lo, 0x42b17218, v102
	v_max_f32_e32 v68, v68, v112
	v_cndmask_b32_e32 v102, 0x7f800000, v123, vcc_lo
	v_sub_f32_e32 v101, v101, v68
	v_cmp_nlt_f32_e32 vcc_lo, 0x42b17218, v113
	v_sub_f32_e32 v112, v116, v68
	v_sub_f32_e32 v116, v129, v68
	v_cvt_f16_f32_e32 v113, v102
	v_mul_f32_e32 v129, 0x3fb8aa3b, v101
	v_cndmask_b32_e32 v110, 0x7f800000, v119, vcc_lo
	v_cmp_nlt_f32_e32 vcc_lo, 0x42b17218, v114
	v_mul_f32_e32 v114, 0x3fb8aa3b, v112
	v_mul_u32_u24_sdwa v119, v113, v94 dst_sel:DWORD dst_unused:UNUSED_PAD src0_sel:WORD_0 src1_sel:DWORD
	v_sub_f32_e32 v113, v125, v68
	v_fma_f32 v138, 0x3fb8aa3b, v101, -v129
	v_rndne_f32_e32 v139, v129
	v_fma_f32 v130, 0x3fb8aa3b, v112, -v114
	v_rndne_f32_e32 v131, v114
	v_mul_f32_e32 v115, 0x3fb8aa3b, v113
	v_fmac_f32_e32 v138, 0x32a5705f, v101
	v_sub_f32_e32 v129, v129, v139
	v_sub_f32_e32 v125, v126, v68
	v_mul_f32_e32 v126, 0x3fb8aa3b, v116
	v_fma_f32 v132, 0x3fb8aa3b, v113, -v115
	v_rndne_f32_e32 v133, v115
	v_fmac_f32_e32 v130, 0x32a5705f, v112
	v_sub_f32_e32 v114, v114, v131
	v_add_f32_e32 v129, v129, v138
	v_mul_f32_e32 v128, 0x3fb8aa3b, v125
	v_fma_f32 v134, 0x3fb8aa3b, v116, -v126
	v_rndne_f32_e32 v135, v126
	v_fmac_f32_e32 v132, 0x32a5705f, v113
	v_sub_f32_e32 v115, v115, v133
	v_add_f32_e32 v114, v114, v130
	v_exp_f32_e32 v129, v129
	v_fma_f32 v136, 0x3fb8aa3b, v125, -v128
	v_rndne_f32_e32 v137, v128
	v_fmac_f32_e32 v134, 0x32a5705f, v116
	v_sub_f32_e32 v126, v126, v135
	v_add_f32_e32 v115, v115, v132
	v_exp_f32_e32 v114, v114
	v_cvt_i32_f32_e32 v130, v139
	v_cndmask_b32_e32 v108, 0x7f800000, v124, vcc_lo
	v_fmac_f32_e32 v136, 0x32a5705f, v125
	v_sub_f32_e32 v128, v128, v137
	v_add_f32_e32 v126, v126, v134
	v_exp_f32_e32 v115, v115
	v_cvt_i32_f32_e32 v131, v131
	v_ldexp_f32 v129, v129, v130
	v_cmp_ngt_f32_e32 vcc_lo, 0xc2ce8ed0, v101
	v_add_f32_e32 v128, v128, v136
	v_exp_f32_e32 v126, v126
	v_cvt_i32_f32_e32 v132, v133
	v_ldexp_f32 v114, v114, v131
	v_cndmask_b32_e32 v129, 0, v129, vcc_lo
	v_cmp_ngt_f32_e32 vcc_lo, 0xc2ce8ed0, v112
	v_exp_f32_e32 v128, v128
	v_cvt_i32_f32_e32 v133, v135
	v_ldexp_f32 v115, v115, v132
	v_cvt_i32_f32_e32 v134, v137
	v_cndmask_b32_e32 v114, 0, v114, vcc_lo
	v_cmp_ngt_f32_e32 vcc_lo, 0xc2ce8ed0, v113
	v_ldexp_f32 v126, v126, v133
	v_cvt_f16_f32_e32 v123, v111
	v_cvt_f16_f32_e32 v124, v110
	;; [unrolled: 1-line block ×3, first 2 shown]
	v_cndmask_b32_e32 v115, 0, v115, vcc_lo
	v_cmp_ngt_f32_e32 vcc_lo, 0xc2ce8ed0, v116
	v_ldexp_f32 v128, v128, v134
	v_pk_mul_f16 v100, v100, v119
	v_cndmask_b32_e32 v126, 0, v126, vcc_lo
	v_cmp_ngt_f32_e32 vcc_lo, 0xc2ce8ed0, v125
	v_cndmask_b32_e32 v128, 0, v128, vcc_lo
	v_cmp_nlt_f32_e32 vcc_lo, 0x42b17218, v101
	v_cndmask_b32_e32 v101, 0x7f800000, v129, vcc_lo
	v_cmp_nlt_f32_e32 vcc_lo, 0x42b17218, v112
	;; [unrolled: 2-line block ×4, first 2 shown]
	v_cvt_f16_f32_e32 v116, v101
	v_cndmask_b32_e32 v113, 0x7f800000, v126, vcc_lo
	v_cmp_nlt_f32_e32 vcc_lo, 0x42b17218, v125
	v_cvt_f16_f32_e32 v125, v114
	v_cvt_f16_f32_e32 v126, v115
	v_mul_u32_u24_sdwa v218, v116, v94 dst_sel:DWORD dst_unused:UNUSED_PAD src0_sel:WORD_0 src1_sel:DWORD
	v_add_nc_u32_e32 v116, 0x2800, v71
	v_cndmask_b32_e32 v112, 0x7f800000, v128, vcc_lo
	v_cvt_f16_f32_e32 v128, v113
	v_pack_b32_f16 v122, v122, v125
	v_pack_b32_f16 v123, v123, v126
	v_pk_mul_f16 v99, v99, v218
	v_cvt_f16_f32_e32 v129, v112
	v_pack_b32_f16 v124, v124, v128
	v_pack_b32_f16 v125, v127, v129
	ds_write2_b32 v117, v122, v123 offset1:32
	ds_write2_b32 v117, v124, v125 offset0:64 offset1:96
	s_waitcnt vmcnt(7)
	ds_write_b128 v84, v[1:4]
	s_waitcnt vmcnt(6)
	ds_write_b128 v86, v[5:8]
	;; [unrolled: 2-line block ×8, first 2 shown]
	s_waitcnt lgkmcnt(0)
	s_barrier
	buffer_gl0_inv
	ds_read2_b64 v[1:4], v71 offset1:32
	ds_read2_b64 v[5:8], v71 offset0:64 offset1:96
	ds_read2_b64 v[9:12], v71 offset0:128 offset1:160
	ds_read_b128 v[13:16], v85
	ds_read_b128 v[17:20], v85 offset:16
	ds_read2_b64 v[21:24], v71 offset0:192 offset1:224
	ds_read2_b64 v[25:28], v118 offset1:32
	ds_read2_b64 v[29:32], v118 offset0:64 offset1:96
	ds_read2_b64 v[122:125], v118 offset0:128 offset1:160
	ds_read_b128 v[126:129], v85 offset:32
	ds_read_b128 v[130:133], v85 offset:48
	ds_read2_b64 v[134:137], v118 offset0:192 offset1:224
	ds_read2_b64 v[138:141], v121 offset1:32
	ds_read2_b64 v[142:145], v121 offset0:64 offset1:96
	ds_read2_b64 v[146:149], v121 offset0:128 offset1:160
	ds_read_b128 v[150:153], v85 offset:64
	;; [unrolled: 6-line block ×4, first 2 shown]
	ds_read_b128 v[202:205], v85 offset:144
	ds_read2_b64 v[206:209], v120 offset0:192 offset1:224
	ds_read_b128 v[210:213], v85 offset:160
	ds_read2_b64 v[214:217], v116 offset1:32
	s_waitcnt lgkmcnt(28)
	v_mul_u32_u24_sdwa v117, v13, v94 dst_sel:DWORD dst_unused:UNUSED_PAD src0_sel:WORD_0 src1_sel:DWORD
	v_mul_u32_u24_sdwa v13, v13, v94 dst_sel:DWORD dst_unused:UNUSED_PAD src0_sel:WORD_1 src1_sel:DWORD
	v_mul_u32_u24_sdwa v118, v14, v94 dst_sel:DWORD dst_unused:UNUSED_PAD src0_sel:WORD_0 src1_sel:DWORD
	v_mul_u32_u24_sdwa v14, v14, v94 dst_sel:DWORD dst_unused:UNUSED_PAD src0_sel:WORD_1 src1_sel:DWORD
	v_mul_u32_u24_sdwa v120, v15, v94 dst_sel:DWORD dst_unused:UNUSED_PAD src0_sel:WORD_0 src1_sel:DWORD
	v_pk_mul_f16 v234, v1, v117
	v_pk_mul_f16 v1, v1, v13
	v_mul_u32_u24_sdwa v15, v15, v94 dst_sel:DWORD dst_unused:UNUSED_PAD src0_sel:WORD_1 src1_sel:DWORD
	v_pk_fma_f16 v100, v2, v117, v100
	v_pk_fma_f16 v2, v2, v13, v99
	;; [unrolled: 1-line block ×4, first 2 shown]
	v_mul_u32_u24_sdwa v121, v16, v94 dst_sel:DWORD dst_unused:UNUSED_PAD src0_sel:WORD_0 src1_sel:DWORD
	v_mul_u32_u24_sdwa v16, v16, v94 dst_sel:DWORD dst_unused:UNUSED_PAD src0_sel:WORD_1 src1_sel:DWORD
	v_pk_fma_f16 v97, v4, v118, v100
	v_pk_fma_f16 v98, v3, v118, v98
	;; [unrolled: 1-line block ×4, first 2 shown]
	s_waitcnt lgkmcnt(27)
	v_mul_u32_u24_sdwa v219, v17, v94 dst_sel:DWORD dst_unused:UNUSED_PAD src0_sel:WORD_0 src1_sel:DWORD
	v_mul_u32_u24_sdwa v17, v17, v94 dst_sel:DWORD dst_unused:UNUSED_PAD src0_sel:WORD_1 src1_sel:DWORD
	v_pk_fma_f16 v14, v5, v120, v98
	v_pk_fma_f16 v1, v5, v15, v1
	;; [unrolled: 1-line block ×4, first 2 shown]
	v_mul_u32_u24_sdwa v220, v18, v94 dst_sel:DWORD dst_unused:UNUSED_PAD src0_sel:WORD_0 src1_sel:DWORD
	v_pk_fma_f16 v6, v7, v121, v14
	v_pk_fma_f16 v1, v7, v16, v1
	v_mul_u32_u24_sdwa v18, v18, v94 dst_sel:DWORD dst_unused:UNUSED_PAD src0_sel:WORD_1 src1_sel:DWORD
	v_pk_fma_f16 v4, v8, v121, v4
	v_pk_fma_f16 v2, v8, v16, v2
	v_pk_fma_f16 v6, v9, v219, v6
	v_pk_fma_f16 v1, v9, v17, v1
	v_mul_u32_u24_sdwa v221, v19, v94 dst_sel:DWORD dst_unused:UNUSED_PAD src0_sel:WORD_0 src1_sel:DWORD
	v_mul_u32_u24_sdwa v19, v19, v94 dst_sel:DWORD dst_unused:UNUSED_PAD src0_sel:WORD_1 src1_sel:DWORD
	v_pk_fma_f16 v4, v10, v219, v4
	v_pk_fma_f16 v2, v10, v17, v2
	v_pk_fma_f16 v6, v11, v220, v6
	v_pk_fma_f16 v1, v11, v18, v1
	v_mul_u32_u24_sdwa v222, v20, v94 dst_sel:DWORD dst_unused:UNUSED_PAD src0_sel:WORD_0 src1_sel:DWORD
	v_mul_u32_u24_sdwa v20, v20, v94 dst_sel:DWORD dst_unused:UNUSED_PAD src0_sel:WORD_1 src1_sel:DWORD
	v_pk_fma_f16 v4, v12, v220, v4
	v_pk_fma_f16 v2, v12, v18, v2
	s_waitcnt lgkmcnt(26)
	v_pk_fma_f16 v6, v21, v221, v6
	v_pk_fma_f16 v1, v21, v19, v1
	s_waitcnt lgkmcnt(22)
	v_mul_u32_u24_sdwa v223, v126, v94 dst_sel:DWORD dst_unused:UNUSED_PAD src0_sel:WORD_0 src1_sel:DWORD
	v_mul_u32_u24_sdwa v126, v126, v94 dst_sel:DWORD dst_unused:UNUSED_PAD src0_sel:WORD_1 src1_sel:DWORD
	v_pk_fma_f16 v4, v22, v221, v4
	v_pk_fma_f16 v2, v22, v19, v2
	v_pk_fma_f16 v6, v23, v222, v6
	v_pk_fma_f16 v1, v23, v20, v1
	v_mul_u32_u24_sdwa v224, v127, v94 dst_sel:DWORD dst_unused:UNUSED_PAD src0_sel:WORD_0 src1_sel:DWORD
	v_mul_u32_u24_sdwa v127, v127, v94 dst_sel:DWORD dst_unused:UNUSED_PAD src0_sel:WORD_1 src1_sel:DWORD
	v_pk_fma_f16 v4, v24, v222, v4
	v_pk_fma_f16 v2, v24, v20, v2
	v_pk_fma_f16 v6, v25, v223, v6
	v_pk_fma_f16 v1, v25, v126, v1
	v_mul_u32_u24_sdwa v225, v128, v94 dst_sel:DWORD dst_unused:UNUSED_PAD src0_sel:WORD_0 src1_sel:DWORD
	v_mul_u32_u24_sdwa v128, v128, v94 dst_sel:DWORD dst_unused:UNUSED_PAD src0_sel:WORD_1 src1_sel:DWORD
	v_pk_fma_f16 v4, v26, v223, v4
	v_pk_fma_f16 v2, v26, v126, v2
	v_pk_fma_f16 v6, v27, v224, v6
	v_pk_fma_f16 v1, v27, v127, v1
	v_mul_u32_u24_sdwa v226, v129, v94 dst_sel:DWORD dst_unused:UNUSED_PAD src0_sel:WORD_0 src1_sel:DWORD
	v_mul_u32_u24_sdwa v129, v129, v94 dst_sel:DWORD dst_unused:UNUSED_PAD src0_sel:WORD_1 src1_sel:DWORD
	v_pk_fma_f16 v4, v28, v224, v4
	v_pk_fma_f16 v2, v28, v127, v2
	v_pk_fma_f16 v6, v29, v225, v6
	v_pk_fma_f16 v1, v29, v128, v1
	s_waitcnt lgkmcnt(21)
	v_mul_u32_u24_sdwa v227, v130, v94 dst_sel:DWORD dst_unused:UNUSED_PAD src0_sel:WORD_0 src1_sel:DWORD
	v_mul_u32_u24_sdwa v130, v130, v94 dst_sel:DWORD dst_unused:UNUSED_PAD src0_sel:WORD_1 src1_sel:DWORD
	v_pk_fma_f16 v4, v30, v225, v4
	v_pk_fma_f16 v2, v30, v128, v2
	v_pk_fma_f16 v6, v31, v226, v6
	v_pk_fma_f16 v1, v31, v129, v1
	v_mul_u32_u24_sdwa v228, v131, v94 dst_sel:DWORD dst_unused:UNUSED_PAD src0_sel:WORD_0 src1_sel:DWORD
	v_mul_u32_u24_sdwa v131, v131, v94 dst_sel:DWORD dst_unused:UNUSED_PAD src0_sel:WORD_1 src1_sel:DWORD
	v_pk_fma_f16 v4, v32, v226, v4
	v_pk_fma_f16 v2, v32, v129, v2
	v_pk_fma_f16 v6, v122, v227, v6
	v_pk_fma_f16 v1, v122, v130, v1
	v_mul_u32_u24_sdwa v229, v132, v94 dst_sel:DWORD dst_unused:UNUSED_PAD src0_sel:WORD_0 src1_sel:DWORD
	v_mul_u32_u24_sdwa v132, v132, v94 dst_sel:DWORD dst_unused:UNUSED_PAD src0_sel:WORD_1 src1_sel:DWORD
	v_pk_fma_f16 v4, v123, v227, v4
	v_pk_fma_f16 v2, v123, v130, v2
	v_pk_fma_f16 v6, v124, v228, v6
	v_pk_fma_f16 v1, v124, v131, v1
	v_mul_u32_u24_sdwa v230, v133, v94 dst_sel:DWORD dst_unused:UNUSED_PAD src0_sel:WORD_0 src1_sel:DWORD
	v_mul_u32_u24_sdwa v133, v133, v94 dst_sel:DWORD dst_unused:UNUSED_PAD src0_sel:WORD_1 src1_sel:DWORD
	v_pk_fma_f16 v4, v125, v228, v4
	v_pk_fma_f16 v2, v125, v131, v2
	s_waitcnt lgkmcnt(20)
	v_pk_fma_f16 v6, v134, v229, v6
	v_pk_fma_f16 v1, v134, v132, v1
	s_waitcnt lgkmcnt(16)
	v_mul_u32_u24_sdwa v231, v150, v94 dst_sel:DWORD dst_unused:UNUSED_PAD src0_sel:WORD_0 src1_sel:DWORD
	v_mul_u32_u24_sdwa v150, v150, v94 dst_sel:DWORD dst_unused:UNUSED_PAD src0_sel:WORD_1 src1_sel:DWORD
	v_pk_fma_f16 v4, v135, v229, v4
	v_pk_fma_f16 v2, v135, v132, v2
	v_pk_fma_f16 v6, v136, v230, v6
	v_pk_fma_f16 v1, v136, v133, v1
	v_mul_u32_u24_sdwa v232, v151, v94 dst_sel:DWORD dst_unused:UNUSED_PAD src0_sel:WORD_0 src1_sel:DWORD
	v_mul_u32_u24_sdwa v151, v151, v94 dst_sel:DWORD dst_unused:UNUSED_PAD src0_sel:WORD_1 src1_sel:DWORD
	v_pk_fma_f16 v4, v137, v230, v4
	v_pk_fma_f16 v2, v137, v133, v2
	v_pk_fma_f16 v6, v138, v231, v6
	v_pk_fma_f16 v1, v138, v150, v1
	v_mul_u32_u24_sdwa v233, v152, v94 dst_sel:DWORD dst_unused:UNUSED_PAD src0_sel:WORD_0 src1_sel:DWORD
	v_mul_u32_u24_sdwa v152, v152, v94 dst_sel:DWORD dst_unused:UNUSED_PAD src0_sel:WORD_1 src1_sel:DWORD
	v_pk_fma_f16 v4, v139, v231, v4
	v_pk_fma_f16 v2, v139, v150, v2
	v_pk_fma_f16 v6, v140, v232, v6
	v_pk_fma_f16 v1, v140, v151, v1
	v_mul_u32_u24_sdwa v235, v153, v94 dst_sel:DWORD dst_unused:UNUSED_PAD src0_sel:WORD_0 src1_sel:DWORD
	v_mul_u32_u24_sdwa v13, v153, v94 dst_sel:DWORD dst_unused:UNUSED_PAD src0_sel:WORD_1 src1_sel:DWORD
	v_pk_fma_f16 v4, v141, v232, v4
	v_pk_fma_f16 v2, v141, v151, v2
	v_pk_fma_f16 v6, v142, v233, v6
	v_pk_fma_f16 v1, v142, v152, v1
	s_waitcnt lgkmcnt(15)
	v_mul_u32_u24_sdwa v3, v154, v94 dst_sel:DWORD dst_unused:UNUSED_PAD src0_sel:WORD_0 src1_sel:DWORD
	v_mul_u32_u24_sdwa v5, v154, v94 dst_sel:DWORD dst_unused:UNUSED_PAD src0_sel:WORD_1 src1_sel:DWORD
	v_pk_fma_f16 v4, v143, v233, v4
	v_pk_fma_f16 v2, v143, v152, v2
	v_pk_fma_f16 v6, v144, v235, v6
	v_pk_fma_f16 v1, v144, v13, v1
	v_mul_u32_u24_sdwa v7, v155, v94 dst_sel:DWORD dst_unused:UNUSED_PAD src0_sel:WORD_0 src1_sel:DWORD
	;; [unrolled: 51-line block ×4, first 2 shown]
	v_mul_u32_u24_sdwa v7, v203, v94 dst_sel:DWORD dst_unused:UNUSED_PAD src0_sel:WORD_1 src1_sel:DWORD
	v_pk_fma_f16 v3, v193, v14, v3
	v_pk_fma_f16 v2, v193, v15, v2
	;; [unrolled: 1-line block ×4, first 2 shown]
	v_mul_u32_u24_sdwa v8, v204, v94 dst_sel:DWORD dst_unused:UNUSED_PAD src0_sel:WORD_0 src1_sel:DWORD
	v_mul_u32_u24_sdwa v9, v204, v94 dst_sel:DWORD dst_unused:UNUSED_PAD src0_sel:WORD_1 src1_sel:DWORD
	v_pk_fma_f16 v3, v195, v13, v3
	v_pk_fma_f16 v2, v195, v5, v2
	;; [unrolled: 1-line block ×4, first 2 shown]
	v_mul_u32_u24_sdwa v10, v205, v94 dst_sel:DWORD dst_unused:UNUSED_PAD src0_sel:WORD_0 src1_sel:DWORD
	v_pk_fma_f16 v3, v197, v6, v3
	v_pk_fma_f16 v2, v197, v7, v2
	s_waitcnt lgkmcnt(2)
	v_pk_fma_f16 v4, v206, v8, v4
	v_mul_u32_u24_sdwa v11, v205, v94 dst_sel:DWORD dst_unused:UNUSED_PAD src0_sel:WORD_1 src1_sel:DWORD
	v_pk_fma_f16 v1, v206, v9, v1
	v_pk_fma_f16 v12, v207, v8, v3
	;; [unrolled: 1-line block ×4, first 2 shown]
	s_waitcnt lgkmcnt(1)
	v_mul_u32_u24_sdwa v15, v210, v94 dst_sel:DWORD dst_unused:UNUSED_PAD src0_sel:WORD_0 src1_sel:DWORD
	v_pk_fma_f16 v14, v208, v11, v1
	ds_read2_b64 v[5:8], v116 offset0:64 offset1:96
	v_mul_u32_u24_sdwa v16, v210, v94 dst_sel:DWORD dst_unused:UNUSED_PAD src0_sel:WORD_1 src1_sel:DWORD
	ds_read_b128 v[1:4], v85 offset:176
	v_pk_fma_f16 v10, v209, v10, v12
	v_pk_fma_f16 v9, v209, v11, v9
	s_waitcnt lgkmcnt(2)
	v_pk_fma_f16 v11, v214, v15, v13
	v_pk_fma_f16 v12, v214, v16, v14
	v_mul_u32_u24_sdwa v13, v211, v94 dst_sel:DWORD dst_unused:UNUSED_PAD src0_sel:WORD_0 src1_sel:DWORD
	v_mul_u32_u24_sdwa v14, v211, v94 dst_sel:DWORD dst_unused:UNUSED_PAD src0_sel:WORD_1 src1_sel:DWORD
	v_pk_fma_f16 v15, v215, v15, v10
	v_pk_fma_f16 v16, v215, v16, v9
	v_mul_u32_u24_sdwa v19, v212, v94 dst_sel:DWORD dst_unused:UNUSED_PAD src0_sel:WORD_0 src1_sel:DWORD
	v_pk_fma_f16 v17, v216, v13, v11
	v_pk_fma_f16 v18, v216, v14, v12
	ds_read2_b64 v[9:12], v116 offset0:128 offset1:160
	v_mul_u32_u24_sdwa v20, v212, v94 dst_sel:DWORD dst_unused:UNUSED_PAD src0_sel:WORD_1 src1_sel:DWORD
	v_pk_fma_f16 v13, v217, v13, v15
	v_pk_fma_f16 v14, v217, v14, v16
	v_add_nc_u32_e32 v23, 0x3000, v71
	s_waitcnt lgkmcnt(2)
	v_pk_fma_f16 v15, v5, v19, v17
	v_pk_fma_f16 v5, v5, v20, v18
	v_mul_u32_u24_sdwa v17, v213, v94 dst_sel:DWORD dst_unused:UNUSED_PAD src0_sel:WORD_0 src1_sel:DWORD
	v_mul_u32_u24_sdwa v18, v213, v94 dst_sel:DWORD dst_unused:UNUSED_PAD src0_sel:WORD_1 src1_sel:DWORD
	v_pk_fma_f16 v19, v6, v19, v13
	v_pk_fma_f16 v6, v6, v20, v14
	s_waitcnt lgkmcnt(1)
	v_mul_u32_u24_sdwa v22, v2, v94 dst_sel:DWORD dst_unused:UNUSED_PAD src0_sel:WORD_0 src1_sel:DWORD
	v_pk_fma_f16 v20, v7, v17, v15
	v_pk_fma_f16 v5, v7, v18, v5
	v_mul_u32_u24_sdwa v7, v1, v94 dst_sel:DWORD dst_unused:UNUSED_PAD src0_sel:WORD_0 src1_sel:DWORD
	v_mul_u32_u24_sdwa v1, v1, v94 dst_sel:DWORD dst_unused:UNUSED_PAD src0_sel:WORD_1 src1_sel:DWORD
	ds_read2_b64 v[13:16], v116 offset0:192 offset1:224
	v_pk_fma_f16 v17, v8, v17, v19
	v_pk_fma_f16 v18, v8, v18, v6
	s_waitcnt lgkmcnt(1)
	v_pk_fma_f16 v19, v9, v7, v20
	v_pk_fma_f16 v9, v9, v1, v5
	v_mul_u32_u24_sdwa v2, v2, v94 dst_sel:DWORD dst_unused:UNUSED_PAD src0_sel:WORD_1 src1_sel:DWORD
	v_pk_fma_f16 v21, v10, v7, v17
	ds_read_b128 v[5:8], v85 offset:192
	v_pk_fma_f16 v1, v10, v1, v18
	v_pk_fma_f16 v10, v11, v22, v19
	ds_read2_b64 v[17:20], v23 offset1:32
	v_pk_fma_f16 v9, v11, v2, v9
	v_mul_u32_u24_sdwa v11, v3, v94 dst_sel:DWORD dst_unused:UNUSED_PAD src0_sel:WORD_0 src1_sel:DWORD
	v_mul_u32_u24_sdwa v3, v3, v94 dst_sel:DWORD dst_unused:UNUSED_PAD src0_sel:WORD_1 src1_sel:DWORD
	v_pk_fma_f16 v21, v12, v22, v21
	v_pk_fma_f16 v1, v12, v2, v1
	v_mul_u32_u24_sdwa v22, v4, v94 dst_sel:DWORD dst_unused:UNUSED_PAD src0_sel:WORD_1 src1_sel:DWORD
	s_waitcnt lgkmcnt(2)
	v_pk_fma_f16 v2, v13, v11, v10
	v_pk_fma_f16 v9, v13, v3, v9
	v_mul_u32_u24_sdwa v13, v4, v94 dst_sel:DWORD dst_unused:UNUSED_PAD src0_sel:WORD_0 src1_sel:DWORD
	v_pk_fma_f16 v21, v14, v11, v21
	v_pk_fma_f16 v14, v14, v3, v1
	v_pk_fma_f16 v24, v15, v13, v2
	v_pk_fma_f16 v15, v15, v22, v9
	ds_read_b128 v[1:4], v85 offset:208
	s_waitcnt lgkmcnt(2)
	v_mul_u32_u24_sdwa v25, v5, v94 dst_sel:DWORD dst_unused:UNUSED_PAD src0_sel:WORD_0 src1_sel:DWORD
	ds_read2_b64 v[9:12], v23 offset0:64 offset1:96
	v_mul_u32_u24_sdwa v5, v5, v94 dst_sel:DWORD dst_unused:UNUSED_PAD src0_sel:WORD_1 src1_sel:DWORD
	v_pk_fma_f16 v13, v16, v13, v21
	v_pk_fma_f16 v14, v16, v22, v14
	s_waitcnt lgkmcnt(2)
	v_pk_fma_f16 v16, v17, v25, v24
	v_mul_u32_u24_sdwa v22, v7, v94 dst_sel:DWORD dst_unused:UNUSED_PAD src0_sel:WORD_0 src1_sel:DWORD
	v_pk_fma_f16 v15, v17, v5, v15
	v_mul_u32_u24_sdwa v17, v6, v94 dst_sel:DWORD dst_unused:UNUSED_PAD src0_sel:WORD_0 src1_sel:DWORD
	v_mul_u32_u24_sdwa v6, v6, v94 dst_sel:DWORD dst_unused:UNUSED_PAD src0_sel:WORD_1 src1_sel:DWORD
	v_pk_fma_f16 v21, v18, v25, v13
	v_pk_fma_f16 v5, v18, v5, v14
	v_mul_u32_u24_sdwa v7, v7, v94 dst_sel:DWORD dst_unused:UNUSED_PAD src0_sel:WORD_1 src1_sel:DWORD
	v_pk_fma_f16 v18, v19, v17, v16
	v_pk_fma_f16 v19, v19, v6, v15
	ds_read2_b64 v[13:16], v23 offset0:128 offset1:160
	v_pk_fma_f16 v17, v20, v17, v21
	v_pk_fma_f16 v5, v20, v6, v5
	s_waitcnt lgkmcnt(2)
	v_mul_u32_u24_sdwa v24, v4, v94 dst_sel:DWORD dst_unused:UNUSED_PAD src0_sel:WORD_1 src1_sel:DWORD
	s_waitcnt lgkmcnt(1)
	v_pk_fma_f16 v6, v9, v22, v18
	v_pk_fma_f16 v9, v9, v7, v19
	v_mul_u32_u24_sdwa v18, v8, v94 dst_sel:DWORD dst_unused:UNUSED_PAD src0_sel:WORD_0 src1_sel:DWORD
	v_mul_u32_u24_sdwa v19, v8, v94 dst_sel:DWORD dst_unused:UNUSED_PAD src0_sel:WORD_1 src1_sel:DWORD
	v_pk_fma_f16 v17, v10, v22, v17
	v_pk_fma_f16 v10, v10, v7, v5
	v_mul_u32_u24_sdwa v22, v2, v94 dst_sel:DWORD dst_unused:UNUSED_PAD src0_sel:WORD_0 src1_sel:DWORD
	v_pk_fma_f16 v20, v11, v18, v6
	v_pk_fma_f16 v9, v11, v19, v9
	v_mul_u32_u24_sdwa v11, v1, v94 dst_sel:DWORD dst_unused:UNUSED_PAD src0_sel:WORD_0 src1_sel:DWORD
	v_mul_u32_u24_sdwa v1, v1, v94 dst_sel:DWORD dst_unused:UNUSED_PAD src0_sel:WORD_1 src1_sel:DWORD
	ds_read2_b64 v[5:8], v23 offset0:192 offset1:224
	v_pk_fma_f16 v17, v12, v18, v17
	v_pk_fma_f16 v18, v12, v19, v10
	s_waitcnt lgkmcnt(1)
	v_pk_fma_f16 v19, v13, v11, v20
	v_pk_fma_f16 v13, v13, v1, v9
	v_add_nc_u32_e32 v23, 0x3800, v71
	v_pk_fma_f16 v21, v14, v11, v17
	ds_read_b128 v[9:12], v85 offset:224
	v_mul_u32_u24_sdwa v2, v2, v94 dst_sel:DWORD dst_unused:UNUSED_PAD src0_sel:WORD_1 src1_sel:DWORD
	v_pk_fma_f16 v1, v14, v1, v18
	v_pk_fma_f16 v14, v15, v22, v19
	ds_read2_b64 v[17:20], v23 offset1:32
	v_pk_fma_f16 v21, v16, v22, v21
	v_pk_fma_f16 v13, v15, v2, v13
	v_mul_u32_u24_sdwa v15, v3, v94 dst_sel:DWORD dst_unused:UNUSED_PAD src0_sel:WORD_0 src1_sel:DWORD
	v_mul_u32_u24_sdwa v3, v3, v94 dst_sel:DWORD dst_unused:UNUSED_PAD src0_sel:WORD_1 src1_sel:DWORD
	v_pk_fma_f16 v1, v16, v2, v1
	v_mul_u32_u24_sdwa v22, v4, v94 dst_sel:DWORD dst_unused:UNUSED_PAD src0_sel:WORD_0 src1_sel:DWORD
	s_waitcnt lgkmcnt(2)
	v_pk_fma_f16 v2, v5, v15, v14
	v_pk_fma_f16 v5, v5, v3, v13
	;; [unrolled: 1-line block ×4, first 2 shown]
	ds_read2_b64 v[13:16], v23 offset0:64 offset1:96
	v_pk_fma_f16 v25, v7, v22, v2
	v_pk_fma_f16 v5, v7, v24, v5
	ds_read_b128 v[1:4], v85 offset:240
	s_waitcnt lgkmcnt(3)
	v_mul_u32_u24_sdwa v7, v9, v94 dst_sel:DWORD dst_unused:UNUSED_PAD src0_sel:WORD_0 src1_sel:DWORD
	v_mul_u32_u24_sdwa v9, v9, v94 dst_sel:DWORD dst_unused:UNUSED_PAD src0_sel:WORD_1 src1_sel:DWORD
	v_pk_fma_f16 v21, v8, v22, v21
	v_pk_fma_f16 v6, v8, v24, v6
	v_mul_u32_u24_sdwa v22, v11, v94 dst_sel:DWORD dst_unused:UNUSED_PAD src0_sel:WORD_0 src1_sel:DWORD
	s_waitcnt lgkmcnt(2)
	v_pk_fma_f16 v8, v17, v7, v25
	v_pk_fma_f16 v5, v17, v9, v5
	v_mul_u32_u24_sdwa v17, v10, v94 dst_sel:DWORD dst_unused:UNUSED_PAD src0_sel:WORD_0 src1_sel:DWORD
	v_mul_u32_u24_sdwa v10, v10, v94 dst_sel:DWORD dst_unused:UNUSED_PAD src0_sel:WORD_1 src1_sel:DWORD
	v_pk_fma_f16 v21, v18, v7, v21
	v_pk_fma_f16 v9, v18, v9, v6
	v_mul_u32_u24_sdwa v11, v11, v94 dst_sel:DWORD dst_unused:UNUSED_PAD src0_sel:WORD_1 src1_sel:DWORD
	v_pk_fma_f16 v18, v19, v17, v8
	v_pk_fma_f16 v19, v19, v10, v5
	ds_read2_b64 v[5:8], v23 offset0:128 offset1:160
	v_pk_fma_f16 v17, v20, v17, v21
	v_pk_fma_f16 v9, v20, v10, v9
	s_waitcnt lgkmcnt(2)
	v_pk_fma_f16 v10, v13, v22, v18
	v_pk_fma_f16 v13, v13, v11, v19
	v_mul_u32_u24_sdwa v18, v12, v94 dst_sel:DWORD dst_unused:UNUSED_PAD src0_sel:WORD_0 src1_sel:DWORD
	v_mul_u32_u24_sdwa v19, v12, v94 dst_sel:DWORD dst_unused:UNUSED_PAD src0_sel:WORD_1 src1_sel:DWORD
	v_pk_fma_f16 v17, v14, v22, v17
	v_pk_fma_f16 v14, v14, v11, v9
	s_waitcnt lgkmcnt(1)
	v_mul_u32_u24_sdwa v22, v2, v94 dst_sel:DWORD dst_unused:UNUSED_PAD src0_sel:WORD_0 src1_sel:DWORD
	v_pk_fma_f16 v20, v15, v18, v10
	v_pk_fma_f16 v13, v15, v19, v13
	v_mul_u32_u24_sdwa v15, v1, v94 dst_sel:DWORD dst_unused:UNUSED_PAD src0_sel:WORD_0 src1_sel:DWORD
	v_mul_u32_u24_sdwa v1, v1, v94 dst_sel:DWORD dst_unused:UNUSED_PAD src0_sel:WORD_1 src1_sel:DWORD
	ds_read2_b64 v[9:12], v23 offset0:192 offset1:224
	v_pk_fma_f16 v17, v16, v18, v17
	v_pk_fma_f16 v18, v16, v19, v14
	v_add_nc_u32_e32 v23, 0x4000, v71
	v_mul_u32_u24_sdwa v2, v2, v94 dst_sel:DWORD dst_unused:UNUSED_PAD src0_sel:WORD_1 src1_sel:DWORD
	s_waitcnt lgkmcnt(1)
	v_pk_fma_f16 v19, v5, v15, v20
	v_pk_fma_f16 v5, v5, v1, v13
	;; [unrolled: 1-line block ×3, first 2 shown]
	ds_read_b128 v[13:16], v85 offset:256
	v_pk_fma_f16 v1, v6, v1, v18
	v_pk_fma_f16 v6, v7, v22, v19
	ds_read2_b64 v[17:20], v23 offset1:32
	v_pk_fma_f16 v5, v7, v2, v5
	v_mul_u32_u24_sdwa v7, v3, v94 dst_sel:DWORD dst_unused:UNUSED_PAD src0_sel:WORD_0 src1_sel:DWORD
	v_mul_u32_u24_sdwa v3, v3, v94 dst_sel:DWORD dst_unused:UNUSED_PAD src0_sel:WORD_1 src1_sel:DWORD
	v_pk_fma_f16 v21, v8, v22, v21
	v_pk_fma_f16 v1, v8, v2, v1
	v_mul_u32_u24_sdwa v22, v4, v94 dst_sel:DWORD dst_unused:UNUSED_PAD src0_sel:WORD_1 src1_sel:DWORD
	s_waitcnt lgkmcnt(2)
	v_pk_fma_f16 v2, v9, v7, v6
	v_pk_fma_f16 v5, v9, v3, v5
	v_mul_u32_u24_sdwa v9, v4, v94 dst_sel:DWORD dst_unused:UNUSED_PAD src0_sel:WORD_0 src1_sel:DWORD
	v_pk_fma_f16 v21, v10, v7, v21
	v_pk_fma_f16 v10, v10, v3, v1
	;; [unrolled: 1-line block ×4, first 2 shown]
	ds_read_b128 v[1:4], v85 offset:272
	s_waitcnt lgkmcnt(2)
	v_mul_u32_u24_sdwa v25, v13, v94 dst_sel:DWORD dst_unused:UNUSED_PAD src0_sel:WORD_0 src1_sel:DWORD
	ds_read2_b64 v[5:8], v23 offset0:64 offset1:96
	v_mul_u32_u24_sdwa v13, v13, v94 dst_sel:DWORD dst_unused:UNUSED_PAD src0_sel:WORD_1 src1_sel:DWORD
	v_pk_fma_f16 v9, v12, v9, v21
	v_pk_fma_f16 v10, v12, v22, v10
	s_waitcnt lgkmcnt(2)
	v_pk_fma_f16 v12, v17, v25, v24
	v_mul_u32_u24_sdwa v22, v15, v94 dst_sel:DWORD dst_unused:UNUSED_PAD src0_sel:WORD_0 src1_sel:DWORD
	v_pk_fma_f16 v11, v17, v13, v11
	v_mul_u32_u24_sdwa v17, v14, v94 dst_sel:DWORD dst_unused:UNUSED_PAD src0_sel:WORD_0 src1_sel:DWORD
	v_mul_u32_u24_sdwa v14, v14, v94 dst_sel:DWORD dst_unused:UNUSED_PAD src0_sel:WORD_1 src1_sel:DWORD
	v_pk_fma_f16 v21, v18, v25, v9
	v_pk_fma_f16 v13, v18, v13, v10
	v_mul_u32_u24_sdwa v15, v15, v94 dst_sel:DWORD dst_unused:UNUSED_PAD src0_sel:WORD_1 src1_sel:DWORD
	v_pk_fma_f16 v18, v19, v17, v12
	v_pk_fma_f16 v19, v19, v14, v11
	ds_read2_b64 v[9:12], v23 offset0:128 offset1:160
	v_pk_fma_f16 v17, v20, v17, v21
	v_pk_fma_f16 v13, v20, v14, v13
	s_waitcnt lgkmcnt(1)
	v_pk_fma_f16 v14, v5, v22, v18
	v_pk_fma_f16 v5, v5, v15, v19
	v_mul_u32_u24_sdwa v18, v16, v94 dst_sel:DWORD dst_unused:UNUSED_PAD src0_sel:WORD_0 src1_sel:DWORD
	v_mul_u32_u24_sdwa v19, v16, v94 dst_sel:DWORD dst_unused:UNUSED_PAD src0_sel:WORD_1 src1_sel:DWORD
	v_pk_fma_f16 v17, v6, v22, v17
	v_pk_fma_f16 v6, v6, v15, v13
	v_mul_u32_u24_sdwa v22, v2, v94 dst_sel:DWORD dst_unused:UNUSED_PAD src0_sel:WORD_0 src1_sel:DWORD
	v_pk_fma_f16 v20, v7, v18, v14
	v_pk_fma_f16 v5, v7, v19, v5
	v_mul_u32_u24_sdwa v7, v1, v94 dst_sel:DWORD dst_unused:UNUSED_PAD src0_sel:WORD_0 src1_sel:DWORD
	v_mul_u32_u24_sdwa v1, v1, v94 dst_sel:DWORD dst_unused:UNUSED_PAD src0_sel:WORD_1 src1_sel:DWORD
	ds_read2_b64 v[13:16], v23 offset0:192 offset1:224
	v_pk_fma_f16 v17, v8, v18, v17
	v_pk_fma_f16 v18, v8, v19, v6
	s_waitcnt lgkmcnt(1)
	v_pk_fma_f16 v19, v9, v7, v20
	v_pk_fma_f16 v9, v9, v1, v5
	v_add_nc_u32_e32 v23, 0x4800, v71
	v_pk_fma_f16 v21, v10, v7, v17
	ds_read_b128 v[5:8], v85 offset:288
	v_mul_u32_u24_sdwa v2, v2, v94 dst_sel:DWORD dst_unused:UNUSED_PAD src0_sel:WORD_1 src1_sel:DWORD
	v_pk_fma_f16 v1, v10, v1, v18
	v_pk_fma_f16 v10, v11, v22, v19
	ds_read2_b64 v[17:20], v23 offset1:32
	v_pk_fma_f16 v21, v12, v22, v21
	v_pk_fma_f16 v9, v11, v2, v9
	v_mul_u32_u24_sdwa v11, v3, v94 dst_sel:DWORD dst_unused:UNUSED_PAD src0_sel:WORD_0 src1_sel:DWORD
	v_mul_u32_u24_sdwa v3, v3, v94 dst_sel:DWORD dst_unused:UNUSED_PAD src0_sel:WORD_1 src1_sel:DWORD
	v_pk_fma_f16 v1, v12, v2, v1
	v_mul_u32_u24_sdwa v22, v4, v94 dst_sel:DWORD dst_unused:UNUSED_PAD src0_sel:WORD_1 src1_sel:DWORD
	s_waitcnt lgkmcnt(2)
	v_pk_fma_f16 v2, v13, v11, v10
	v_pk_fma_f16 v9, v13, v3, v9
	v_mul_u32_u24_sdwa v13, v4, v94 dst_sel:DWORD dst_unused:UNUSED_PAD src0_sel:WORD_0 src1_sel:DWORD
	v_pk_fma_f16 v21, v14, v11, v21
	v_pk_fma_f16 v14, v14, v3, v1
	;; [unrolled: 1-line block ×4, first 2 shown]
	ds_read_b128 v[1:4], v85 offset:304
	s_waitcnt lgkmcnt(2)
	v_mul_u32_u24_sdwa v25, v5, v94 dst_sel:DWORD dst_unused:UNUSED_PAD src0_sel:WORD_0 src1_sel:DWORD
	ds_read2_b64 v[9:12], v23 offset0:64 offset1:96
	v_mul_u32_u24_sdwa v5, v5, v94 dst_sel:DWORD dst_unused:UNUSED_PAD src0_sel:WORD_1 src1_sel:DWORD
	v_pk_fma_f16 v13, v16, v13, v21
	v_pk_fma_f16 v14, v16, v22, v14
	s_waitcnt lgkmcnt(2)
	v_pk_fma_f16 v16, v17, v25, v24
	v_mul_u32_u24_sdwa v22, v7, v94 dst_sel:DWORD dst_unused:UNUSED_PAD src0_sel:WORD_0 src1_sel:DWORD
	v_pk_fma_f16 v15, v17, v5, v15
	v_mul_u32_u24_sdwa v17, v6, v94 dst_sel:DWORD dst_unused:UNUSED_PAD src0_sel:WORD_0 src1_sel:DWORD
	v_mul_u32_u24_sdwa v6, v6, v94 dst_sel:DWORD dst_unused:UNUSED_PAD src0_sel:WORD_1 src1_sel:DWORD
	v_pk_fma_f16 v21, v18, v25, v13
	v_pk_fma_f16 v5, v18, v5, v14
	v_mul_u32_u24_sdwa v7, v7, v94 dst_sel:DWORD dst_unused:UNUSED_PAD src0_sel:WORD_1 src1_sel:DWORD
	v_pk_fma_f16 v18, v19, v17, v16
	v_pk_fma_f16 v19, v19, v6, v15
	ds_read2_b64 v[13:16], v23 offset0:128 offset1:160
	v_pk_fma_f16 v17, v20, v17, v21
	v_pk_fma_f16 v5, v20, v6, v5
	s_waitcnt lgkmcnt(2)
	v_mul_u32_u24_sdwa v24, v4, v94 dst_sel:DWORD dst_unused:UNUSED_PAD src0_sel:WORD_1 src1_sel:DWORD
	s_waitcnt lgkmcnt(1)
	v_pk_fma_f16 v6, v9, v22, v18
	v_pk_fma_f16 v9, v9, v7, v19
	v_mul_u32_u24_sdwa v18, v8, v94 dst_sel:DWORD dst_unused:UNUSED_PAD src0_sel:WORD_0 src1_sel:DWORD
	v_mul_u32_u24_sdwa v19, v8, v94 dst_sel:DWORD dst_unused:UNUSED_PAD src0_sel:WORD_1 src1_sel:DWORD
	v_pk_fma_f16 v17, v10, v22, v17
	v_pk_fma_f16 v10, v10, v7, v5
	v_mul_u32_u24_sdwa v22, v2, v94 dst_sel:DWORD dst_unused:UNUSED_PAD src0_sel:WORD_0 src1_sel:DWORD
	v_pk_fma_f16 v20, v11, v18, v6
	v_pk_fma_f16 v9, v11, v19, v9
	v_mul_u32_u24_sdwa v11, v1, v94 dst_sel:DWORD dst_unused:UNUSED_PAD src0_sel:WORD_0 src1_sel:DWORD
	v_mul_u32_u24_sdwa v1, v1, v94 dst_sel:DWORD dst_unused:UNUSED_PAD src0_sel:WORD_1 src1_sel:DWORD
	ds_read2_b64 v[5:8], v23 offset0:192 offset1:224
	v_pk_fma_f16 v17, v12, v18, v17
	v_pk_fma_f16 v18, v12, v19, v10
	s_waitcnt lgkmcnt(1)
	v_pk_fma_f16 v19, v13, v11, v20
	v_pk_fma_f16 v13, v13, v1, v9
	v_add_nc_u32_e32 v23, 0x5000, v71
	v_pk_fma_f16 v21, v14, v11, v17
	ds_read_b128 v[9:12], v85 offset:320
	v_mul_u32_u24_sdwa v2, v2, v94 dst_sel:DWORD dst_unused:UNUSED_PAD src0_sel:WORD_1 src1_sel:DWORD
	v_pk_fma_f16 v1, v14, v1, v18
	v_pk_fma_f16 v14, v15, v22, v19
	ds_read2_b64 v[17:20], v23 offset1:32
	v_pk_fma_f16 v21, v16, v22, v21
	v_pk_fma_f16 v13, v15, v2, v13
	v_mul_u32_u24_sdwa v15, v3, v94 dst_sel:DWORD dst_unused:UNUSED_PAD src0_sel:WORD_0 src1_sel:DWORD
	v_mul_u32_u24_sdwa v3, v3, v94 dst_sel:DWORD dst_unused:UNUSED_PAD src0_sel:WORD_1 src1_sel:DWORD
	v_pk_fma_f16 v1, v16, v2, v1
	v_mul_u32_u24_sdwa v22, v4, v94 dst_sel:DWORD dst_unused:UNUSED_PAD src0_sel:WORD_0 src1_sel:DWORD
	s_waitcnt lgkmcnt(2)
	v_pk_fma_f16 v2, v5, v15, v14
	v_pk_fma_f16 v5, v5, v3, v13
	;; [unrolled: 1-line block ×4, first 2 shown]
	ds_read2_b64 v[13:16], v23 offset0:64 offset1:96
	v_pk_fma_f16 v25, v7, v22, v2
	v_pk_fma_f16 v5, v7, v24, v5
	ds_read_b128 v[1:4], v85 offset:336
	s_waitcnt lgkmcnt(3)
	v_mul_u32_u24_sdwa v7, v9, v94 dst_sel:DWORD dst_unused:UNUSED_PAD src0_sel:WORD_0 src1_sel:DWORD
	v_mul_u32_u24_sdwa v9, v9, v94 dst_sel:DWORD dst_unused:UNUSED_PAD src0_sel:WORD_1 src1_sel:DWORD
	v_pk_fma_f16 v21, v8, v22, v21
	v_pk_fma_f16 v6, v8, v24, v6
	v_mul_u32_u24_sdwa v22, v11, v94 dst_sel:DWORD dst_unused:UNUSED_PAD src0_sel:WORD_0 src1_sel:DWORD
	s_waitcnt lgkmcnt(2)
	v_pk_fma_f16 v8, v17, v7, v25
	v_pk_fma_f16 v5, v17, v9, v5
	v_mul_u32_u24_sdwa v17, v10, v94 dst_sel:DWORD dst_unused:UNUSED_PAD src0_sel:WORD_0 src1_sel:DWORD
	v_mul_u32_u24_sdwa v10, v10, v94 dst_sel:DWORD dst_unused:UNUSED_PAD src0_sel:WORD_1 src1_sel:DWORD
	v_pk_fma_f16 v21, v18, v7, v21
	v_pk_fma_f16 v9, v18, v9, v6
	v_mul_u32_u24_sdwa v11, v11, v94 dst_sel:DWORD dst_unused:UNUSED_PAD src0_sel:WORD_1 src1_sel:DWORD
	v_pk_fma_f16 v18, v19, v17, v8
	v_pk_fma_f16 v19, v19, v10, v5
	ds_read2_b64 v[5:8], v23 offset0:128 offset1:160
	v_pk_fma_f16 v17, v20, v17, v21
	v_pk_fma_f16 v9, v20, v10, v9
	s_waitcnt lgkmcnt(2)
	v_pk_fma_f16 v10, v13, v22, v18
	v_pk_fma_f16 v13, v13, v11, v19
	v_mul_u32_u24_sdwa v18, v12, v94 dst_sel:DWORD dst_unused:UNUSED_PAD src0_sel:WORD_0 src1_sel:DWORD
	v_mul_u32_u24_sdwa v19, v12, v94 dst_sel:DWORD dst_unused:UNUSED_PAD src0_sel:WORD_1 src1_sel:DWORD
	v_pk_fma_f16 v17, v14, v22, v17
	v_pk_fma_f16 v14, v14, v11, v9
	s_waitcnt lgkmcnt(1)
	v_mul_u32_u24_sdwa v22, v2, v94 dst_sel:DWORD dst_unused:UNUSED_PAD src0_sel:WORD_0 src1_sel:DWORD
	v_pk_fma_f16 v20, v15, v18, v10
	v_pk_fma_f16 v13, v15, v19, v13
	v_mul_u32_u24_sdwa v15, v1, v94 dst_sel:DWORD dst_unused:UNUSED_PAD src0_sel:WORD_0 src1_sel:DWORD
	v_mul_u32_u24_sdwa v1, v1, v94 dst_sel:DWORD dst_unused:UNUSED_PAD src0_sel:WORD_1 src1_sel:DWORD
	ds_read2_b64 v[9:12], v23 offset0:192 offset1:224
	v_pk_fma_f16 v17, v16, v18, v17
	v_pk_fma_f16 v18, v16, v19, v14
	v_add_nc_u32_e32 v23, 0x5800, v71
	v_mul_u32_u24_sdwa v2, v2, v94 dst_sel:DWORD dst_unused:UNUSED_PAD src0_sel:WORD_1 src1_sel:DWORD
	s_waitcnt lgkmcnt(1)
	v_pk_fma_f16 v19, v5, v15, v20
	v_pk_fma_f16 v5, v5, v1, v13
	;; [unrolled: 1-line block ×3, first 2 shown]
	ds_read_b128 v[13:16], v85 offset:352
	v_pk_fma_f16 v1, v6, v1, v18
	v_pk_fma_f16 v6, v7, v22, v19
	ds_read2_b64 v[17:20], v23 offset1:32
	v_pk_fma_f16 v5, v7, v2, v5
	v_mul_u32_u24_sdwa v7, v3, v94 dst_sel:DWORD dst_unused:UNUSED_PAD src0_sel:WORD_0 src1_sel:DWORD
	v_mul_u32_u24_sdwa v3, v3, v94 dst_sel:DWORD dst_unused:UNUSED_PAD src0_sel:WORD_1 src1_sel:DWORD
	v_pk_fma_f16 v21, v8, v22, v21
	v_pk_fma_f16 v1, v8, v2, v1
	v_mul_u32_u24_sdwa v22, v4, v94 dst_sel:DWORD dst_unused:UNUSED_PAD src0_sel:WORD_1 src1_sel:DWORD
	s_waitcnt lgkmcnt(2)
	v_pk_fma_f16 v2, v9, v7, v6
	v_pk_fma_f16 v5, v9, v3, v5
	v_mul_u32_u24_sdwa v9, v4, v94 dst_sel:DWORD dst_unused:UNUSED_PAD src0_sel:WORD_0 src1_sel:DWORD
	v_pk_fma_f16 v21, v10, v7, v21
	v_pk_fma_f16 v10, v10, v3, v1
	;; [unrolled: 1-line block ×4, first 2 shown]
	ds_read_b128 v[1:4], v85 offset:368
	s_waitcnt lgkmcnt(2)
	v_mul_u32_u24_sdwa v25, v13, v94 dst_sel:DWORD dst_unused:UNUSED_PAD src0_sel:WORD_0 src1_sel:DWORD
	ds_read2_b64 v[5:8], v23 offset0:64 offset1:96
	v_mul_u32_u24_sdwa v13, v13, v94 dst_sel:DWORD dst_unused:UNUSED_PAD src0_sel:WORD_1 src1_sel:DWORD
	v_pk_fma_f16 v9, v12, v9, v21
	v_pk_fma_f16 v10, v12, v22, v10
	s_waitcnt lgkmcnt(2)
	v_pk_fma_f16 v12, v17, v25, v24
	v_mul_u32_u24_sdwa v22, v15, v94 dst_sel:DWORD dst_unused:UNUSED_PAD src0_sel:WORD_0 src1_sel:DWORD
	v_pk_fma_f16 v11, v17, v13, v11
	v_mul_u32_u24_sdwa v17, v14, v94 dst_sel:DWORD dst_unused:UNUSED_PAD src0_sel:WORD_0 src1_sel:DWORD
	v_mul_u32_u24_sdwa v14, v14, v94 dst_sel:DWORD dst_unused:UNUSED_PAD src0_sel:WORD_1 src1_sel:DWORD
	v_pk_fma_f16 v21, v18, v25, v9
	v_pk_fma_f16 v13, v18, v13, v10
	v_mul_u32_u24_sdwa v15, v15, v94 dst_sel:DWORD dst_unused:UNUSED_PAD src0_sel:WORD_1 src1_sel:DWORD
	v_pk_fma_f16 v18, v19, v17, v12
	v_pk_fma_f16 v19, v19, v14, v11
	ds_read2_b64 v[9:12], v23 offset0:128 offset1:160
	v_pk_fma_f16 v17, v20, v17, v21
	v_pk_fma_f16 v13, v20, v14, v13
	s_waitcnt lgkmcnt(1)
	v_pk_fma_f16 v14, v5, v22, v18
	v_pk_fma_f16 v5, v5, v15, v19
	v_mul_u32_u24_sdwa v18, v16, v94 dst_sel:DWORD dst_unused:UNUSED_PAD src0_sel:WORD_0 src1_sel:DWORD
	v_mul_u32_u24_sdwa v19, v16, v94 dst_sel:DWORD dst_unused:UNUSED_PAD src0_sel:WORD_1 src1_sel:DWORD
	v_pk_fma_f16 v17, v6, v22, v17
	v_pk_fma_f16 v6, v6, v15, v13
	v_mul_u32_u24_sdwa v22, v2, v94 dst_sel:DWORD dst_unused:UNUSED_PAD src0_sel:WORD_0 src1_sel:DWORD
	v_pk_fma_f16 v20, v7, v18, v14
	v_pk_fma_f16 v5, v7, v19, v5
	v_mul_u32_u24_sdwa v7, v1, v94 dst_sel:DWORD dst_unused:UNUSED_PAD src0_sel:WORD_0 src1_sel:DWORD
	v_mul_u32_u24_sdwa v1, v1, v94 dst_sel:DWORD dst_unused:UNUSED_PAD src0_sel:WORD_1 src1_sel:DWORD
	ds_read2_b64 v[13:16], v23 offset0:192 offset1:224
	v_pk_fma_f16 v17, v8, v18, v17
	v_pk_fma_f16 v18, v8, v19, v6
	s_waitcnt lgkmcnt(1)
	v_pk_fma_f16 v19, v9, v7, v20
	v_pk_fma_f16 v9, v9, v1, v5
	v_add_nc_u32_e32 v23, 0x6000, v71
	v_pk_fma_f16 v21, v10, v7, v17
	ds_read_b128 v[5:8], v85 offset:384
	v_mul_u32_u24_sdwa v2, v2, v94 dst_sel:DWORD dst_unused:UNUSED_PAD src0_sel:WORD_1 src1_sel:DWORD
	v_pk_fma_f16 v1, v10, v1, v18
	v_pk_fma_f16 v10, v11, v22, v19
	ds_read2_b64 v[17:20], v23 offset1:32
	v_pk_fma_f16 v21, v12, v22, v21
	v_pk_fma_f16 v9, v11, v2, v9
	v_mul_u32_u24_sdwa v11, v3, v94 dst_sel:DWORD dst_unused:UNUSED_PAD src0_sel:WORD_0 src1_sel:DWORD
	v_mul_u32_u24_sdwa v3, v3, v94 dst_sel:DWORD dst_unused:UNUSED_PAD src0_sel:WORD_1 src1_sel:DWORD
	v_pk_fma_f16 v1, v12, v2, v1
	v_mul_u32_u24_sdwa v22, v4, v94 dst_sel:DWORD dst_unused:UNUSED_PAD src0_sel:WORD_1 src1_sel:DWORD
	s_waitcnt lgkmcnt(2)
	v_pk_fma_f16 v2, v13, v11, v10
	v_pk_fma_f16 v9, v13, v3, v9
	v_mul_u32_u24_sdwa v13, v4, v94 dst_sel:DWORD dst_unused:UNUSED_PAD src0_sel:WORD_0 src1_sel:DWORD
	v_pk_fma_f16 v21, v14, v11, v21
	v_pk_fma_f16 v14, v14, v3, v1
	;; [unrolled: 1-line block ×4, first 2 shown]
	ds_read_b128 v[1:4], v85 offset:400
	s_waitcnt lgkmcnt(2)
	v_mul_u32_u24_sdwa v25, v5, v94 dst_sel:DWORD dst_unused:UNUSED_PAD src0_sel:WORD_0 src1_sel:DWORD
	ds_read2_b64 v[9:12], v23 offset0:64 offset1:96
	v_mul_u32_u24_sdwa v5, v5, v94 dst_sel:DWORD dst_unused:UNUSED_PAD src0_sel:WORD_1 src1_sel:DWORD
	v_pk_fma_f16 v13, v16, v13, v21
	v_pk_fma_f16 v14, v16, v22, v14
	s_waitcnt lgkmcnt(2)
	v_pk_fma_f16 v16, v17, v25, v24
	v_mul_u32_u24_sdwa v22, v7, v94 dst_sel:DWORD dst_unused:UNUSED_PAD src0_sel:WORD_0 src1_sel:DWORD
	v_pk_fma_f16 v15, v17, v5, v15
	v_mul_u32_u24_sdwa v17, v6, v94 dst_sel:DWORD dst_unused:UNUSED_PAD src0_sel:WORD_0 src1_sel:DWORD
	v_mul_u32_u24_sdwa v6, v6, v94 dst_sel:DWORD dst_unused:UNUSED_PAD src0_sel:WORD_1 src1_sel:DWORD
	v_pk_fma_f16 v21, v18, v25, v13
	v_pk_fma_f16 v5, v18, v5, v14
	v_mul_u32_u24_sdwa v7, v7, v94 dst_sel:DWORD dst_unused:UNUSED_PAD src0_sel:WORD_1 src1_sel:DWORD
	v_pk_fma_f16 v18, v19, v17, v16
	v_pk_fma_f16 v19, v19, v6, v15
	ds_read2_b64 v[13:16], v23 offset0:128 offset1:160
	v_pk_fma_f16 v17, v20, v17, v21
	v_pk_fma_f16 v5, v20, v6, v5
	s_waitcnt lgkmcnt(2)
	v_mul_u32_u24_sdwa v24, v4, v94 dst_sel:DWORD dst_unused:UNUSED_PAD src0_sel:WORD_1 src1_sel:DWORD
	s_waitcnt lgkmcnt(1)
	v_pk_fma_f16 v6, v9, v22, v18
	v_pk_fma_f16 v9, v9, v7, v19
	v_mul_u32_u24_sdwa v18, v8, v94 dst_sel:DWORD dst_unused:UNUSED_PAD src0_sel:WORD_0 src1_sel:DWORD
	v_mul_u32_u24_sdwa v19, v8, v94 dst_sel:DWORD dst_unused:UNUSED_PAD src0_sel:WORD_1 src1_sel:DWORD
	v_pk_fma_f16 v17, v10, v22, v17
	v_pk_fma_f16 v10, v10, v7, v5
	v_mul_u32_u24_sdwa v22, v2, v94 dst_sel:DWORD dst_unused:UNUSED_PAD src0_sel:WORD_0 src1_sel:DWORD
	v_pk_fma_f16 v20, v11, v18, v6
	v_pk_fma_f16 v9, v11, v19, v9
	v_mul_u32_u24_sdwa v11, v1, v94 dst_sel:DWORD dst_unused:UNUSED_PAD src0_sel:WORD_0 src1_sel:DWORD
	v_mul_u32_u24_sdwa v1, v1, v94 dst_sel:DWORD dst_unused:UNUSED_PAD src0_sel:WORD_1 src1_sel:DWORD
	ds_read2_b64 v[5:8], v23 offset0:192 offset1:224
	v_pk_fma_f16 v17, v12, v18, v17
	v_pk_fma_f16 v18, v12, v19, v10
	s_waitcnt lgkmcnt(1)
	v_pk_fma_f16 v19, v13, v11, v20
	v_pk_fma_f16 v13, v13, v1, v9
	v_add_nc_u32_e32 v23, 0x6800, v71
	v_pk_fma_f16 v21, v14, v11, v17
	ds_read_b128 v[9:12], v85 offset:416
	v_mul_u32_u24_sdwa v2, v2, v94 dst_sel:DWORD dst_unused:UNUSED_PAD src0_sel:WORD_1 src1_sel:DWORD
	v_pk_fma_f16 v1, v14, v1, v18
	v_pk_fma_f16 v14, v15, v22, v19
	ds_read2_b64 v[17:20], v23 offset1:32
	v_pk_fma_f16 v21, v16, v22, v21
	v_pk_fma_f16 v13, v15, v2, v13
	v_mul_u32_u24_sdwa v15, v3, v94 dst_sel:DWORD dst_unused:UNUSED_PAD src0_sel:WORD_0 src1_sel:DWORD
	v_mul_u32_u24_sdwa v3, v3, v94 dst_sel:DWORD dst_unused:UNUSED_PAD src0_sel:WORD_1 src1_sel:DWORD
	v_pk_fma_f16 v1, v16, v2, v1
	v_mul_u32_u24_sdwa v22, v4, v94 dst_sel:DWORD dst_unused:UNUSED_PAD src0_sel:WORD_0 src1_sel:DWORD
	s_waitcnt lgkmcnt(2)
	v_pk_fma_f16 v2, v5, v15, v14
	v_pk_fma_f16 v5, v5, v3, v13
	;; [unrolled: 1-line block ×4, first 2 shown]
	ds_read2_b64 v[13:16], v23 offset0:64 offset1:96
	v_pk_fma_f16 v25, v7, v22, v2
	v_pk_fma_f16 v5, v7, v24, v5
	ds_read_b128 v[1:4], v85 offset:432
	s_waitcnt lgkmcnt(3)
	v_mul_u32_u24_sdwa v7, v9, v94 dst_sel:DWORD dst_unused:UNUSED_PAD src0_sel:WORD_0 src1_sel:DWORD
	v_mul_u32_u24_sdwa v9, v9, v94 dst_sel:DWORD dst_unused:UNUSED_PAD src0_sel:WORD_1 src1_sel:DWORD
	v_pk_fma_f16 v21, v8, v22, v21
	v_pk_fma_f16 v6, v8, v24, v6
	v_mul_u32_u24_sdwa v22, v11, v94 dst_sel:DWORD dst_unused:UNUSED_PAD src0_sel:WORD_0 src1_sel:DWORD
	s_waitcnt lgkmcnt(2)
	v_pk_fma_f16 v8, v17, v7, v25
	v_pk_fma_f16 v5, v17, v9, v5
	v_mul_u32_u24_sdwa v17, v10, v94 dst_sel:DWORD dst_unused:UNUSED_PAD src0_sel:WORD_0 src1_sel:DWORD
	v_mul_u32_u24_sdwa v10, v10, v94 dst_sel:DWORD dst_unused:UNUSED_PAD src0_sel:WORD_1 src1_sel:DWORD
	v_pk_fma_f16 v21, v18, v7, v21
	v_pk_fma_f16 v9, v18, v9, v6
	v_mul_u32_u24_sdwa v11, v11, v94 dst_sel:DWORD dst_unused:UNUSED_PAD src0_sel:WORD_1 src1_sel:DWORD
	v_pk_fma_f16 v18, v19, v17, v8
	v_pk_fma_f16 v19, v19, v10, v5
	ds_read2_b64 v[5:8], v23 offset0:128 offset1:160
	v_pk_fma_f16 v17, v20, v17, v21
	v_pk_fma_f16 v9, v20, v10, v9
	s_waitcnt lgkmcnt(2)
	v_pk_fma_f16 v10, v13, v22, v18
	v_pk_fma_f16 v13, v13, v11, v19
	v_mul_u32_u24_sdwa v18, v12, v94 dst_sel:DWORD dst_unused:UNUSED_PAD src0_sel:WORD_0 src1_sel:DWORD
	v_mul_u32_u24_sdwa v19, v12, v94 dst_sel:DWORD dst_unused:UNUSED_PAD src0_sel:WORD_1 src1_sel:DWORD
	v_pk_fma_f16 v17, v14, v22, v17
	v_pk_fma_f16 v14, v14, v11, v9
	s_waitcnt lgkmcnt(1)
	v_mul_u32_u24_sdwa v22, v2, v94 dst_sel:DWORD dst_unused:UNUSED_PAD src0_sel:WORD_0 src1_sel:DWORD
	v_pk_fma_f16 v20, v15, v18, v10
	v_pk_fma_f16 v13, v15, v19, v13
	v_mul_u32_u24_sdwa v15, v1, v94 dst_sel:DWORD dst_unused:UNUSED_PAD src0_sel:WORD_0 src1_sel:DWORD
	v_mul_u32_u24_sdwa v1, v1, v94 dst_sel:DWORD dst_unused:UNUSED_PAD src0_sel:WORD_1 src1_sel:DWORD
	ds_read2_b64 v[9:12], v23 offset0:192 offset1:224
	v_pk_fma_f16 v17, v16, v18, v17
	v_pk_fma_f16 v18, v16, v19, v14
	v_add_nc_u32_e32 v23, 0x7000, v71
	v_mul_u32_u24_sdwa v2, v2, v94 dst_sel:DWORD dst_unused:UNUSED_PAD src0_sel:WORD_1 src1_sel:DWORD
	s_waitcnt lgkmcnt(1)
	v_pk_fma_f16 v19, v5, v15, v20
	v_pk_fma_f16 v5, v5, v1, v13
	;; [unrolled: 1-line block ×3, first 2 shown]
	ds_read_b128 v[13:16], v85 offset:448
	v_pk_fma_f16 v1, v6, v1, v18
	v_pk_fma_f16 v6, v7, v22, v19
	ds_read2_b64 v[17:20], v23 offset1:32
	v_pk_fma_f16 v5, v7, v2, v5
	v_mul_u32_u24_sdwa v7, v3, v94 dst_sel:DWORD dst_unused:UNUSED_PAD src0_sel:WORD_0 src1_sel:DWORD
	v_mul_u32_u24_sdwa v3, v3, v94 dst_sel:DWORD dst_unused:UNUSED_PAD src0_sel:WORD_1 src1_sel:DWORD
	v_pk_fma_f16 v21, v8, v22, v21
	v_pk_fma_f16 v1, v8, v2, v1
	v_mul_u32_u24_sdwa v22, v4, v94 dst_sel:DWORD dst_unused:UNUSED_PAD src0_sel:WORD_1 src1_sel:DWORD
	s_waitcnt lgkmcnt(2)
	v_pk_fma_f16 v2, v9, v7, v6
	v_pk_fma_f16 v5, v9, v3, v5
	v_mul_u32_u24_sdwa v9, v4, v94 dst_sel:DWORD dst_unused:UNUSED_PAD src0_sel:WORD_0 src1_sel:DWORD
	v_pk_fma_f16 v21, v10, v7, v21
	v_pk_fma_f16 v10, v10, v3, v1
	;; [unrolled: 1-line block ×4, first 2 shown]
	ds_read_b128 v[1:4], v85 offset:464
	s_waitcnt lgkmcnt(2)
	v_mul_u32_u24_sdwa v25, v13, v94 dst_sel:DWORD dst_unused:UNUSED_PAD src0_sel:WORD_0 src1_sel:DWORD
	ds_read2_b64 v[5:8], v23 offset0:64 offset1:96
	v_mul_u32_u24_sdwa v13, v13, v94 dst_sel:DWORD dst_unused:UNUSED_PAD src0_sel:WORD_1 src1_sel:DWORD
	v_pk_fma_f16 v9, v12, v9, v21
	v_pk_fma_f16 v10, v12, v22, v10
	s_waitcnt lgkmcnt(2)
	v_pk_fma_f16 v12, v17, v25, v24
	v_mul_u32_u24_sdwa v22, v15, v94 dst_sel:DWORD dst_unused:UNUSED_PAD src0_sel:WORD_0 src1_sel:DWORD
	v_pk_fma_f16 v11, v17, v13, v11
	v_mul_u32_u24_sdwa v17, v14, v94 dst_sel:DWORD dst_unused:UNUSED_PAD src0_sel:WORD_0 src1_sel:DWORD
	v_mul_u32_u24_sdwa v14, v14, v94 dst_sel:DWORD dst_unused:UNUSED_PAD src0_sel:WORD_1 src1_sel:DWORD
	v_pk_fma_f16 v21, v18, v25, v9
	v_pk_fma_f16 v13, v18, v13, v10
	v_mul_u32_u24_sdwa v15, v15, v94 dst_sel:DWORD dst_unused:UNUSED_PAD src0_sel:WORD_1 src1_sel:DWORD
	v_pk_fma_f16 v18, v19, v17, v12
	v_pk_fma_f16 v19, v19, v14, v11
	ds_read2_b64 v[9:12], v23 offset0:128 offset1:160
	v_pk_fma_f16 v17, v20, v17, v21
	v_pk_fma_f16 v13, v20, v14, v13
	v_add_nc_u32_e32 v25, 0x7800, v71
	s_waitcnt lgkmcnt(1)
	v_pk_fma_f16 v14, v5, v22, v18
	v_pk_fma_f16 v5, v5, v15, v19
	v_mul_u32_u24_sdwa v18, v16, v94 dst_sel:DWORD dst_unused:UNUSED_PAD src0_sel:WORD_0 src1_sel:DWORD
	v_mul_u32_u24_sdwa v19, v16, v94 dst_sel:DWORD dst_unused:UNUSED_PAD src0_sel:WORD_1 src1_sel:DWORD
	v_pk_fma_f16 v17, v6, v22, v17
	v_pk_fma_f16 v6, v6, v15, v13
	v_mul_u32_u24_sdwa v22, v2, v94 dst_sel:DWORD dst_unused:UNUSED_PAD src0_sel:WORD_0 src1_sel:DWORD
	v_pk_fma_f16 v20, v7, v18, v14
	v_pk_fma_f16 v5, v7, v19, v5
	v_mul_u32_u24_sdwa v7, v1, v94 dst_sel:DWORD dst_unused:UNUSED_PAD src0_sel:WORD_0 src1_sel:DWORD
	v_mul_u32_u24_sdwa v1, v1, v94 dst_sel:DWORD dst_unused:UNUSED_PAD src0_sel:WORD_1 src1_sel:DWORD
	ds_read2_b64 v[13:16], v23 offset0:192 offset1:224
	v_pk_fma_f16 v17, v8, v18, v17
	v_pk_fma_f16 v6, v8, v19, v6
	s_waitcnt lgkmcnt(1)
	v_pk_fma_f16 v18, v9, v7, v20
	v_pk_fma_f16 v9, v9, v1, v5
	v_mul_u32_u24_sdwa v2, v2, v94 dst_sel:DWORD dst_unused:UNUSED_PAD src0_sel:WORD_1 src1_sel:DWORD
	v_pk_fma_f16 v21, v10, v7, v17
	v_pk_fma_f16 v1, v10, v1, v6
	ds_read_b128 v[5:8], v85 offset:480
	v_pk_fma_f16 v10, v11, v22, v18
	ds_read2_b64 v[17:20], v25 offset1:32
	v_pk_fma_f16 v9, v11, v2, v9
	v_mul_u32_u24_sdwa v11, v3, v94 dst_sel:DWORD dst_unused:UNUSED_PAD src0_sel:WORD_0 src1_sel:DWORD
	v_mul_u32_u24_sdwa v3, v3, v94 dst_sel:DWORD dst_unused:UNUSED_PAD src0_sel:WORD_1 src1_sel:DWORD
	v_add_f32_e32 v23, v109, v111
	v_pk_fma_f16 v21, v12, v22, v21
	v_pk_fma_f16 v1, v12, v2, v1
	v_add_f32_e32 v26, v110, v23
	s_waitcnt lgkmcnt(2)
	v_pk_fma_f16 v2, v13, v11, v10
	v_pk_fma_f16 v9, v13, v3, v9
	v_mul_u32_u24_sdwa v13, v4, v94 dst_sel:DWORD dst_unused:UNUSED_PAD src0_sel:WORD_0 src1_sel:DWORD
	v_mul_u32_u24_sdwa v4, v4, v94 dst_sel:DWORD dst_unused:UNUSED_PAD src0_sel:WORD_1 src1_sel:DWORD
	v_pk_fma_f16 v27, v14, v11, v21
	v_pk_fma_f16 v3, v14, v3, v1
	ds_read2_b64 v[21:24], v25 offset0:64 offset1:96
	v_pk_fma_f16 v2, v15, v13, v2
	v_pk_fma_f16 v14, v15, v4, v9
	ds_read_b128 v[9:12], v85 offset:496
	s_waitcnt lgkmcnt(3)
	v_mul_u32_u24_sdwa v15, v5, v94 dst_sel:DWORD dst_unused:UNUSED_PAD src0_sel:WORD_0 src1_sel:DWORD
	v_mul_u32_u24_sdwa v5, v5, v94 dst_sel:DWORD dst_unused:UNUSED_PAD src0_sel:WORD_1 src1_sel:DWORD
	v_pk_fma_f16 v13, v16, v13, v27
	v_pk_fma_f16 v3, v16, v4, v3
	v_add_f32_e32 v1, v108, v26
	s_waitcnt lgkmcnt(2)
	v_pk_fma_f16 v2, v17, v15, v2
	v_pk_fma_f16 v4, v17, v5, v14
	v_mul_u32_u24_sdwa v14, v6, v94 dst_sel:DWORD dst_unused:UNUSED_PAD src0_sel:WORD_0 src1_sel:DWORD
	v_mul_u32_u24_sdwa v6, v6, v94 dst_sel:DWORD dst_unused:UNUSED_PAD src0_sel:WORD_1 src1_sel:DWORD
	v_pk_fma_f16 v13, v18, v15, v13
	v_pk_fma_f16 v15, v18, v5, v3
	v_mul_u32_u24_sdwa v18, v7, v94 dst_sel:DWORD dst_unused:UNUSED_PAD src0_sel:WORD_0 src1_sel:DWORD
	v_pk_fma_f16 v16, v19, v14, v2
	v_pk_fma_f16 v17, v19, v6, v4
	ds_read2_b64 v[2:5], v25 offset0:128 offset1:160
	v_mul_u32_u24_sdwa v7, v7, v94 dst_sel:DWORD dst_unused:UNUSED_PAD src0_sel:WORD_1 src1_sel:DWORD
	v_pk_fma_f16 v13, v20, v14, v13
	v_pk_fma_f16 v6, v20, v6, v15
	s_waitcnt lgkmcnt(2)
	v_pk_fma_f16 v14, v21, v18, v16
	v_mul_u32_u24_sdwa v16, v8, v94 dst_sel:DWORD dst_unused:UNUSED_PAD src0_sel:WORD_0 src1_sel:DWORD
	v_pk_fma_f16 v15, v21, v7, v17
	v_mul_u32_u24_sdwa v17, v8, v94 dst_sel:DWORD dst_unused:UNUSED_PAD src0_sel:WORD_1 src1_sel:DWORD
	v_pk_fma_f16 v13, v22, v18, v13
	v_pk_fma_f16 v18, v22, v7, v6
	s_waitcnt lgkmcnt(1)
	v_mul_u32_u24_sdwa v20, v9, v94 dst_sel:DWORD dst_unused:UNUSED_PAD src0_sel:WORD_0 src1_sel:DWORD
	v_mul_u32_u24_sdwa v21, v9, v94 dst_sel:DWORD dst_unused:UNUSED_PAD src0_sel:WORD_1 src1_sel:DWORD
	ds_read2_b64 v[6:9], v25 offset0:192 offset1:224
	s_waitcnt lgkmcnt(0)
	s_barrier
	buffer_gl0_inv
	s_load_dword s18, s[0:1], 0x4
	v_pk_fma_f16 v14, v23, v16, v14
	v_pk_fma_f16 v15, v23, v17, v15
	;; [unrolled: 1-line block ×4, first 2 shown]
	v_add_f32_e32 v19, v114, v115
	v_pk_fma_f16 v14, v2, v20, v14
	v_pk_fma_f16 v2, v2, v21, v15
	v_mul_u32_u24_sdwa v15, v10, v94 dst_sel:DWORD dst_unused:UNUSED_PAD src0_sel:WORD_0 src1_sel:DWORD
	v_mul_u32_u24_sdwa v10, v10, v94 dst_sel:DWORD dst_unused:UNUSED_PAD src0_sel:WORD_1 src1_sel:DWORD
	v_pk_fma_f16 v13, v3, v20, v13
	v_pk_fma_f16 v3, v3, v21, v16
	v_add_f32_e32 v19, v113, v19
	v_pk_fma_f16 v14, v4, v15, v14
	v_pk_fma_f16 v4, v4, v10, v2
	v_mul_u32_u24_sdwa v16, v11, v94 dst_sel:DWORD dst_unused:UNUSED_PAD src0_sel:WORD_0 src1_sel:DWORD
	v_mul_u32_u24_sdwa v11, v11, v94 dst_sel:DWORD dst_unused:UNUSED_PAD src0_sel:WORD_1 src1_sel:DWORD
	v_pk_fma_f16 v13, v5, v15, v13
	v_pk_fma_f16 v3, v5, v10, v3
	;; [unrolled: 7-line block ×3, first 2 shown]
	s_waitcnt lgkmcnt(0)
	s_lshl_b32 s18, s18, 7
	v_fmac_f32_e32 v1, v96, v102
	v_fmac_f32_e32 v2, v95, v101
	v_pk_fma_f16 v98, v8, v6, v5
	v_pk_fma_f16 v97, v8, v10, v4
	;; [unrolled: 1-line block ×4, first 2 shown]
	s_add_i32 s6, s18, s6
	s_cmp_ge_i32 s6, s30
	s_cbranch_scc1 .LBB77_43
; %bb.42:                               ;   in Loop: Header=BB77_9 Depth=1
	v_mov_b32_e32 v102, v67
	v_mov_b32_e32 v101, v68
	;; [unrolled: 1-line block ×4, first 2 shown]
	s_branch .LBB77_9
.LBB77_43:
	v_mov_b32_e32 v4, v72
.LBB77_44:
	v_cmp_lt_i32_e32 vcc_lo, v107, v73
	s_cmp_lg_u64 s[16:17], 0
	s_cselect_b32 s0, -1, 0
	s_cmp_eq_u32 s28, 0
	v_cndmask_b32_e32 v3, v4, v107, vcc_lo
	v_cmp_lt_i32_e32 vcc_lo, v103, v73
	s_cselect_b32 s1, -1, 0
	s_and_b32 s0, s1, s0
	v_lshlrev_b32_e32 v3, 2, v3
	v_cndmask_b32_e32 v6, v4, v103, vcc_lo
	v_cmp_lt_i32_e32 vcc_lo, v104, v73
	ds_bpermute_b32 v5, v3, v1
	ds_bpermute_b32 v3, v3, v2
	v_lshlrev_b32_e32 v6, 2, v6
	s_waitcnt lgkmcnt(1)
	v_add_f32_e32 v1, v1, v5
	s_waitcnt lgkmcnt(0)
	v_add_f32_e32 v2, v2, v3
	ds_bpermute_b32 v3, v6, v1
	ds_bpermute_b32 v5, v6, v2
	v_cndmask_b32_e32 v6, v4, v104, vcc_lo
	v_cmp_lt_i32_e32 vcc_lo, v105, v73
	v_lshlrev_b32_e32 v6, 2, v6
	s_waitcnt lgkmcnt(1)
	v_add_f32_e32 v1, v1, v3
	s_waitcnt lgkmcnt(0)
	v_add_f32_e32 v2, v2, v5
	ds_bpermute_b32 v3, v6, v1
	ds_bpermute_b32 v5, v6, v2
	v_cndmask_b32_e32 v6, v4, v105, vcc_lo
	v_cmp_lt_i32_e32 vcc_lo, v106, v73
	v_lshlrev_b32_e32 v6, 2, v6
	v_cndmask_b32_e32 v4, v4, v106, vcc_lo
	s_and_b32 vcc_lo, exec_lo, s0
	v_lshlrev_b32_e32 v4, 2, v4
	s_waitcnt lgkmcnt(1)
	v_add_f32_e32 v1, v1, v3
	s_waitcnt lgkmcnt(0)
	v_add_f32_e32 v2, v2, v5
	ds_bpermute_b32 v3, v6, v1
	ds_bpermute_b32 v5, v6, v2
	s_waitcnt lgkmcnt(1)
	v_add_f32_e32 v1, v1, v3
	s_waitcnt lgkmcnt(0)
	v_add_f32_e32 v2, v2, v5
	ds_bpermute_b32 v3, v4, v1
	ds_bpermute_b32 v4, v4, v2
	s_waitcnt lgkmcnt(1)
	v_add_f32_e32 v1, v1, v3
	s_waitcnt lgkmcnt(0)
	v_add_f32_e32 v2, v2, v4
	s_cbranch_vccz .LBB77_47
; %bb.45:
	v_add_nc_u32_e32 v3, s29, v69
	v_max_f32_e32 v5, v67, v67
	v_max_f32_e32 v7, v68, v68
	v_ashrrev_i32_e32 v4, 31, v3
	v_lshlrev_b64 v[3:4], 2, v[3:4]
	v_add_co_u32 v3, vcc_lo, s16, v3
	v_add_co_ci_u32_e64 v4, null, s17, v4, vcc_lo
	global_load_dwordx2 v[3:4], v[3:4], off
	s_waitcnt vmcnt(0)
	v_max_f32_e32 v6, v3, v3
	v_max_f32_e32 v8, v4, v4
	;; [unrolled: 1-line block ×4, first 2 shown]
	v_sub_f32_e32 v7, v67, v5
	v_sub_f32_e32 v8, v68, v6
	;; [unrolled: 1-line block ×4, first 2 shown]
	v_mov_b32_e32 v68, v6
	v_mul_f32_e32 v9, 0x3fb8aa3b, v7
	v_mul_f32_e32 v11, 0x3fb8aa3b, v8
	;; [unrolled: 1-line block ×4, first 2 shown]
	v_cmp_ngt_f32_e32 vcc_lo, 0xc2ce8ed0, v7
	v_fma_f32 v13, 0x3fb8aa3b, v7, -v9
	v_rndne_f32_e32 v14, v9
	v_fma_f32 v17, 0x3fb8aa3b, v8, -v11
	v_rndne_f32_e32 v18, v11
	v_fma_f32 v15, 0x3fb8aa3b, v3, -v10
	v_fmac_f32_e32 v13, 0x32a5705f, v7
	v_sub_f32_e32 v9, v9, v14
	v_rndne_f32_e32 v16, v10
	v_fmac_f32_e32 v17, 0x32a5705f, v8
	v_sub_f32_e32 v11, v11, v18
	v_fmac_f32_e32 v15, 0x32a5705f, v3
	v_add_f32_e32 v9, v9, v13
	v_sub_f32_e32 v10, v10, v16
	v_cvt_i32_f32_e32 v13, v14
	v_add_f32_e32 v11, v11, v17
	v_fma_f32 v19, 0x3fb8aa3b, v4, -v12
	v_exp_f32_e32 v9, v9
	v_add_f32_e32 v10, v10, v15
	v_rndne_f32_e32 v20, v12
	v_exp_f32_e32 v11, v11
	v_cvt_i32_f32_e32 v15, v18
	v_fmac_f32_e32 v19, 0x32a5705f, v4
	v_exp_f32_e32 v10, v10
	v_sub_f32_e32 v12, v12, v20
	v_cvt_i32_f32_e32 v14, v16
	v_cvt_i32_f32_e32 v16, v20
	v_ldexp_f32 v9, v9, v13
	v_mov_b32_e32 v17, 0x10001
	v_add_f32_e32 v12, v12, v19
	v_ldexp_f32 v11, v11, v15
	v_mov_b32_e32 v67, v5
	v_cndmask_b32_e32 v9, 0, v9, vcc_lo
	v_cmp_ngt_f32_e32 vcc_lo, 0xc2ce8ed0, v8
	v_ldexp_f32 v10, v10, v14
	v_exp_f32_e32 v12, v12
	v_cndmask_b32_e32 v11, 0, v11, vcc_lo
	v_cmp_ngt_f32_e32 vcc_lo, 0xc2ce8ed0, v3
	v_cndmask_b32_e32 v10, 0, v10, vcc_lo
	v_cmp_nlt_f32_e32 vcc_lo, 0x42b17218, v7
	v_ldexp_f32 v12, v12, v16
	v_cndmask_b32_e32 v7, 0x7f800000, v9, vcc_lo
	v_cmp_nlt_f32_e32 vcc_lo, 0x42b17218, v8
	v_cndmask_b32_e32 v8, 0x7f800000, v11, vcc_lo
	v_cmp_ngt_f32_e32 vcc_lo, 0xc2ce8ed0, v4
	v_cvt_f16_f32_e32 v11, v8
	v_cndmask_b32_e32 v9, 0, v12, vcc_lo
	v_cmp_nlt_f32_e32 vcc_lo, 0x42b17218, v3
	v_mul_u32_u24_sdwa v5, v11, v17 dst_sel:DWORD dst_unused:UNUSED_PAD src0_sel:WORD_0 src1_sel:DWORD
	v_cndmask_b32_e32 v3, 0x7f800000, v10, vcc_lo
	v_cmp_nlt_f32_e32 vcc_lo, 0x42b17218, v4
	v_cvt_f16_f32_e32 v10, v7
	v_pk_mul_f16 v97, v97, v5
	v_pk_mul_f16 v99, v99, v5
	v_fmac_f32_e32 v3, v1, v7
	v_cndmask_b32_e32 v4, 0x7f800000, v9, vcc_lo
	v_mul_u32_u24_sdwa v7, v10, v17 dst_sel:DWORD dst_unused:UNUSED_PAD src0_sel:WORD_0 src1_sel:DWORD
	v_mov_b32_e32 v1, v3
	v_fmac_f32_e32 v4, v2, v8
	v_pk_mul_f16 v98, v98, v7
	v_pk_mul_f16 v100, v100, v7
	v_mov_b32_e32 v2, v4
	s_mov_b32 s0, exec_lo
	v_cmpx_gt_i32_e64 s2, v33
	s_cbranch_execnz .LBB77_48
.LBB77_46:
	s_endpgm
.LBB77_47:
	v_mov_b32_e32 v4, v2
	v_mov_b32_e32 v3, v1
	s_mov_b32 s0, exec_lo
	v_cmpx_gt_i32_e64 s2, v33
	s_cbranch_execz .LBB77_46
.LBB77_48:
	s_load_dword s1, s[4:5], 0xd4
	v_mov_b32_e32 v7, 1.0
	s_waitcnt lgkmcnt(0)
	s_cmp_lg_u32 s1, 1
	s_cselect_b32 s5, -1, 0
	s_cmp_eq_u32 s1, 1
	s_cselect_b32 s4, -1, 0
	s_and_b32 vcc_lo, exec_lo, s5
	s_cbranch_vccnz .LBB77_50
; %bb.49:
	v_div_scale_f32 v5, null, v1, v1, 1.0
	v_rcp_f32_e32 v6, v5
	v_fma_f32 v7, -v5, v6, 1.0
	v_fmac_f32_e32 v6, v7, v6
	v_div_scale_f32 v7, vcc_lo, 1.0, v1, 1.0
	v_mul_f32_e32 v8, v7, v6
	v_fma_f32 v9, -v5, v8, v7
	v_fmac_f32_e32 v8, v9, v6
	v_fma_f32 v5, -v5, v8, v7
	v_div_fmas_f32 v5, v5, v6, v8
	v_div_fixup_f32 v7, v5, v1, 1.0
.LBB77_50:
	v_mad_u64_u32 v[5:6], null, s7, s2, v[33:34]
	v_cmp_eq_u32_e32 vcc_lo, 0, v0
	v_cvt_f32_f16_sdwa v9, v98 dst_sel:DWORD dst_unused:UNUSED_PAD src0_sel:WORD_1
	v_cvt_f32_f16_e32 v10, v100
	v_cvt_f32_f16_sdwa v11, v100 dst_sel:DWORD dst_unused:UNUSED_PAD src0_sel:WORD_1
	v_mul_f32_e32 v9, v7, v9
	v_mul_lo_u32 v1, v5, s3
	v_mul_f32_e32 v10, v7, v10
	v_mul_f32_e32 v11, v7, v11
	v_add3_u32 v1, s29, v69, v1
	v_mad_u64_u32 v[5:6], null, s1, v1, s[28:29]
	v_mov_b32_e32 v1, 0
	v_cvt_f32_f16_e32 v6, v98
	v_mul_f32_e32 v8, v7, v6
	v_lshl_add_u32 v0, v5, 7, v70
	v_lshlrev_b64 v[0:1], 2, v[0:1]
	v_add_co_u32 v0, s0, s20, v0
	v_add_co_ci_u32_e64 v1, null, s21, v1, s0
	s_and_b32 s0, vcc_lo, s5
	global_store_dwordx4 v[0:1], v[8:11], off
	s_and_saveexec_b32 s2, s0
	s_cbranch_execz .LBB77_52
; %bb.51:
	v_ashrrev_i32_e32 v6, 31, v5
	v_mov_b32_e32 v7, v3
	v_lshlrev_b64 v[0:1], 3, v[5:6]
	v_mov_b32_e32 v6, v67
	v_add_co_u32 v0, vcc_lo, s22, v0
	v_add_co_ci_u32_e64 v1, null, s23, v1, vcc_lo
	global_store_dwordx2 v[0:1], v[6:7], off
.LBB77_52:
	s_or_b32 exec_lo, exec_lo, s2
	v_mov_b32_e32 v1, 1.0
	s_andn2_b32 vcc_lo, exec_lo, s4
	s_cbranch_vccnz .LBB77_54
; %bb.53:
	v_div_scale_f32 v0, null, v2, v2, 1.0
	v_rcp_f32_e32 v1, v0
	v_fma_f32 v3, -v0, v1, 1.0
	v_fmac_f32_e32 v1, v3, v1
	v_div_scale_f32 v3, vcc_lo, 1.0, v2, 1.0
	v_mul_f32_e32 v6, v3, v1
	v_fma_f32 v7, -v0, v6, v3
	v_fmac_f32_e32 v6, v7, v1
	v_fma_f32 v0, -v0, v6, v3
	v_div_fmas_f32 v0, v0, v1, v6
	v_div_fixup_f32 v1, v0, v2, 1.0
.LBB77_54:
	v_add_nc_u32_e32 v0, s1, v5
	v_mov_b32_e32 v3, 0
	v_cvt_f32_f16_e32 v5, v97
	v_cvt_f32_f16_sdwa v6, v97 dst_sel:DWORD dst_unused:UNUSED_PAD src0_sel:WORD_1
	v_cvt_f32_f16_e32 v7, v99
	v_lshl_add_u32 v2, v0, 7, v70
	v_cvt_f32_f16_sdwa v8, v99 dst_sel:DWORD dst_unused:UNUSED_PAD src0_sel:WORD_1
	v_mul_f32_e32 v5, v1, v5
	v_mul_f32_e32 v6, v1, v6
	;; [unrolled: 1-line block ×3, first 2 shown]
	v_lshlrev_b64 v[2:3], 2, v[2:3]
	v_mul_f32_e32 v8, v1, v8
	v_add_co_u32 v1, vcc_lo, s20, v2
	v_add_co_ci_u32_e64 v2, null, s21, v3, vcc_lo
	global_store_dwordx4 v[1:2], v[5:8], off
	s_and_b32 exec_lo, exec_lo, s0
	s_cbranch_execz .LBB77_46
; %bb.55:
	v_ashrrev_i32_e32 v1, 31, v0
	v_mov_b32_e32 v3, v68
	v_lshlrev_b64 v[0:1], 3, v[0:1]
	v_add_co_u32 v0, vcc_lo, s22, v0
	v_add_co_ci_u32_e64 v1, null, s23, v1, vcc_lo
	global_store_dwordx2 v[0:1], v[3:4], off
	s_endpgm
	.section	.rodata,"a",@progbits
	.p2align	6, 0x0
	.amdhsa_kernel _ZL15flash_attn_tileILi128ELi128ELi4ELi4ELb1EEvPKcS1_S1_S1_S1_PKiPfP15HIP_vector_typeIfLj2EEffffjfiS5_IjLj3EEiiiiiiiiiiiliiliiiiil
		.amdhsa_group_segment_fixed_size 43008
		.amdhsa_private_segment_fixed_size 0
		.amdhsa_kernarg_size 464
		.amdhsa_user_sgpr_count 6
		.amdhsa_user_sgpr_private_segment_buffer 1
		.amdhsa_user_sgpr_dispatch_ptr 0
		.amdhsa_user_sgpr_queue_ptr 0
		.amdhsa_user_sgpr_kernarg_segment_ptr 1
		.amdhsa_user_sgpr_dispatch_id 0
		.amdhsa_user_sgpr_flat_scratch_init 0
		.amdhsa_user_sgpr_private_segment_size 0
		.amdhsa_wavefront_size32 1
		.amdhsa_uses_dynamic_stack 0
		.amdhsa_system_sgpr_private_segment_wavefront_offset 0
		.amdhsa_system_sgpr_workgroup_id_x 1
		.amdhsa_system_sgpr_workgroup_id_y 1
		.amdhsa_system_sgpr_workgroup_id_z 1
		.amdhsa_system_sgpr_workgroup_info 0
		.amdhsa_system_vgpr_workitem_id 1
		.amdhsa_next_free_vgpr 236
		.amdhsa_next_free_sgpr 40
		.amdhsa_reserve_vcc 1
		.amdhsa_reserve_flat_scratch 0
		.amdhsa_float_round_mode_32 0
		.amdhsa_float_round_mode_16_64 0
		.amdhsa_float_denorm_mode_32 3
		.amdhsa_float_denorm_mode_16_64 3
		.amdhsa_dx10_clamp 1
		.amdhsa_ieee_mode 1
		.amdhsa_fp16_overflow 0
		.amdhsa_workgroup_processor_mode 1
		.amdhsa_memory_ordered 1
		.amdhsa_forward_progress 1
		.amdhsa_shared_vgpr_count 0
		.amdhsa_exception_fp_ieee_invalid_op 0
		.amdhsa_exception_fp_denorm_src 0
		.amdhsa_exception_fp_ieee_div_zero 0
		.amdhsa_exception_fp_ieee_overflow 0
		.amdhsa_exception_fp_ieee_underflow 0
		.amdhsa_exception_fp_ieee_inexact 0
		.amdhsa_exception_int_div_zero 0
	.end_amdhsa_kernel
	.section	.text._ZL15flash_attn_tileILi128ELi128ELi4ELi4ELb1EEvPKcS1_S1_S1_S1_PKiPfP15HIP_vector_typeIfLj2EEffffjfiS5_IjLj3EEiiiiiiiiiiiliiliiiiil,"axG",@progbits,_ZL15flash_attn_tileILi128ELi128ELi4ELi4ELb1EEvPKcS1_S1_S1_S1_PKiPfP15HIP_vector_typeIfLj2EEffffjfiS5_IjLj3EEiiiiiiiiiiiliiliiiiil,comdat
.Lfunc_end77:
	.size	_ZL15flash_attn_tileILi128ELi128ELi4ELi4ELb1EEvPKcS1_S1_S1_S1_PKiPfP15HIP_vector_typeIfLj2EEffffjfiS5_IjLj3EEiiiiiiiiiiiliiliiiiil, .Lfunc_end77-_ZL15flash_attn_tileILi128ELi128ELi4ELi4ELb1EEvPKcS1_S1_S1_S1_PKiPfP15HIP_vector_typeIfLj2EEffffjfiS5_IjLj3EEiiiiiiiiiiiliiliiiiil
                                        ; -- End function
	.set _ZL15flash_attn_tileILi128ELi128ELi4ELi4ELb1EEvPKcS1_S1_S1_S1_PKiPfP15HIP_vector_typeIfLj2EEffffjfiS5_IjLj3EEiiiiiiiiiiiliiliiiiil.num_vgpr, 236
	.set _ZL15flash_attn_tileILi128ELi128ELi4ELi4ELb1EEvPKcS1_S1_S1_S1_PKiPfP15HIP_vector_typeIfLj2EEffffjfiS5_IjLj3EEiiiiiiiiiiiliiliiiiil.num_agpr, 0
	.set _ZL15flash_attn_tileILi128ELi128ELi4ELi4ELb1EEvPKcS1_S1_S1_S1_PKiPfP15HIP_vector_typeIfLj2EEffffjfiS5_IjLj3EEiiiiiiiiiiiliiliiiiil.numbered_sgpr, 40
	.set _ZL15flash_attn_tileILi128ELi128ELi4ELi4ELb1EEvPKcS1_S1_S1_S1_PKiPfP15HIP_vector_typeIfLj2EEffffjfiS5_IjLj3EEiiiiiiiiiiiliiliiiiil.num_named_barrier, 0
	.set _ZL15flash_attn_tileILi128ELi128ELi4ELi4ELb1EEvPKcS1_S1_S1_S1_PKiPfP15HIP_vector_typeIfLj2EEffffjfiS5_IjLj3EEiiiiiiiiiiiliiliiiiil.private_seg_size, 0
	.set _ZL15flash_attn_tileILi128ELi128ELi4ELi4ELb1EEvPKcS1_S1_S1_S1_PKiPfP15HIP_vector_typeIfLj2EEffffjfiS5_IjLj3EEiiiiiiiiiiiliiliiiiil.uses_vcc, 1
	.set _ZL15flash_attn_tileILi128ELi128ELi4ELi4ELb1EEvPKcS1_S1_S1_S1_PKiPfP15HIP_vector_typeIfLj2EEffffjfiS5_IjLj3EEiiiiiiiiiiiliiliiiiil.uses_flat_scratch, 0
	.set _ZL15flash_attn_tileILi128ELi128ELi4ELi4ELb1EEvPKcS1_S1_S1_S1_PKiPfP15HIP_vector_typeIfLj2EEffffjfiS5_IjLj3EEiiiiiiiiiiiliiliiiiil.has_dyn_sized_stack, 0
	.set _ZL15flash_attn_tileILi128ELi128ELi4ELi4ELb1EEvPKcS1_S1_S1_S1_PKiPfP15HIP_vector_typeIfLj2EEffffjfiS5_IjLj3EEiiiiiiiiiiiliiliiiiil.has_recursion, 0
	.set _ZL15flash_attn_tileILi128ELi128ELi4ELi4ELb1EEvPKcS1_S1_S1_S1_PKiPfP15HIP_vector_typeIfLj2EEffffjfiS5_IjLj3EEiiiiiiiiiiiliiliiiiil.has_indirect_call, 0
	.section	.AMDGPU.csdata,"",@progbits
; Kernel info:
; codeLenInByte = 26152
; TotalNumSgprs: 42
; NumVgprs: 236
; ScratchSize: 0
; MemoryBound: 0
; FloatMode: 240
; IeeeMode: 1
; LDSByteSize: 43008 bytes/workgroup (compile time only)
; SGPRBlocks: 0
; VGPRBlocks: 29
; NumSGPRsForWavesPerEU: 42
; NumVGPRsForWavesPerEU: 236
; Occupancy: 4
; WaveLimiterHint : 1
; COMPUTE_PGM_RSRC2:SCRATCH_EN: 0
; COMPUTE_PGM_RSRC2:USER_SGPR: 6
; COMPUTE_PGM_RSRC2:TRAP_HANDLER: 0
; COMPUTE_PGM_RSRC2:TGID_X_EN: 1
; COMPUTE_PGM_RSRC2:TGID_Y_EN: 1
; COMPUTE_PGM_RSRC2:TGID_Z_EN: 1
; COMPUTE_PGM_RSRC2:TIDIG_COMP_CNT: 1
	.section	.text._ZL15flash_attn_tileILi128ELi128ELi2ELi4ELb1EEvPKcS1_S1_S1_S1_PKiPfP15HIP_vector_typeIfLj2EEffffjfiS5_IjLj3EEiiiiiiiiiiiliiliiiiil,"axG",@progbits,_ZL15flash_attn_tileILi128ELi128ELi2ELi4ELb1EEvPKcS1_S1_S1_S1_PKiPfP15HIP_vector_typeIfLj2EEffffjfiS5_IjLj3EEiiiiiiiiiiiliiliiiiil,comdat
	.globl	_ZL15flash_attn_tileILi128ELi128ELi2ELi4ELb1EEvPKcS1_S1_S1_S1_PKiPfP15HIP_vector_typeIfLj2EEffffjfiS5_IjLj3EEiiiiiiiiiiiliiliiiiil ; -- Begin function _ZL15flash_attn_tileILi128ELi128ELi2ELi4ELb1EEvPKcS1_S1_S1_S1_PKiPfP15HIP_vector_typeIfLj2EEffffjfiS5_IjLj3EEiiiiiiiiiiiliiliiiiil
	.p2align	8
	.type	_ZL15flash_attn_tileILi128ELi128ELi2ELi4ELb1EEvPKcS1_S1_S1_S1_PKiPfP15HIP_vector_typeIfLj2EEffffjfiS5_IjLj3EEiiiiiiiiiiiliiliiiiil,@function
_ZL15flash_attn_tileILi128ELi128ELi2ELi4ELb1EEvPKcS1_S1_S1_S1_PKiPfP15HIP_vector_typeIfLj2EEffffjfiS5_IjLj3EEiiiiiiiiiiiliiliiiiil: ; @_ZL15flash_attn_tileILi128ELi128ELi2ELi4ELb1EEvPKcS1_S1_S1_S1_PKiPfP15HIP_vector_typeIfLj2EEffffjfiS5_IjLj3EEiiiiiiiiiiiliiliiiiil
; %bb.0:
	s_clause 0x1
	s_load_dwordx4 s[0:3], s[4:5], 0x5c
	s_load_dwordx2 s[30:31], s[4:5], 0x80
	s_mov_b32 s28, s7
	s_mov_b64 s[34:35], 0
	s_waitcnt lgkmcnt(0)
	s_ashr_i32 s7, s3, 31
	s_lshr_b32 s7, s7, 30
	s_add_i32 s7, s3, s7
	s_ashr_i32 s7, s7, 2
	v_cvt_f32_u32_e32 v2, s7
	s_sub_i32 s10, 0, s7
	v_rcp_iflag_f32_e32 v2, v2
	v_mul_f32_e32 v2, 0x4f7ffffe, v2
	v_cvt_u32_f32_e32 v2, v2
	v_readfirstlane_b32 s9, v2
	s_mul_i32 s10, s10, s9
	s_mul_hi_u32 s10, s9, s10
	s_add_i32 s9, s9, s10
	s_mul_hi_u32 s9, s8, s9
	s_mul_i32 s10, s9, s7
	s_add_i32 s11, s9, 1
	s_sub_i32 s10, s8, s10
	s_sub_i32 s12, s10, s7
	s_cmp_ge_u32 s10, s7
	s_cselect_b32 s9, s11, s9
	s_cselect_b32 s10, s12, s10
	s_add_i32 s11, s9, 1
	s_cmp_ge_u32 s10, s7
	s_cselect_b32 s29, s11, s9
	s_abs_i32 s7, s31
	s_lshl_b32 s8, s8, 2
	v_cvt_f32_u32_e32 v2, s7
	s_sub_i32 s10, 0, s7
	s_mul_i32 s11, s29, s3
	s_abs_i32 s12, s3
	s_sub_i32 s33, s8, s11
	v_rcp_iflag_f32_e32 v2, v2
	v_mul_f32_e32 v2, 0x4f7ffffe, v2
	v_cvt_u32_f32_e32 v2, v2
	v_readfirstlane_b32 s9, v2
	s_mul_i32 s10, s10, s9
	s_mul_hi_u32 s10, s9, s10
	s_add_i32 s9, s9, s10
	s_mul_hi_u32 s8, s12, s9
	s_xor_b32 s9, s3, s31
	s_mul_i32 s10, s8, s7
	s_ashr_i32 s9, s9, 31
	s_sub_i32 s10, s12, s10
	s_add_i32 s11, s8, 1
	s_sub_i32 s12, s10, s7
	s_cmp_ge_u32 s10, s7
	s_cselect_b32 s8, s11, s8
	s_cselect_b32 s10, s12, s10
	s_add_i32 s11, s8, 1
	s_cmp_ge_u32 s10, s7
	s_cselect_b32 s7, s11, s8
	s_xor_b32 s7, s7, s9
	s_sub_i32 s31, s7, s9
	s_clause 0x1
	s_load_dwordx16 s[8:23], s[4:5], 0x0
	s_load_dwordx2 s[36:37], s[4:5], 0xb8
	s_abs_i32 s7, s31
	v_cvt_f32_u32_e32 v2, s7
	v_rcp_iflag_f32_e32 v2, v2
	v_mul_f32_e32 v2, 0x4f7ffffe, v2
	s_waitcnt lgkmcnt(0)
	s_cmp_eq_u64 s[14:15], 0
	v_cvt_u32_f32_e32 v2, v2
	v_readfirstlane_b32 s38, v2
	s_cbranch_scc1 .LBB78_2
; %bb.1:
	s_abs_i32 s26, s36
	s_abs_i32 s27, s29
	v_cvt_f32_u32_e32 v2, s26
	s_sub_i32 s25, 0, s26
	v_rcp_iflag_f32_e32 v2, v2
	v_mul_f32_e32 v2, 0x4f7ffffe, v2
	v_cvt_u32_f32_e32 v2, v2
	v_readfirstlane_b32 s24, v2
	s_mul_i32 s25, s25, s24
	s_mul_hi_u32 s25, s24, s25
	s_add_i32 s24, s24, s25
	s_mul_hi_u32 s34, s27, s24
	s_load_dwordx2 s[24:25], s[4:5], 0xc8
	s_mul_i32 s34, s34, s26
	s_sub_i32 s27, s27, s34
	s_ashr_i32 s34, s29, 31
	s_sub_i32 s35, s27, s26
	s_cmp_ge_u32 s27, s26
	s_cselect_b32 s27, s35, s27
	s_sub_i32 s35, s27, s26
	s_cmp_ge_u32 s27, s26
	s_cselect_b32 s26, s35, s27
	s_xor_b32 s26, s26, s34
	s_sub_i32 s26, s26, s34
	s_ashr_i32 s27, s26, 31
	s_waitcnt lgkmcnt(0)
	s_mul_hi_u32 s34, s24, s26
	s_mul_i32 s27, s24, s27
	s_mul_i32 s25, s25, s26
	s_add_i32 s27, s34, s27
	s_mul_i32 s24, s24, s26
	s_add_i32 s27, s27, s25
	s_add_u32 s34, s14, s24
	s_addc_u32 s35, s15, s27
.LBB78_2:
	v_lshrrev_b32_e32 v2, 1, v1
	s_load_dwordx4 s[24:27], s[4:5], 0x70
	v_lshlrev_b32_e32 v3, 1, v1
	v_lshlrev_b32_e32 v35, 3, v0
	v_lshl_add_u32 v13, s6, 1, v2
	v_or_b32_e32 v14, 1, v3
	v_and_b32_e32 v33, 2, v3
	v_or_b32_e32 v15, 0x2400, v35
	v_mul_hi_u32 v2, s0, v13
	v_and_b32_e32 v10, 3, v14
	v_add_nc_u32_e32 v2, v13, v2
	s_waitcnt lgkmcnt(0)
	s_mul_i32 s14, s33, s25
	s_mov_b32 s0, s25
	v_lshrrev_b32_e32 v2, s1, v2
	s_mul_i32 s1, s29, s26
	s_ashr_i32 s15, s1, 31
	s_add_u32 s1, s8, s1
	v_mul_lo_u32 v2, v2, s2
	s_addc_u32 s8, s9, s15
	s_ashr_i32 s9, s14, 31
	s_add_u32 s14, s1, s14
	s_addc_u32 s15, s8, s9
	s_ashr_i32 s1, s25, 31
	s_ashr_i32 s25, s24, 31
	s_lshr_b64 s[8:9], s[24:25], 2
	v_sub_nc_u32_e32 v2, v13, v2
	v_mad_u64_u32 v[4:5], null, s8, v2, 0
	s_lshr_b64 s[8:9], s[0:1], 2
	s_lshr_b32 s0, s1, 2
	s_lshr_b32 s1, s25, 2
	v_mul_lo_u32 v11, s0, v33
	v_mad_u64_u32 v[8:9], null, s8, v33, 0
	v_mad_u64_u32 v[5:6], null, s1, v2, v[5:6]
	;; [unrolled: 1-line block ×3, first 2 shown]
	s_cmp_eq_u64 s[18:19], 0
	v_or_b32_e32 v9, v9, v11
	v_lshlrev_b64 v[4:5], 2, v[4:5]
	v_mad_u64_u32 v[10:11], null, s0, v10, v[7:8]
	v_lshlrev_b32_e32 v11, 4, v0
	v_lshlrev_b64 v[8:9], 2, v[8:9]
	v_add_co_u32 v4, vcc_lo, s14, v4
	v_add_co_ci_u32_e64 v5, null, s15, v5, vcc_lo
	v_mov_b32_e32 v7, v10
	v_add_co_u32 v10, vcc_lo, v4, v11
	v_add_co_ci_u32_e64 v11, null, 0, v5, vcc_lo
	v_lshlrev_b64 v[4:5], 2, v[6:7]
	v_add_co_u32 v6, vcc_lo, v10, v8
	v_add_co_ci_u32_e64 v7, null, v11, v9, vcc_lo
	s_load_dword s0, s[4:5], 0x40
	v_add_co_u32 v9, vcc_lo, v10, v4
	v_add_co_ci_u32_e64 v10, null, v11, v5, vcc_lo
	s_clause 0x1
	global_load_dwordx4 v[5:8], v[6:7], off
	global_load_dwordx4 v[9:12], v[9:10], off
	v_lshlrev_b32_e32 v4, 9, v1
	v_add_nc_u32_e32 v16, v15, v4
	s_waitcnt vmcnt(1) lgkmcnt(0)
	v_fma_mixlo_f16 v5, s0, v5, 0
	v_fma_mixlo_f16 v6, s0, v6, 0
	s_waitcnt vmcnt(0)
	v_fma_mixlo_f16 v9, s0, v9, 0
	v_fma_mixlo_f16 v10, s0, v10, 0
	;; [unrolled: 1-line block ×4, first 2 shown]
	v_lshlrev_b32_e32 v6, 16, v6
	v_and_b32_e32 v5, 0xffff, v5
	v_fma_mixlo_f16 v11, s0, v11, 0
	v_fma_mixlo_f16 v12, s0, v12, 0
	v_lshlrev_b32_e32 v10, 16, v10
	v_and_b32_e32 v9, 0xffff, v9
	v_lshlrev_b32_e32 v8, 16, v8
	v_and_b32_e32 v7, 0xffff, v7
	v_or_b32_e32 v5, v6, v5
	v_lshlrev_b32_e32 v12, 16, v12
	v_and_b32_e32 v11, 0xffff, v11
	v_or_b32_e32 v9, v10, v9
	v_or3_b32 v6, v8, v7, 0
	v_or3_b32 v5, 0, 0, v5
	v_lshl_add_u32 v10, v14, 8, v15
	v_or3_b32 v8, v12, v11, 0
	v_or3_b32 v7, 0, 0, v9
	ds_write_b64 v16, v[5:6]
	ds_write_b64 v10, v[7:8]
	s_waitcnt lgkmcnt(0)
	s_barrier
	buffer_gl0_inv
	s_cbranch_scc1 .LBB78_4
; %bb.3:
	s_load_dword s0, s[4:5], 0xd0
	s_mov_b32 s1, 0
	s_waitcnt lgkmcnt(0)
	s_mul_i32 s0, s0, s29
	s_add_i32 s0, s0, s6
	s_lshl_b64 s[0:1], s[0:1], 2
	s_add_u32 s0, s18, s0
	s_addc_u32 s1, s19, s1
	s_load_dword s30, s[0:1], 0x0
.LBB78_4:
	v_mbcnt_lo_u32_b32 v36, -1, 0
	s_lshl_b32 s8, s28, 6
	s_waitcnt lgkmcnt(0)
	s_cmp_lt_i32 s8, s30
	s_cbranch_scc1 .LBB78_7
; %bb.5:
	v_mbcnt_lo_u32_b32 v5, -1, 0
	v_mov_b32_e32 v37, 32
	v_xor_b32_e32 v62, 16, v5
	v_xor_b32_e32 v56, 8, v5
	;; [unrolled: 1-line block ×5, first 2 shown]
	v_lshlrev_b32_e32 v34, 2, v0
	s_cbranch_execz .LBB78_8
; %bb.6:
	v_mov_b32_e32 v60, 0
	v_mov_b32_e32 v1, 0
	;; [unrolled: 1-line block ×8, first 2 shown]
	s_branch .LBB78_28
.LBB78_7:
                                        ; implicit-def: $vgpr5
                                        ; implicit-def: $vgpr37
                                        ; implicit-def: $vgpr62
                                        ; implicit-def: $vgpr56
                                        ; implicit-def: $vgpr57
                                        ; implicit-def: $vgpr58
                                        ; implicit-def: $vgpr59
	v_lshlrev_b32_e32 v34, 2, v0
.LBB78_8:
	s_clause 0x1
	s_load_dwordx4 s[24:27], s[4:5], 0x98
	s_load_dwordx2 s[0:1], s[4:5], 0x8c
	s_sub_i32 s6, 0, s7
	s_abs_i32 s15, s33
	s_mul_i32 s6, s6, s38
	s_ashr_i32 s36, s33, 31
	s_mul_hi_u32 s6, s38, s6
	s_ashr_i32 s31, s31, 31
	s_add_i32 s38, s38, s6
	s_ashr_i32 s37, s37, 1
	s_mul_hi_u32 s6, s15, s38
	s_ashr_i32 s38, s29, 31
	s_load_dwordx2 s[18:19], s[4:5], 0xa8
	s_mul_i32 s39, s6, s7
	v_lshrrev_b32_e32 v5, 3, v0
	v_and_b32_e32 v12, 28, v34
	v_lshrrev_b32_e32 v8, 4, v0
	v_and_b32_e32 v29, 60, v34
	v_lshl_add_u32 v45, v1, 8, 0x2c00
	v_lshl_add_u32 v6, v1, 2, v5
	s_waitcnt lgkmcnt(0)
	s_ashr_i32 s9, s26, 2
	s_ashr_i32 s14, s0, 2
	s_mul_hi_u32 s0, s24, s29
	s_mul_i32 s26, s24, s38
	s_mul_i32 s25, s25, s29
	s_add_i32 s0, s0, s26
	s_mul_i32 s24, s24, s29
	s_add_i32 s0, s0, s25
	s_add_u32 s24, s10, s24
	s_addc_u32 s0, s11, s0
	s_sub_i32 s10, s15, s39
	s_xor_b32 s11, s36, s31
	s_add_i32 s15, s6, 1
	s_sub_i32 s25, s10, s7
	s_cmp_ge_u32 s10, s7
	v_mul_lo_u32 v5, s14, v6
	s_cselect_b32 s6, s15, s6
	s_cselect_b32 s10, s25, s10
	s_add_i32 s15, s6, 1
	s_cmp_ge_u32 s10, s7
	s_load_dword s10, s[4:5], 0x54
	s_cselect_b32 s6, s15, s6
	s_mul_hi_u32 s7, s18, s29
	s_xor_b32 s6, s6, s11
	s_mul_i32 s25, s18, s38
	s_sub_i32 s6, s6, s11
	s_mul_i32 s19, s19, s29
	s_mul_i32 s1, s6, s1
	s_mul_i32 s6, s6, s27
	s_ashr_i32 s15, s1, 31
	s_add_u32 s11, s24, s1
	s_addc_u32 s15, s0, s15
	s_add_i32 s0, s7, s25
	s_mul_i32 s1, s18, s29
	s_add_i32 s0, s0, s19
	s_add_u32 s1, s12, s1
	v_lshlrev_b32_e32 v7, 2, v12
	s_addc_u32 s0, s13, s0
	s_ashr_i32 s7, s6, 31
	s_add_u32 s12, s1, s6
	s_addc_u32 s13, s0, s7
	s_lshl_b32 s0, s14, 4
	v_add_nc_u32_e32 v9, v8, v3
	v_mad_u32_u24 v38, 0x90, v6, v7
	v_add_nc_u32_e32 v7, s0, v5
	v_lshlrev_b32_e32 v14, 2, v29
	v_ashrrev_i32_e32 v6, 31, v5
	v_mul_lo_u32 v3, s9, v9
	v_add_nc_u32_e32 v42, 0x2400, v4
	v_add_nc_u32_e32 v10, s0, v7
	v_lshl_or_b32 v44, v9, 8, v14
	v_mad_u64_u32 v[14:15], null, v2, s37, v[0:1]
	v_ashrrev_i32_e32 v8, 31, v7
	v_add_nc_u32_e32 v21, s0, v10
	s_lshl_b32 s0, s9, 3
	v_ashrrev_i32_e32 v11, 31, v10
	v_add_nc_u32_e32 v25, s0, v3
	v_ashrrev_i32_e32 v4, 31, v3
	v_ashrrev_i32_e32 v22, 31, v21
	v_lshlrev_b64 v[15:16], 2, v[5:6]
	v_lshlrev_b64 v[17:18], 2, v[7:8]
	v_add_nc_u32_e32 v27, s0, v25
	v_ashrrev_i32_e32 v26, 31, v25
	v_lshlrev_b64 v[19:20], 2, v[10:11]
	v_lshlrev_b64 v[21:22], 2, v[21:22]
	;; [unrolled: 1-line block ×3, first 2 shown]
	v_add_nc_u32_e32 v1, s0, v27
	v_ashrrev_i32_e32 v28, 31, v27
	v_lshlrev_b32_e32 v50, 2, v29
	v_lshlrev_b64 v[25:26], 2, v[25:26]
	v_mov_b32_e32 v54, 0
	v_ashrrev_i32_e32 v2, 31, v1
	v_lshlrev_b64 v[27:28], 2, v[27:28]
	v_add_nc_u32_e32 v39, 0x900, v38
	v_add_nc_u32_e32 v40, 0x1200, v38
	v_add_nc_u32_e32 v41, 0x1b00, v38
	v_lshlrev_b64 v[29:30], 2, v[1:2]
	v_mul_u32_u24_e32 v43, 0x90, v0
	v_add_nc_u32_e32 v46, 0x800, v44
	v_add_nc_u32_e32 v47, 0x1000, v44
	;; [unrolled: 1-line block ×3, first 2 shown]
	v_mov_b32_e32 v9, 0xfeffffff
	v_lshlrev_b32_e32 v49, 2, v12
	v_mov_b32_e32 v37, 32
	v_mov_b32_e32 v51, 0x10001
	;; [unrolled: 1-line block ×8, first 2 shown]
	s_add_u32 s6, s4, 0xd0
	s_addc_u32 s7, s5, 0
	s_mov_b32 s18, 0xbbbac73d
.LBB78_9:                               ; =>This Inner Loop Header: Depth=1
	s_mul_hi_i32 s1, s8, s14
	s_mul_i32 s0, s8, s14
	v_mov_b32_e32 v31, 0
	s_lshl_b64 s[0:1], s[0:1], 2
	v_mov_b32_e32 v11, 0
	s_add_u32 s0, s11, s0
	s_addc_u32 s1, s15, s1
	v_add_co_u32 v1, vcc_lo, s0, v15
	v_add_co_ci_u32_e64 v2, null, s1, v16, vcc_lo
	v_add_co_u32 v3, vcc_lo, s0, v17
	v_add_co_ci_u32_e64 v4, null, s1, v18, vcc_lo
	v_add_co_u32 v1, vcc_lo, v1, v49
	v_add_co_ci_u32_e64 v2, null, 0, v2, vcc_lo
	v_add_co_u32 v3, vcc_lo, v3, v49
	v_add_co_ci_u32_e64 v4, null, 0, v4, vcc_lo
	v_add_co_u32 v5, vcc_lo, s0, v19
	v_add_co_ci_u32_e64 v6, null, s1, v20, vcc_lo
	v_add_co_u32 v7, vcc_lo, s0, v21
	v_add_co_ci_u32_e64 v8, null, s1, v22, vcc_lo
	v_add_co_u32 v5, vcc_lo, v5, v49
	v_add_co_ci_u32_e64 v6, null, 0, v6, vcc_lo
	v_add_co_u32 v7, vcc_lo, v7, v49
	v_add_co_ci_u32_e64 v8, null, 0, v8, vcc_lo
	s_clause 0x3
	global_load_dwordx4 v[56:59], v[1:2], off
	global_load_dwordx4 v[62:65], v[3:4], off
	;; [unrolled: 1-line block ×4, first 2 shown]
	v_mov_b32_e32 v32, 0
	v_mov_b32_e32 v12, 0
	s_waitcnt vmcnt(3)
	ds_write_b128 v38, v[56:59]
	s_waitcnt vmcnt(2)
	ds_write_b128 v39, v[62:65]
	s_waitcnt vmcnt(1)
	ds_write_b128 v40, v[66:69]
	s_waitcnt vmcnt(0)
	ds_write_b128 v41, v[70:73]
	s_waitcnt lgkmcnt(0)
	s_barrier
	buffer_gl0_inv
	ds_read_b128 v[56:59], v43
	ds_read_b128 v[62:65], v42
	ds_read_b128 v[66:69], v42 offset:256
	ds_read_b128 v[70:73], v43 offset:4608
	s_waitcnt lgkmcnt(2)
	;;#ASMSTART
	v_dot2_f32_f16 v31, v56, v62, v31
	;;#ASMEND
	;;#ASMSTART
	v_dot2_f32_f16 v31, v57, v63, v31
	;;#ASMEND
	;;#ASMSTART
	v_dot2_f32_f16 v31, v58, v64, v31
	;;#ASMEND
	;;#ASMSTART
	v_dot2_f32_f16 v31, v59, v65, v31
	;;#ASMEND
	s_waitcnt lgkmcnt(1)
	;;#ASMSTART
	v_dot2_f32_f16 v11, v56, v66, v11
	;;#ASMEND
	;;#ASMSTART
	v_dot2_f32_f16 v11, v57, v67, v11
	;;#ASMEND
	;;#ASMSTART
	v_dot2_f32_f16 v11, v58, v68, v11
	;;#ASMEND
	;;#ASMSTART
	v_dot2_f32_f16 v11, v59, v69, v11
	;;#ASMEND
	s_waitcnt lgkmcnt(0)
	;;#ASMSTART
	v_dot2_f32_f16 v32, v70, v62, v32
	;;#ASMEND
	;;#ASMSTART
	v_dot2_f32_f16 v32, v71, v63, v32
	;;#ASMEND
	;;#ASMSTART
	v_dot2_f32_f16 v32, v72, v64, v32
	;;#ASMEND
	;;#ASMSTART
	v_dot2_f32_f16 v32, v73, v65, v32
	;;#ASMEND
	;;#ASMSTART
	v_dot2_f32_f16 v12, v70, v66, v12
	;;#ASMEND
	;;#ASMSTART
	v_dot2_f32_f16 v12, v71, v67, v12
	;;#ASMEND
	;;#ASMSTART
	v_dot2_f32_f16 v12, v72, v68, v12
	;;#ASMEND
	;;#ASMSTART
	v_dot2_f32_f16 v12, v73, v69, v12
	;;#ASMEND
	ds_read_b128 v[56:59], v43 offset:16
	ds_read_b128 v[62:65], v42 offset:16
	ds_read_b128 v[66:69], v42 offset:272
	ds_read_b128 v[70:73], v43 offset:4624
	s_waitcnt lgkmcnt(2)
	;;#ASMSTART
	v_dot2_f32_f16 v31, v56, v62, v31
	;;#ASMEND
	;;#ASMSTART
	v_dot2_f32_f16 v31, v57, v63, v31
	;;#ASMEND
	;;#ASMSTART
	v_dot2_f32_f16 v31, v58, v64, v31
	;;#ASMEND
	;;#ASMSTART
	v_dot2_f32_f16 v31, v59, v65, v31
	;;#ASMEND
	s_waitcnt lgkmcnt(1)
	;;#ASMSTART
	v_dot2_f32_f16 v11, v56, v66, v11
	;;#ASMEND
	;;#ASMSTART
	v_dot2_f32_f16 v11, v57, v67, v11
	;;#ASMEND
	;;#ASMSTART
	v_dot2_f32_f16 v11, v58, v68, v11
	;;#ASMEND
	;;#ASMSTART
	v_dot2_f32_f16 v11, v59, v69, v11
	;;#ASMEND
	s_waitcnt lgkmcnt(0)
	;;#ASMSTART
	v_dot2_f32_f16 v32, v70, v62, v32
	;;#ASMEND
	;;#ASMSTART
	v_dot2_f32_f16 v32, v71, v63, v32
	;;#ASMEND
	;;#ASMSTART
	v_dot2_f32_f16 v32, v72, v64, v32
	;;#ASMEND
	;;#ASMSTART
	v_dot2_f32_f16 v32, v73, v65, v32
	;;#ASMEND
	;;#ASMSTART
	v_dot2_f32_f16 v12, v70, v66, v12
	;;#ASMEND
	;;#ASMSTART
	v_dot2_f32_f16 v12, v71, v67, v12
	;;#ASMEND
	;;#ASMSTART
	v_dot2_f32_f16 v12, v72, v68, v12
	;;#ASMEND
	;;#ASMSTART
	v_dot2_f32_f16 v12, v73, v69, v12
	;;#ASMEND
	ds_read_b128 v[56:59], v43 offset:32
	ds_read_b128 v[62:65], v42 offset:32
	;; [unrolled: 55-line block ×7, first 2 shown]
	ds_read_b128 v[66:69], v42 offset:368
	ds_read_b128 v[70:73], v43 offset:4720
	s_waitcnt lgkmcnt(2)
	;;#ASMSTART
	v_dot2_f32_f16 v31, v56, v62, v31
	;;#ASMEND
	;;#ASMSTART
	v_dot2_f32_f16 v31, v57, v63, v31
	;;#ASMEND
	;;#ASMSTART
	v_dot2_f32_f16 v31, v58, v64, v31
	;;#ASMEND
	;;#ASMSTART
	v_dot2_f32_f16 v31, v59, v65, v31
	;;#ASMEND
	s_waitcnt lgkmcnt(1)
	;;#ASMSTART
	v_dot2_f32_f16 v11, v56, v66, v11
	;;#ASMEND
	;;#ASMSTART
	v_dot2_f32_f16 v11, v57, v67, v11
	;;#ASMEND
	;;#ASMSTART
	v_dot2_f32_f16 v11, v58, v68, v11
	;;#ASMEND
	;;#ASMSTART
	v_dot2_f32_f16 v11, v59, v69, v11
	;;#ASMEND
	;; [unrolled: 13-line block ×3, first 2 shown]
	;;#ASMSTART
	v_dot2_f32_f16 v12, v70, v66, v12
	;;#ASMEND
	;;#ASMSTART
	v_dot2_f32_f16 v12, v71, v67, v12
	;;#ASMEND
	;; [unrolled: 3-line block ×4, first 2 shown]
	s_barrier
	buffer_gl0_inv
	s_clause 0x3
	global_load_dwordx4 v[56:59], v[1:2], off offset:128
	global_load_dwordx4 v[1:4], v[3:4], off offset:128
	;; [unrolled: 1-line block ×4, first 2 shown]
	s_waitcnt vmcnt(3)
	ds_write_b128 v38, v[56:59]
	s_waitcnt vmcnt(2)
	ds_write_b128 v39, v[1:4]
	;; [unrolled: 2-line block ×4, first 2 shown]
	s_waitcnt lgkmcnt(0)
	s_barrier
	buffer_gl0_inv
	ds_read_b128 v[1:4], v43
	ds_read_b128 v[5:8], v42 offset:128
	ds_read_b128 v[56:59], v42 offset:384
	ds_read_b128 v[62:65], v43 offset:4608
	s_waitcnt lgkmcnt(2)
	;;#ASMSTART
	v_dot2_f32_f16 v31, v1, v5, v31
	;;#ASMEND
	;;#ASMSTART
	v_dot2_f32_f16 v31, v2, v6, v31
	;;#ASMEND
	;;#ASMSTART
	v_dot2_f32_f16 v31, v3, v7, v31
	;;#ASMEND
	;;#ASMSTART
	v_dot2_f32_f16 v31, v4, v8, v31
	;;#ASMEND
	s_waitcnt lgkmcnt(1)
	;;#ASMSTART
	v_dot2_f32_f16 v11, v1, v56, v11
	;;#ASMEND
	;;#ASMSTART
	v_dot2_f32_f16 v11, v2, v57, v11
	;;#ASMEND
	;;#ASMSTART
	v_dot2_f32_f16 v11, v3, v58, v11
	;;#ASMEND
	;;#ASMSTART
	v_dot2_f32_f16 v11, v4, v59, v11
	;;#ASMEND
	s_waitcnt lgkmcnt(0)
	;;#ASMSTART
	v_dot2_f32_f16 v32, v62, v5, v32
	;;#ASMEND
	;;#ASMSTART
	v_dot2_f32_f16 v32, v63, v6, v32
	;;#ASMEND
	;;#ASMSTART
	v_dot2_f32_f16 v32, v64, v7, v32
	;;#ASMEND
	;;#ASMSTART
	v_dot2_f32_f16 v32, v65, v8, v32
	;;#ASMEND
	;;#ASMSTART
	v_dot2_f32_f16 v12, v62, v56, v12
	;;#ASMEND
	;;#ASMSTART
	v_dot2_f32_f16 v12, v63, v57, v12
	;;#ASMEND
	;;#ASMSTART
	v_dot2_f32_f16 v12, v64, v58, v12
	;;#ASMEND
	;;#ASMSTART
	v_dot2_f32_f16 v12, v65, v59, v12
	;;#ASMEND
	ds_read_b128 v[1:4], v43 offset:16
	ds_read_b128 v[5:8], v42 offset:144
	ds_read_b128 v[56:59], v42 offset:400
	ds_read_b128 v[62:65], v43 offset:4624
	s_waitcnt lgkmcnt(2)
	;;#ASMSTART
	v_dot2_f32_f16 v31, v1, v5, v31
	;;#ASMEND
	;;#ASMSTART
	v_dot2_f32_f16 v31, v2, v6, v31
	;;#ASMEND
	;;#ASMSTART
	v_dot2_f32_f16 v31, v3, v7, v31
	;;#ASMEND
	;;#ASMSTART
	v_dot2_f32_f16 v31, v4, v8, v31
	;;#ASMEND
	s_waitcnt lgkmcnt(1)
	;;#ASMSTART
	v_dot2_f32_f16 v11, v1, v56, v11
	;;#ASMEND
	;;#ASMSTART
	v_dot2_f32_f16 v11, v2, v57, v11
	;;#ASMEND
	;;#ASMSTART
	v_dot2_f32_f16 v11, v3, v58, v11
	;;#ASMEND
	;;#ASMSTART
	v_dot2_f32_f16 v11, v4, v59, v11
	;;#ASMEND
	s_waitcnt lgkmcnt(0)
	;;#ASMSTART
	v_dot2_f32_f16 v32, v62, v5, v32
	;;#ASMEND
	;;#ASMSTART
	v_dot2_f32_f16 v32, v63, v6, v32
	;;#ASMEND
	;;#ASMSTART
	v_dot2_f32_f16 v32, v64, v7, v32
	;;#ASMEND
	;;#ASMSTART
	v_dot2_f32_f16 v32, v65, v8, v32
	;;#ASMEND
	;;#ASMSTART
	v_dot2_f32_f16 v12, v62, v56, v12
	;;#ASMEND
	;;#ASMSTART
	v_dot2_f32_f16 v12, v63, v57, v12
	;;#ASMEND
	;;#ASMSTART
	v_dot2_f32_f16 v12, v64, v58, v12
	;;#ASMEND
	;;#ASMSTART
	v_dot2_f32_f16 v12, v65, v59, v12
	;;#ASMEND
	ds_read_b128 v[1:4], v43 offset:32
	;; [unrolled: 55-line block ×7, first 2 shown]
	ds_read_b128 v[5:8], v42 offset:240
	ds_read_b128 v[56:59], v42 offset:496
	;; [unrolled: 1-line block ×3, first 2 shown]
	s_waitcnt lgkmcnt(2)
	;;#ASMSTART
	v_dot2_f32_f16 v31, v1, v5, v31
	;;#ASMEND
	;;#ASMSTART
	v_dot2_f32_f16 v31, v2, v6, v31
	;;#ASMEND
	;; [unrolled: 3-line block ×4, first 2 shown]
	s_waitcnt lgkmcnt(1)
	;;#ASMSTART
	v_dot2_f32_f16 v11, v1, v56, v11
	;;#ASMEND
	;;#ASMSTART
	v_dot2_f32_f16 v11, v2, v57, v11
	;;#ASMEND
	;; [unrolled: 3-line block ×4, first 2 shown]
	s_waitcnt lgkmcnt(0)
	;;#ASMSTART
	v_dot2_f32_f16 v32, v62, v5, v32
	;;#ASMEND
	v_cmp_ngt_f32_e64 s0, 0x3f200000, |v31|
	;;#ASMSTART
	v_dot2_f32_f16 v32, v63, v6, v32
	;;#ASMEND
	;;#ASMSTART
	v_dot2_f32_f16 v32, v64, v7, v32
	;;#ASMEND
	;; [unrolled: 3-line block ×7, first 2 shown]
                                        ; implicit-def: $vgpr3
	s_and_saveexec_b32 s1, s0
	s_xor_b32 s0, exec_lo, s1
	s_cbranch_execz .LBB78_11
; %bb.10:                               ;   in Loop: Header=BB78_9 Depth=1
	v_add_f32_e64 v1, |v31|, |v31|
	v_mul_f32_e32 v2, 0x3fb8aa3b, v1
	v_cmp_ngt_f32_e32 vcc_lo, 0xc2ce8ed0, v1
	v_rndne_f32_e32 v3, v2
	v_fma_f32 v4, 0x3fb8aa3b, v1, -v2
	v_sub_f32_e32 v2, v2, v3
	v_fmac_f32_e32 v4, 0x32a5705f, v1
	v_cvt_i32_f32_e32 v3, v3
	v_add_f32_e32 v2, v2, v4
	v_exp_f32_e32 v2, v2
	v_ldexp_f32 v2, v2, v3
	v_cndmask_b32_e32 v2, 0, v2, vcc_lo
	v_cmp_nlt_f32_e32 vcc_lo, 0x42b17218, v1
	v_cndmask_b32_e32 v1, 0x7f800000, v2, vcc_lo
	v_add_f32_e32 v1, 1.0, v1
	v_rcp_f32_e32 v1, v1
	v_fma_f32 v3, v1, -2.0, 1.0
.LBB78_11:                              ;   in Loop: Header=BB78_9 Depth=1
	s_andn2_saveexec_b32 s0, s0
	s_cbranch_execz .LBB78_13
; %bb.12:                               ;   in Loop: Header=BB78_9 Depth=1
	v_mul_f32_e32 v1, v31, v31
	v_fmaak_f32 v2, s18, v1, 0x3ca908c9
	v_fmaak_f32 v2, v1, v2, 0xbd5c1c4e
	;; [unrolled: 1-line block ×4, first 2 shown]
	v_mul_f32_e64 v2, |v31|, v2
	v_fma_f32 v3, v1, v2, |v31|
.LBB78_13:                              ;   in Loop: Header=BB78_9 Depth=1
	s_or_b32 exec_lo, exec_lo, s0
	v_add_nc_u32_e32 v1, s8, v14
	v_cmp_ngt_f32_e64 s0, 0x3f200000, |v32|
                                        ; implicit-def: $vgpr4
	v_ashrrev_i32_e32 v2, 31, v1
	v_lshlrev_b64 v[1:2], 1, v[1:2]
	v_add_co_u32 v1, vcc_lo, s34, v1
	v_add_co_ci_u32_e64 v2, null, s35, v2, vcc_lo
	global_load_ushort v6, v[1:2], off
	s_and_saveexec_b32 s1, s0
	s_xor_b32 s0, exec_lo, s1
	s_cbranch_execz .LBB78_15
; %bb.14:                               ;   in Loop: Header=BB78_9 Depth=1
	v_add_f32_e64 v4, |v32|, |v32|
	v_mul_f32_e32 v5, 0x3fb8aa3b, v4
	v_cmp_ngt_f32_e32 vcc_lo, 0xc2ce8ed0, v4
	v_rndne_f32_e32 v7, v5
	v_fma_f32 v8, 0x3fb8aa3b, v4, -v5
	v_sub_f32_e32 v5, v5, v7
	v_fmac_f32_e32 v8, 0x32a5705f, v4
	v_cvt_i32_f32_e32 v7, v7
	v_add_f32_e32 v5, v5, v8
	v_exp_f32_e32 v5, v5
	v_ldexp_f32 v5, v5, v7
	v_cndmask_b32_e32 v5, 0, v5, vcc_lo
	v_cmp_nlt_f32_e32 vcc_lo, 0x42b17218, v4
	v_cndmask_b32_e32 v4, 0x7f800000, v5, vcc_lo
	v_add_f32_e32 v4, 1.0, v4
	v_rcp_f32_e32 v4, v4
	v_fma_f32 v4, v4, -2.0, 1.0
.LBB78_15:                              ;   in Loop: Header=BB78_9 Depth=1
	s_andn2_saveexec_b32 s0, s0
	s_cbranch_execz .LBB78_17
; %bb.16:                               ;   in Loop: Header=BB78_9 Depth=1
	v_mul_f32_e32 v4, v32, v32
	v_fmaak_f32 v5, s18, v4, 0x3ca908c9
	v_fmaak_f32 v5, v4, v5, 0xbd5c1c4e
	;; [unrolled: 1-line block ×4, first 2 shown]
	v_mul_f32_e64 v5, |v32|, v5
	v_fma_f32 v4, v4, v5, |v32|
.LBB78_17:                              ;   in Loop: Header=BB78_9 Depth=1
	s_or_b32 exec_lo, exec_lo, s0
	global_load_ushort v8, v[1:2], off offset:64
	v_bfi_b32 v1, 0x7fffffff, v3, v31
	v_bfi_b32 v3, 0x7fffffff, v4, v32
	v_xor_b32_e32 v62, 16, v36
	v_xor_b32_e32 v56, 8, v36
	;; [unrolled: 1-line block ×3, first 2 shown]
	s_waitcnt vmcnt(1)
	v_fma_mix_f32 v2, s10, v1, v6 op_sel_hi:[0,0,1]
	v_xor_b32_e32 v58, 2, v36
	v_cmp_gt_i32_e32 vcc_lo, 32, v62
	v_xor_b32_e32 v59, 1, v36
	v_cmp_ngt_f32_e64 s0, 0x3f200000, |v11|
	v_cndmask_b32_e32 v4, v36, v62, vcc_lo
	v_cmp_gt_i32_e32 vcc_lo, 32, v56
	v_lshlrev_b32_e32 v31, 2, v4
	s_waitcnt vmcnt(0)
	v_fma_mix_f32 v1, s10, v3, v8 op_sel_hi:[0,0,1]
	v_add_f32_e32 v3, 0x40051340, v2
	v_add_f32_e32 v5, 0x40051340, v1
	v_max3_f32 v3, v9, v3, v5
	v_cndmask_b32_e32 v5, v36, v56, vcc_lo
	v_cmp_gt_i32_e32 vcc_lo, 32, v57
	ds_bpermute_b32 v4, v31, v3
	v_lshlrev_b32_e32 v32, 2, v5
	v_cndmask_b32_e32 v5, v36, v57, vcc_lo
	v_cmp_gt_i32_e32 vcc_lo, 32, v58
	v_lshlrev_b32_e32 v63, 2, v5
	v_cndmask_b32_e32 v5, v36, v58, vcc_lo
	v_cmp_gt_i32_e32 vcc_lo, 32, v59
	v_lshlrev_b32_e32 v64, 2, v5
	v_cndmask_b32_e32 v5, v36, v59, vcc_lo
	s_waitcnt lgkmcnt(0)
	v_max_f32_e32 v4, v4, v4
	v_max_f32_e32 v3, v3, v4
	ds_bpermute_b32 v4, v32, v3
	s_waitcnt lgkmcnt(0)
	v_max_f32_e32 v4, v4, v4
	v_max_f32_e32 v3, v3, v4
	ds_bpermute_b32 v4, v63, v3
	;; [unrolled: 4-line block ×3, first 2 shown]
	s_waitcnt lgkmcnt(0)
	v_max_f32_e32 v7, v4, v4
	v_lshlrev_b32_e32 v4, 2, v5
	v_max_f32_e32 v3, v3, v7
                                        ; implicit-def: $vgpr7
	ds_bpermute_b32 v5, v4, v3
	s_and_saveexec_b32 s1, s0
	s_xor_b32 s0, exec_lo, s1
	s_cbranch_execz .LBB78_19
; %bb.18:                               ;   in Loop: Header=BB78_9 Depth=1
	v_add_f32_e64 v7, |v11|, |v11|
	v_mul_f32_e32 v65, 0x3fb8aa3b, v7
	v_cmp_ngt_f32_e32 vcc_lo, 0xc2ce8ed0, v7
	v_rndne_f32_e32 v66, v65
	v_fma_f32 v67, 0x3fb8aa3b, v7, -v65
	v_sub_f32_e32 v65, v65, v66
	v_fmac_f32_e32 v67, 0x32a5705f, v7
	v_cvt_i32_f32_e32 v66, v66
	v_add_f32_e32 v65, v65, v67
	v_exp_f32_e32 v65, v65
	v_ldexp_f32 v65, v65, v66
	v_cndmask_b32_e32 v65, 0, v65, vcc_lo
	v_cmp_nlt_f32_e32 vcc_lo, 0x42b17218, v7
	v_cndmask_b32_e32 v7, 0x7f800000, v65, vcc_lo
	v_add_f32_e32 v7, 1.0, v7
	v_rcp_f32_e32 v7, v7
	v_fma_f32 v7, v7, -2.0, 1.0
.LBB78_19:                              ;   in Loop: Header=BB78_9 Depth=1
	s_andn2_saveexec_b32 s0, s0
	s_cbranch_execz .LBB78_21
; %bb.20:                               ;   in Loop: Header=BB78_9 Depth=1
	v_mul_f32_e32 v7, v11, v11
	v_fmaak_f32 v65, s18, v7, 0x3ca908c9
	v_fmaak_f32 v65, v7, v65, 0xbd5c1c4e
	v_fmaak_f32 v65, v7, v65, 0x3e088382
	v_fmaak_f32 v65, v7, v65, 0xbeaaaa99
	v_mul_f32_e64 v65, |v11|, v65
	v_fma_f32 v7, v7, v65, |v11|
.LBB78_21:                              ;   in Loop: Header=BB78_9 Depth=1
	s_or_b32 exec_lo, exec_lo, s0
	v_cmp_ngt_f32_e64 s0, 0x3f200000, |v12|
                                        ; implicit-def: $vgpr65
	s_and_saveexec_b32 s1, s0
	s_xor_b32 s0, exec_lo, s1
	s_cbranch_execz .LBB78_23
; %bb.22:                               ;   in Loop: Header=BB78_9 Depth=1
	v_add_f32_e64 v65, |v12|, |v12|
	v_mul_f32_e32 v66, 0x3fb8aa3b, v65
	v_cmp_ngt_f32_e32 vcc_lo, 0xc2ce8ed0, v65
	v_rndne_f32_e32 v67, v66
	v_fma_f32 v68, 0x3fb8aa3b, v65, -v66
	v_sub_f32_e32 v66, v66, v67
	v_fmac_f32_e32 v68, 0x32a5705f, v65
	v_cvt_i32_f32_e32 v67, v67
	v_add_f32_e32 v66, v66, v68
	v_exp_f32_e32 v66, v66
	v_ldexp_f32 v66, v66, v67
	v_cndmask_b32_e32 v66, 0, v66, vcc_lo
	v_cmp_nlt_f32_e32 vcc_lo, 0x42b17218, v65
	v_cndmask_b32_e32 v65, 0x7f800000, v66, vcc_lo
	v_add_f32_e32 v65, 1.0, v65
	v_rcp_f32_e32 v65, v65
	v_fma_f32 v65, v65, -2.0, 1.0
.LBB78_23:                              ;   in Loop: Header=BB78_9 Depth=1
	s_andn2_saveexec_b32 s0, s0
	s_cbranch_execz .LBB78_25
; %bb.24:                               ;   in Loop: Header=BB78_9 Depth=1
	v_mul_f32_e32 v65, v12, v12
	v_fmaak_f32 v66, s18, v65, 0x3ca908c9
	v_fmaak_f32 v66, v65, v66, 0xbd5c1c4e
	;; [unrolled: 1-line block ×4, first 2 shown]
	v_mul_f32_e64 v66, |v12|, v66
	v_fma_f32 v65, v65, v66, |v12|
.LBB78_25:                              ;   in Loop: Header=BB78_9 Depth=1
	s_or_b32 exec_lo, exec_lo, s0
	v_bfi_b32 v11, 0x7fffffff, v7, v11
	v_bfi_b32 v12, 0x7fffffff, v65, v12
	v_cvt_f32_f16_e32 v7, v6
	v_cvt_f32_f16_e32 v6, v8
	s_waitcnt lgkmcnt(0)
	v_max_f32_e32 v5, v5, v5
	v_max_f32_e32 v3, v3, v3
	v_fmac_f32_e32 v7, s10, v11
	v_fmac_f32_e32 v6, s10, v12
	s_barrier
	buffer_gl0_inv
	v_add_f32_e32 v8, 0x40051340, v7
	v_add_f32_e32 v11, 0x40051340, v6
	v_max3_f32 v8, v10, v8, v11
	ds_bpermute_b32 v11, v31, v8
	v_max_f32_e32 v31, v3, v5
	v_sub_f32_e32 v2, v2, v31
	v_sub_f32_e32 v1, v1, v31
	v_mul_f32_e32 v3, 0x3fb8aa3b, v2
	v_cmp_ngt_f32_e64 s1, 0xc2ce8ed0, v2
	v_rndne_f32_e32 v5, v3
	s_waitcnt lgkmcnt(0)
	v_max_f32_e32 v11, v11, v11
	v_max_f32_e32 v8, v8, v11
	ds_bpermute_b32 v11, v32, v8
	s_waitcnt lgkmcnt(0)
	v_max_f32_e32 v11, v11, v11
	v_max_f32_e32 v8, v8, v11
	ds_bpermute_b32 v11, v63, v8
	;; [unrolled: 4-line block ×4, first 2 shown]
	s_waitcnt lgkmcnt(0)
	v_max_f32_e32 v4, v4, v4
	v_max_f32_e32 v32, v8, v4
	v_fma_f32 v4, 0x3fb8aa3b, v2, -v3
	v_sub_f32_e32 v3, v3, v5
	v_cvt_i32_f32_e32 v5, v5
	v_sub_f32_e32 v6, v6, v32
	v_fmac_f32_e32 v4, 0x32a5705f, v2
	v_sub_f32_e32 v68, v10, v32
	v_cmp_ngt_f32_e64 s0, 0xc2ce8ed0, v6
	v_add_f32_e32 v3, v3, v4
	v_mul_f32_e32 v4, 0x3fb8aa3b, v1
	v_exp_f32_e32 v3, v3
	v_fma_f32 v8, 0x3fb8aa3b, v1, -v4
	v_rndne_f32_e32 v11, v4
	v_fmac_f32_e32 v8, 0x32a5705f, v1
	v_sub_f32_e32 v4, v4, v11
	v_ldexp_f32 v3, v3, v5
	v_cvt_i32_f32_e32 v5, v11
	v_add_f32_e32 v4, v4, v8
	v_cndmask_b32_e64 v3, 0, v3, s1
	v_cmp_nlt_f32_e64 s1, 0x42b17218, v2
	v_exp_f32_e32 v4, v4
	v_cndmask_b32_e64 v64, 0x7f800000, v3, s1
	s_mul_hi_i32 s1, s8, s9
	v_cvt_f16_f32_e32 v2, v64
	v_ldexp_f32 v4, v4, v5
	v_sub_f32_e32 v5, v7, v32
	v_mul_f32_e32 v7, 0x3fb8aa3b, v5
	v_cmp_ngt_f32_e32 vcc_lo, 0xc2ce8ed0, v5
	v_fma_f32 v8, 0x3fb8aa3b, v5, -v7
	v_rndne_f32_e32 v11, v7
	v_fmac_f32_e32 v8, 0x32a5705f, v5
	v_sub_f32_e32 v7, v7, v11
	v_cvt_i32_f32_e32 v11, v11
	v_add_f32_e32 v7, v7, v8
	v_mul_f32_e32 v8, 0x3fb8aa3b, v6
	v_exp_f32_e32 v7, v7
	v_fma_f32 v12, 0x3fb8aa3b, v6, -v8
	v_rndne_f32_e32 v63, v8
	v_fmac_f32_e32 v12, 0x32a5705f, v6
	v_sub_f32_e32 v8, v8, v63
	v_ldexp_f32 v7, v7, v11
	v_cvt_i32_f32_e32 v11, v63
	v_add_f32_e32 v8, v8, v12
	v_cndmask_b32_e32 v7, 0, v7, vcc_lo
	v_cmp_nlt_f32_e32 vcc_lo, 0x42b17218, v5
	v_exp_f32_e32 v8, v8
	v_cndmask_b32_e32 v63, 0x7f800000, v7, vcc_lo
	v_cmp_ngt_f32_e32 vcc_lo, 0xc2ce8ed0, v1
	v_cvt_f16_f32_e32 v3, v63
	v_ldexp_f32 v8, v8, v11
	v_pack_b32_f16 v2, v2, v3
	v_cndmask_b32_e64 v5, 0, v8, s0
	v_cmp_nlt_f32_e64 s0, 0x42b17218, v6
	v_cndmask_b32_e32 v3, 0, v4, vcc_lo
	v_cmp_nlt_f32_e32 vcc_lo, 0x42b17218, v1
	v_cndmask_b32_e64 v65, 0x7f800000, v5, s0
	s_mul_i32 s0, s8, s9
	v_cndmask_b32_e32 v66, 0x7f800000, v3, vcc_lo
	s_lshl_b64 s[0:1], s[0:1], 2
	v_cvt_f16_f32_e32 v3, v65
	s_add_u32 s0, s12, s0
	v_cvt_f16_f32_e32 v1, v66
	s_addc_u32 s1, s13, s1
	v_pack_b32_f16 v1, v1, v3
	v_add_nc_u32_e32 v3, v45, v34
	ds_write2_b32 v3, v2, v1 offset1:32
	v_add_co_u32 v1, vcc_lo, s0, v23
	v_add_co_ci_u32_e64 v2, null, s1, v24, vcc_lo
	v_add_co_u32 v1, vcc_lo, v1, v50
	v_add_co_ci_u32_e64 v2, null, 0, v2, vcc_lo
	;; [unrolled: 2-line block ×4, first 2 shown]
	s_clause 0x1
	global_load_dwordx4 v[1:4], v[1:2], off
	global_load_dwordx4 v[5:8], v[5:6], off
	s_waitcnt vmcnt(1)
	ds_write_b128 v44, v[1:4]
	s_waitcnt vmcnt(0)
	ds_write_b128 v46, v[5:8]
	v_add_co_u32 v1, vcc_lo, s0, v27
	v_add_co_ci_u32_e64 v2, null, s1, v28, vcc_lo
	v_add_co_u32 v1, vcc_lo, v1, v50
	v_add_co_ci_u32_e64 v2, null, 0, v2, vcc_lo
	;; [unrolled: 2-line block ×3, first 2 shown]
	s_or_b32 s0, s8, 32
	v_add_co_u32 v5, vcc_lo, v3, v50
	v_add_co_ci_u32_e64 v6, null, 0, v4, vcc_lo
	s_clause 0x1
	global_load_dwordx4 v[1:4], v[1:2], off
	global_load_dwordx4 v[5:8], v[5:6], off
	s_mul_hi_i32 s1, s0, s9
	s_mul_i32 s0, s0, s9
	s_waitcnt vmcnt(1)
	ds_write_b128 v47, v[1:4]
	s_waitcnt vmcnt(0)
	ds_write_b128 v48, v[5:8]
	v_sub_f32_e32 v1, v9, v31
	s_waitcnt lgkmcnt(0)
	s_barrier
	buffer_gl0_inv
	s_lshl_b64 s[0:1], s[0:1], 2
	v_mul_f32_e32 v2, 0x3fb8aa3b, v1
	v_cmp_ngt_f32_e32 vcc_lo, 0xc2ce8ed0, v1
	s_add_u32 s0, s12, s0
	s_addc_u32 s1, s13, s1
	v_fma_f32 v3, 0x3fb8aa3b, v1, -v2
	v_rndne_f32_e32 v4, v2
	v_fmac_f32_e32 v3, 0x32a5705f, v1
	v_sub_f32_e32 v2, v2, v4
	v_cvt_i32_f32_e32 v4, v4
	v_add_f32_e32 v2, v2, v3
	v_mul_f32_e32 v3, 0x3fb8aa3b, v68
	v_exp_f32_e32 v2, v2
	v_fma_f32 v5, 0x3fb8aa3b, v68, -v3
	v_rndne_f32_e32 v6, v3
	v_fmac_f32_e32 v5, 0x32a5705f, v68
	v_sub_f32_e32 v3, v3, v6
	v_ldexp_f32 v2, v2, v4
	v_cvt_i32_f32_e32 v4, v6
	v_add_f32_e32 v3, v3, v5
	v_cndmask_b32_e32 v2, 0, v2, vcc_lo
	v_cmp_nlt_f32_e32 vcc_lo, 0x42b17218, v1
	v_exp_f32_e32 v3, v3
	v_cndmask_b32_e32 v67, 0x7f800000, v2, vcc_lo
	v_cmp_ngt_f32_e32 vcc_lo, 0xc2ce8ed0, v68
	v_cvt_f16_f32_e32 v1, v67
	v_ldexp_f32 v69, v3, v4
	v_mul_u32_u24_sdwa v70, v1, v51 dst_sel:DWORD dst_unused:UNUSED_PAD src0_sel:WORD_0 src1_sel:DWORD
	ds_read_b128 v[5:8], v45
	ds_read_b128 v[1:4], v45 offset:16
	ds_read2_b64 v[9:12], v35 offset1:32
	v_cndmask_b32_e32 v69, 0, v69, vcc_lo
	v_cmp_nlt_f32_e32 vcc_lo, 0x42b17218, v68
	v_pk_mul_f16 v61, v61, v70
	v_cndmask_b32_e32 v68, 0x7f800000, v69, vcc_lo
	v_cvt_f16_f32_e32 v69, v68
	v_mul_u32_u24_sdwa v69, v69, v51 dst_sel:DWORD dst_unused:UNUSED_PAD src0_sel:WORD_0 src1_sel:DWORD
	s_waitcnt lgkmcnt(2)
	v_mul_u32_u24_sdwa v71, v5, v51 dst_sel:DWORD dst_unused:UNUSED_PAD src0_sel:WORD_0 src1_sel:DWORD
	v_mul_u32_u24_sdwa v5, v5, v51 dst_sel:DWORD dst_unused:UNUSED_PAD src0_sel:WORD_1 src1_sel:DWORD
	v_pk_mul_f16 v54, v54, v69
	s_waitcnt lgkmcnt(0)
	v_pk_mul_f16 v72, v9, v71
	v_pk_mul_f16 v9, v9, v5
	v_pk_fma_f16 v5, v10, v5, v54
	v_pk_fma_f16 v60, v60, v70, v72
	;; [unrolled: 1-line block ×4, first 2 shown]
	v_mul_u32_u24_sdwa v10, v6, v51 dst_sel:DWORD dst_unused:UNUSED_PAD src0_sel:WORD_0 src1_sel:DWORD
	v_mul_u32_u24_sdwa v6, v6, v51 dst_sel:DWORD dst_unused:UNUSED_PAD src0_sel:WORD_1 src1_sel:DWORD
	v_mul_u32_u24_sdwa v61, v8, v51 dst_sel:DWORD dst_unused:UNUSED_PAD src0_sel:WORD_1 src1_sel:DWORD
	v_pk_fma_f16 v54, v12, v10, v55
	v_pk_fma_f16 v10, v11, v10, v60
	v_pk_fma_f16 v12, v12, v6, v5
	v_pk_fma_f16 v9, v11, v6, v9
	v_mul_u32_u24_sdwa v11, v7, v51 dst_sel:DWORD dst_unused:UNUSED_PAD src0_sel:WORD_0 src1_sel:DWORD
	v_mul_u32_u24_sdwa v55, v7, v51 dst_sel:DWORD dst_unused:UNUSED_PAD src0_sel:WORD_1 src1_sel:DWORD
	v_mul_u32_u24_sdwa v60, v8, v51 dst_sel:DWORD dst_unused:UNUSED_PAD src0_sel:WORD_0 src1_sel:DWORD
	ds_read2_b64 v[5:8], v35 offset0:64 offset1:96
	s_waitcnt lgkmcnt(0)
	v_pk_fma_f16 v54, v6, v11, v54
	v_pk_fma_f16 v10, v5, v11, v10
	;; [unrolled: 1-line block ×8, first 2 shown]
	ds_read2_b64 v[5:8], v35 offset0:128 offset1:160
	v_mul_u32_u24_sdwa v54, v1, v51 dst_sel:DWORD dst_unused:UNUSED_PAD src0_sel:WORD_0 src1_sel:DWORD
	v_mul_u32_u24_sdwa v1, v1, v51 dst_sel:DWORD dst_unused:UNUSED_PAD src0_sel:WORD_1 src1_sel:DWORD
	s_waitcnt lgkmcnt(0)
	v_pk_fma_f16 v9, v6, v54, v9
	v_pk_fma_f16 v10, v5, v54, v10
	;; [unrolled: 1-line block ×4, first 2 shown]
	v_mul_u32_u24_sdwa v5, v2, v51 dst_sel:DWORD dst_unused:UNUSED_PAD src0_sel:WORD_0 src1_sel:DWORD
	v_mul_u32_u24_sdwa v2, v2, v51 dst_sel:DWORD dst_unused:UNUSED_PAD src0_sel:WORD_1 src1_sel:DWORD
	v_mul_u32_u24_sdwa v11, v4, v51 dst_sel:DWORD dst_unused:UNUSED_PAD src0_sel:WORD_0 src1_sel:DWORD
	v_mul_u32_u24_sdwa v12, v4, v51 dst_sel:DWORD dst_unused:UNUSED_PAD src0_sel:WORD_1 src1_sel:DWORD
	v_pk_fma_f16 v9, v8, v5, v9
	v_pk_fma_f16 v5, v7, v5, v10
	;; [unrolled: 1-line block ×4, first 2 shown]
	v_mul_u32_u24_sdwa v8, v3, v51 dst_sel:DWORD dst_unused:UNUSED_PAD src0_sel:WORD_0 src1_sel:DWORD
	v_mul_u32_u24_sdwa v10, v3, v51 dst_sel:DWORD dst_unused:UNUSED_PAD src0_sel:WORD_1 src1_sel:DWORD
	ds_read2_b64 v[1:4], v35 offset0:192 offset1:224
	s_waitcnt lgkmcnt(0)
	v_pk_fma_f16 v9, v2, v8, v9
	v_pk_fma_f16 v5, v1, v8, v5
	;; [unrolled: 1-line block ×4, first 2 shown]
	v_add_nc_u32_e32 v7, 0x800, v35
	v_pk_fma_f16 v6, v4, v11, v9
	v_pk_fma_f16 v5, v3, v11, v5
	;; [unrolled: 1-line block ×4, first 2 shown]
	ds_read_b128 v[1:4], v45 offset:32
	ds_read_b128 v[8:11], v45 offset:48
	ds_read2_b64 v[69:72], v7 offset1:32
	s_waitcnt lgkmcnt(2)
	v_mul_u32_u24_sdwa v55, v1, v51 dst_sel:DWORD dst_unused:UNUSED_PAD src0_sel:WORD_0 src1_sel:DWORD
	v_mul_u32_u24_sdwa v1, v1, v51 dst_sel:DWORD dst_unused:UNUSED_PAD src0_sel:WORD_1 src1_sel:DWORD
	v_mul_u32_u24_sdwa v60, v3, v51 dst_sel:DWORD dst_unused:UNUSED_PAD src0_sel:WORD_1 src1_sel:DWORD
	v_mul_u32_u24_sdwa v61, v4, v51 dst_sel:DWORD dst_unused:UNUSED_PAD src0_sel:WORD_0 src1_sel:DWORD
	s_waitcnt lgkmcnt(0)
	v_pk_fma_f16 v6, v70, v55, v6
	v_pk_fma_f16 v5, v69, v55, v5
	;; [unrolled: 1-line block ×4, first 2 shown]
	v_mul_u32_u24_sdwa v12, v2, v51 dst_sel:DWORD dst_unused:UNUSED_PAD src0_sel:WORD_0 src1_sel:DWORD
	v_mul_u32_u24_sdwa v2, v2, v51 dst_sel:DWORD dst_unused:UNUSED_PAD src0_sel:WORD_1 src1_sel:DWORD
	v_mul_u32_u24_sdwa v55, v3, v51 dst_sel:DWORD dst_unused:UNUSED_PAD src0_sel:WORD_0 src1_sel:DWORD
	v_mul_u32_u24_sdwa v69, v4, v51 dst_sel:DWORD dst_unused:UNUSED_PAD src0_sel:WORD_1 src1_sel:DWORD
	v_pk_fma_f16 v6, v72, v12, v6
	v_pk_fma_f16 v5, v71, v12, v5
	;; [unrolled: 1-line block ×4, first 2 shown]
	ds_read2_b64 v[1:4], v7 offset0:64 offset1:96
	s_waitcnt lgkmcnt(0)
	v_pk_fma_f16 v6, v2, v55, v6
	v_pk_fma_f16 v5, v1, v55, v5
	;; [unrolled: 1-line block ×4, first 2 shown]
	v_mul_u32_u24_sdwa v55, v8, v51 dst_sel:DWORD dst_unused:UNUSED_PAD src0_sel:WORD_0 src1_sel:DWORD
	v_pk_fma_f16 v6, v4, v61, v6
	v_pk_fma_f16 v5, v3, v61, v5
	;; [unrolled: 1-line block ×4, first 2 shown]
	ds_read2_b64 v[1:4], v7 offset0:128 offset1:160
	v_mul_u32_u24_sdwa v8, v8, v51 dst_sel:DWORD dst_unused:UNUSED_PAD src0_sel:WORD_1 src1_sel:DWORD
	s_waitcnt lgkmcnt(0)
	v_pk_fma_f16 v6, v2, v55, v6
	v_pk_fma_f16 v5, v1, v55, v5
	;; [unrolled: 1-line block ×4, first 2 shown]
	v_mul_u32_u24_sdwa v8, v9, v51 dst_sel:DWORD dst_unused:UNUSED_PAD src0_sel:WORD_0 src1_sel:DWORD
	v_mul_u32_u24_sdwa v12, v10, v51 dst_sel:DWORD dst_unused:UNUSED_PAD src0_sel:WORD_0 src1_sel:DWORD
	v_mul_u32_u24_sdwa v10, v10, v51 dst_sel:DWORD dst_unused:UNUSED_PAD src0_sel:WORD_1 src1_sel:DWORD
	v_mul_u32_u24_sdwa v54, v11, v51 dst_sel:DWORD dst_unused:UNUSED_PAD src0_sel:WORD_0 src1_sel:DWORD
	v_mul_u32_u24_sdwa v11, v11, v51 dst_sel:DWORD dst_unused:UNUSED_PAD src0_sel:WORD_1 src1_sel:DWORD
	v_pk_fma_f16 v6, v4, v8, v6
	v_pk_fma_f16 v5, v3, v8, v5
	v_mul_u32_u24_sdwa v8, v9, v51 dst_sel:DWORD dst_unused:UNUSED_PAD src0_sel:WORD_1 src1_sel:DWORD
	v_pk_fma_f16 v9, v4, v8, v2
	v_pk_fma_f16 v8, v3, v8, v1
	ds_read2_b64 v[1:4], v7 offset0:192 offset1:224
	s_waitcnt lgkmcnt(0)
	v_pk_fma_f16 v5, v1, v12, v5
	v_pk_fma_f16 v6, v2, v12, v6
	;; [unrolled: 1-line block ×5, first 2 shown]
	v_add_nc_u32_e32 v5, 0x1000, v35
	v_pk_fma_f16 v6, v4, v54, v6
	v_pk_fma_f16 v54, v4, v11, v2
	;; [unrolled: 1-line block ×3, first 2 shown]
	ds_read_b128 v[1:4], v45 offset:64
	ds_read_b128 v[8:11], v45 offset:80
	ds_read2_b64 v[69:72], v5 offset1:32
	s_waitcnt lgkmcnt(2)
	v_mul_u32_u24_sdwa v60, v1, v51 dst_sel:DWORD dst_unused:UNUSED_PAD src0_sel:WORD_0 src1_sel:DWORD
	v_mul_u32_u24_sdwa v1, v1, v51 dst_sel:DWORD dst_unused:UNUSED_PAD src0_sel:WORD_1 src1_sel:DWORD
	v_mul_u32_u24_sdwa v61, v3, v51 dst_sel:DWORD dst_unused:UNUSED_PAD src0_sel:WORD_1 src1_sel:DWORD
	s_waitcnt lgkmcnt(0)
	v_pk_fma_f16 v6, v70, v60, v6
	v_pk_fma_f16 v12, v69, v60, v12
	;; [unrolled: 1-line block ×4, first 2 shown]
	v_mul_u32_u24_sdwa v55, v2, v51 dst_sel:DWORD dst_unused:UNUSED_PAD src0_sel:WORD_0 src1_sel:DWORD
	v_mul_u32_u24_sdwa v2, v2, v51 dst_sel:DWORD dst_unused:UNUSED_PAD src0_sel:WORD_1 src1_sel:DWORD
	v_mul_u32_u24_sdwa v60, v3, v51 dst_sel:DWORD dst_unused:UNUSED_PAD src0_sel:WORD_0 src1_sel:DWORD
	v_mul_u32_u24_sdwa v69, v4, v51 dst_sel:DWORD dst_unused:UNUSED_PAD src0_sel:WORD_0 src1_sel:DWORD
	v_mul_u32_u24_sdwa v70, v4, v51 dst_sel:DWORD dst_unused:UNUSED_PAD src0_sel:WORD_1 src1_sel:DWORD
	v_pk_fma_f16 v6, v72, v55, v6
	v_pk_fma_f16 v12, v71, v55, v12
	;; [unrolled: 1-line block ×4, first 2 shown]
	ds_read2_b64 v[1:4], v5 offset0:64 offset1:96
	s_waitcnt lgkmcnt(0)
	v_pk_fma_f16 v6, v2, v60, v6
	v_pk_fma_f16 v12, v1, v60, v12
	;; [unrolled: 1-line block ×4, first 2 shown]
	v_mul_u32_u24_sdwa v60, v8, v51 dst_sel:DWORD dst_unused:UNUSED_PAD src0_sel:WORD_0 src1_sel:DWORD
	v_pk_fma_f16 v6, v4, v69, v6
	v_pk_fma_f16 v12, v3, v69, v12
	;; [unrolled: 1-line block ×4, first 2 shown]
	ds_read2_b64 v[1:4], v5 offset0:128 offset1:160
	v_mul_u32_u24_sdwa v8, v8, v51 dst_sel:DWORD dst_unused:UNUSED_PAD src0_sel:WORD_1 src1_sel:DWORD
	s_waitcnt lgkmcnt(0)
	v_pk_fma_f16 v6, v2, v60, v6
	v_pk_fma_f16 v12, v1, v60, v12
	;; [unrolled: 1-line block ×4, first 2 shown]
	v_mul_u32_u24_sdwa v8, v9, v51 dst_sel:DWORD dst_unused:UNUSED_PAD src0_sel:WORD_0 src1_sel:DWORD
	v_mul_u32_u24_sdwa v9, v9, v51 dst_sel:DWORD dst_unused:UNUSED_PAD src0_sel:WORD_1 src1_sel:DWORD
	v_mul_u32_u24_sdwa v54, v10, v51 dst_sel:DWORD dst_unused:UNUSED_PAD src0_sel:WORD_0 src1_sel:DWORD
	v_mul_u32_u24_sdwa v10, v10, v51 dst_sel:DWORD dst_unused:UNUSED_PAD src0_sel:WORD_1 src1_sel:DWORD
	v_mul_u32_u24_sdwa v55, v11, v51 dst_sel:DWORD dst_unused:UNUSED_PAD src0_sel:WORD_0 src1_sel:DWORD
	v_pk_fma_f16 v6, v4, v8, v6
	v_pk_fma_f16 v8, v3, v8, v12
	v_pk_fma_f16 v12, v4, v9, v2
	v_pk_fma_f16 v9, v3, v9, v1
	ds_read2_b64 v[1:4], v5 offset0:192 offset1:224
	v_mul_u32_u24_sdwa v11, v11, v51 dst_sel:DWORD dst_unused:UNUSED_PAD src0_sel:WORD_1 src1_sel:DWORD
	s_waitcnt lgkmcnt(0)
	v_pk_fma_f16 v6, v2, v54, v6
	v_pk_fma_f16 v8, v1, v54, v8
	;; [unrolled: 1-line block ×5, first 2 shown]
	v_add_nc_u32_e32 v6, 0x1800, v35
	v_pk_fma_f16 v54, v3, v55, v8
	v_pk_fma_f16 v55, v4, v11, v2
	;; [unrolled: 1-line block ×3, first 2 shown]
	ds_read_b128 v[1:4], v45 offset:96
	ds_read_b128 v[69:72], v45 offset:112
	ds_read2_b64 v[8:11], v6 offset1:32
	s_waitcnt lgkmcnt(2)
	v_mul_u32_u24_sdwa v61, v1, v51 dst_sel:DWORD dst_unused:UNUSED_PAD src0_sel:WORD_0 src1_sel:DWORD
	v_mul_u32_u24_sdwa v1, v1, v51 dst_sel:DWORD dst_unused:UNUSED_PAD src0_sel:WORD_1 src1_sel:DWORD
	s_waitcnt lgkmcnt(0)
	v_pk_fma_f16 v12, v9, v61, v12
	v_pk_fma_f16 v54, v8, v61, v54
	;; [unrolled: 1-line block ×4, first 2 shown]
	v_mul_u32_u24_sdwa v8, v2, v51 dst_sel:DWORD dst_unused:UNUSED_PAD src0_sel:WORD_0 src1_sel:DWORD
	v_mul_u32_u24_sdwa v2, v2, v51 dst_sel:DWORD dst_unused:UNUSED_PAD src0_sel:WORD_1 src1_sel:DWORD
	v_mul_u32_u24_sdwa v55, v4, v51 dst_sel:DWORD dst_unused:UNUSED_PAD src0_sel:WORD_0 src1_sel:DWORD
	v_mul_u32_u24_sdwa v60, v4, v51 dst_sel:DWORD dst_unused:UNUSED_PAD src0_sel:WORD_1 src1_sel:DWORD
	v_mul_u32_u24_sdwa v61, v71, v51 dst_sel:DWORD dst_unused:UNUSED_PAD src0_sel:WORD_0 src1_sel:DWORD
	v_pk_fma_f16 v12, v11, v8, v12
	v_pk_fma_f16 v8, v10, v8, v54
	v_pk_fma_f16 v9, v11, v2, v9
	v_pk_fma_f16 v10, v10, v2, v1
	v_mul_u32_u24_sdwa v11, v3, v51 dst_sel:DWORD dst_unused:UNUSED_PAD src0_sel:WORD_0 src1_sel:DWORD
	v_mul_u32_u24_sdwa v54, v3, v51 dst_sel:DWORD dst_unused:UNUSED_PAD src0_sel:WORD_1 src1_sel:DWORD
	ds_read2_b64 v[1:4], v6 offset0:64 offset1:96
	s_waitcnt lgkmcnt(0)
	v_pk_fma_f16 v12, v2, v11, v12
	v_pk_fma_f16 v8, v1, v11, v8
	;; [unrolled: 1-line block ×8, first 2 shown]
	ds_read2_b64 v[1:4], v6 offset0:128 offset1:160
	v_mul_u32_u24_sdwa v12, v69, v51 dst_sel:DWORD dst_unused:UNUSED_PAD src0_sel:WORD_0 src1_sel:DWORD
	s_waitcnt lgkmcnt(0)
	v_pk_fma_f16 v9, v2, v12, v9
	v_pk_fma_f16 v8, v1, v12, v8
	v_mul_u32_u24_sdwa v12, v69, v51 dst_sel:DWORD dst_unused:UNUSED_PAD src0_sel:WORD_1 src1_sel:DWORD
	v_pk_fma_f16 v2, v2, v12, v10
	v_mul_u32_u24_sdwa v10, v70, v51 dst_sel:DWORD dst_unused:UNUSED_PAD src0_sel:WORD_0 src1_sel:DWORD
	v_pk_fma_f16 v1, v1, v12, v11
	v_mul_u32_u24_sdwa v12, v71, v51 dst_sel:DWORD dst_unused:UNUSED_PAD src0_sel:WORD_1 src1_sel:DWORD
	v_pk_fma_f16 v55, v3, v10, v8
	v_mul_u32_u24_sdwa v8, v70, v51 dst_sel:DWORD dst_unused:UNUSED_PAD src0_sel:WORD_1 src1_sel:DWORD
	v_pk_fma_f16 v54, v4, v10, v9
	v_mul_u32_u24_sdwa v9, v72, v51 dst_sel:DWORD dst_unused:UNUSED_PAD src0_sel:WORD_0 src1_sel:DWORD
	v_pk_fma_f16 v60, v4, v8, v2
	v_pk_fma_f16 v11, v3, v8, v1
	ds_read2_b64 v[1:4], v6 offset0:192 offset1:224
	v_mul_u32_u24_sdwa v8, v72, v51 dst_sel:DWORD dst_unused:UNUSED_PAD src0_sel:WORD_1 src1_sel:DWORD
	s_waitcnt lgkmcnt(0)
	s_barrier
	buffer_gl0_inv
	v_pk_fma_f16 v10, v2, v61, v54
	v_pk_fma_f16 v54, v1, v61, v55
	;; [unrolled: 1-line block ×7, first 2 shown]
	v_add_co_u32 v1, vcc_lo, s0, v23
	v_pk_fma_f16 v55, v4, v8, v2
	v_add_co_ci_u32_e64 v2, null, s1, v24, vcc_lo
	v_add_co_u32 v1, vcc_lo, v1, v50
	v_add_co_ci_u32_e64 v2, null, 0, v2, vcc_lo
	v_add_co_u32 v3, vcc_lo, s0, v25
	;; [unrolled: 2-line block ×3, first 2 shown]
	v_add_co_ci_u32_e64 v9, null, 0, v4, vcc_lo
	s_clause 0x1
	global_load_dwordx4 v[1:4], v[1:2], off
	global_load_dwordx4 v[8:11], v[8:9], off
	s_waitcnt vmcnt(1)
	ds_write_b128 v44, v[1:4]
	s_waitcnt vmcnt(0)
	ds_write_b128 v46, v[8:11]
	v_add_co_u32 v1, vcc_lo, s0, v27
	v_add_co_ci_u32_e64 v2, null, s1, v28, vcc_lo
	v_add_co_u32 v1, vcc_lo, v1, v50
	v_add_co_ci_u32_e64 v2, null, 0, v2, vcc_lo
	v_add_co_u32 v3, vcc_lo, s0, v29
	v_add_co_ci_u32_e64 v4, null, s1, v30, vcc_lo
	v_add_co_u32 v8, vcc_lo, v3, v50
	v_add_co_ci_u32_e64 v9, null, 0, v4, vcc_lo
	s_clause 0x1
	global_load_dwordx4 v[1:4], v[1:2], off
	global_load_dwordx4 v[8:11], v[8:9], off
	s_waitcnt vmcnt(1)
	ds_write_b128 v47, v[1:4]
	s_waitcnt vmcnt(0)
	ds_write_b128 v48, v[8:11]
	s_waitcnt lgkmcnt(0)
	s_barrier
	buffer_gl0_inv
	ds_read_b128 v[8:11], v45 offset:128
	ds_read_b128 v[1:4], v45 offset:144
	ds_read2_b64 v[69:72], v35 offset1:32
	s_waitcnt lgkmcnt(2)
	v_mul_u32_u24_sdwa v61, v8, v51 dst_sel:DWORD dst_unused:UNUSED_PAD src0_sel:WORD_0 src1_sel:DWORD
	v_mul_u32_u24_sdwa v8, v8, v51 dst_sel:DWORD dst_unused:UNUSED_PAD src0_sel:WORD_1 src1_sel:DWORD
	s_waitcnt lgkmcnt(0)
	v_pk_fma_f16 v54, v69, v61, v54
	v_pk_fma_f16 v12, v70, v61, v12
	;; [unrolled: 1-line block ×4, first 2 shown]
	v_mul_u32_u24_sdwa v55, v9, v51 dst_sel:DWORD dst_unused:UNUSED_PAD src0_sel:WORD_0 src1_sel:DWORD
	v_mul_u32_u24_sdwa v9, v9, v51 dst_sel:DWORD dst_unused:UNUSED_PAD src0_sel:WORD_1 src1_sel:DWORD
	v_mul_u32_u24_sdwa v61, v10, v51 dst_sel:DWORD dst_unused:UNUSED_PAD src0_sel:WORD_0 src1_sel:DWORD
	v_mul_u32_u24_sdwa v69, v10, v51 dst_sel:DWORD dst_unused:UNUSED_PAD src0_sel:WORD_1 src1_sel:DWORD
	v_mul_u32_u24_sdwa v70, v11, v51 dst_sel:DWORD dst_unused:UNUSED_PAD src0_sel:WORD_0 src1_sel:DWORD
	v_pk_fma_f16 v54, v71, v55, v54
	v_pk_fma_f16 v12, v72, v55, v12
	v_pk_fma_f16 v55, v71, v9, v60
	v_pk_fma_f16 v60, v72, v9, v8
	v_mul_u32_u24_sdwa v71, v11, v51 dst_sel:DWORD dst_unused:UNUSED_PAD src0_sel:WORD_1 src1_sel:DWORD
	ds_read2_b64 v[8:11], v35 offset0:64 offset1:96
	s_waitcnt lgkmcnt(0)
	v_pk_fma_f16 v54, v8, v61, v54
	v_pk_fma_f16 v12, v9, v61, v12
	;; [unrolled: 1-line block ×4, first 2 shown]
	v_mul_u32_u24_sdwa v61, v1, v51 dst_sel:DWORD dst_unused:UNUSED_PAD src0_sel:WORD_0 src1_sel:DWORD
	v_pk_fma_f16 v54, v10, v70, v54
	v_pk_fma_f16 v12, v11, v70, v12
	;; [unrolled: 1-line block ×4, first 2 shown]
	ds_read2_b64 v[8:11], v35 offset0:128 offset1:160
	v_mul_u32_u24_sdwa v1, v1, v51 dst_sel:DWORD dst_unused:UNUSED_PAD src0_sel:WORD_1 src1_sel:DWORD
	s_waitcnt lgkmcnt(0)
	v_pk_fma_f16 v54, v8, v61, v54
	v_pk_fma_f16 v12, v9, v61, v12
	;; [unrolled: 1-line block ×4, first 2 shown]
	v_mul_u32_u24_sdwa v9, v2, v51 dst_sel:DWORD dst_unused:UNUSED_PAD src0_sel:WORD_0 src1_sel:DWORD
	v_mul_u32_u24_sdwa v2, v2, v51 dst_sel:DWORD dst_unused:UNUSED_PAD src0_sel:WORD_1 src1_sel:DWORD
	v_mul_u32_u24_sdwa v55, v4, v51 dst_sel:DWORD dst_unused:UNUSED_PAD src0_sel:WORD_0 src1_sel:DWORD
	v_mul_u32_u24_sdwa v60, v4, v51 dst_sel:DWORD dst_unused:UNUSED_PAD src0_sel:WORD_1 src1_sel:DWORD
	v_pk_fma_f16 v54, v10, v9, v54
	v_pk_fma_f16 v9, v11, v9, v12
	;; [unrolled: 1-line block ×4, first 2 shown]
	v_mul_u32_u24_sdwa v11, v3, v51 dst_sel:DWORD dst_unused:UNUSED_PAD src0_sel:WORD_0 src1_sel:DWORD
	v_mul_u32_u24_sdwa v12, v3, v51 dst_sel:DWORD dst_unused:UNUSED_PAD src0_sel:WORD_1 src1_sel:DWORD
	ds_read2_b64 v[1:4], v35 offset0:192 offset1:224
	s_waitcnt lgkmcnt(0)
	v_pk_fma_f16 v54, v1, v11, v54
	v_pk_fma_f16 v9, v2, v11, v9
	;; [unrolled: 1-line block ×8, first 2 shown]
	ds_read_b128 v[1:4], v45 offset:160
	ds_read_b128 v[8:11], v45 offset:176
	ds_read2_b64 v[69:72], v7 offset1:32
	s_waitcnt lgkmcnt(2)
	v_mul_u32_u24_sdwa v61, v1, v51 dst_sel:DWORD dst_unused:UNUSED_PAD src0_sel:WORD_0 src1_sel:DWORD
	v_mul_u32_u24_sdwa v1, v1, v51 dst_sel:DWORD dst_unused:UNUSED_PAD src0_sel:WORD_1 src1_sel:DWORD
	s_waitcnt lgkmcnt(0)
	v_pk_fma_f16 v12, v69, v61, v12
	v_pk_fma_f16 v54, v70, v61, v54
	;; [unrolled: 1-line block ×4, first 2 shown]
	v_mul_u32_u24_sdwa v60, v2, v51 dst_sel:DWORD dst_unused:UNUSED_PAD src0_sel:WORD_0 src1_sel:DWORD
	v_mul_u32_u24_sdwa v2, v2, v51 dst_sel:DWORD dst_unused:UNUSED_PAD src0_sel:WORD_1 src1_sel:DWORD
	v_mul_u32_u24_sdwa v61, v3, v51 dst_sel:DWORD dst_unused:UNUSED_PAD src0_sel:WORD_0 src1_sel:DWORD
	v_mul_u32_u24_sdwa v69, v3, v51 dst_sel:DWORD dst_unused:UNUSED_PAD src0_sel:WORD_1 src1_sel:DWORD
	v_mul_u32_u24_sdwa v70, v4, v51 dst_sel:DWORD dst_unused:UNUSED_PAD src0_sel:WORD_0 src1_sel:DWORD
	v_pk_fma_f16 v12, v71, v60, v12
	v_pk_fma_f16 v54, v72, v60, v54
	;; [unrolled: 1-line block ×4, first 2 shown]
	v_mul_u32_u24_sdwa v71, v4, v51 dst_sel:DWORD dst_unused:UNUSED_PAD src0_sel:WORD_1 src1_sel:DWORD
	ds_read2_b64 v[1:4], v7 offset0:64 offset1:96
	s_waitcnt lgkmcnt(0)
	v_pk_fma_f16 v12, v1, v61, v12
	v_pk_fma_f16 v54, v2, v61, v54
	;; [unrolled: 1-line block ×4, first 2 shown]
	v_mul_u32_u24_sdwa v61, v8, v51 dst_sel:DWORD dst_unused:UNUSED_PAD src0_sel:WORD_0 src1_sel:DWORD
	v_pk_fma_f16 v12, v3, v70, v12
	v_pk_fma_f16 v54, v4, v70, v54
	;; [unrolled: 1-line block ×4, first 2 shown]
	ds_read2_b64 v[1:4], v7 offset0:128 offset1:160
	v_mul_u32_u24_sdwa v8, v8, v51 dst_sel:DWORD dst_unused:UNUSED_PAD src0_sel:WORD_1 src1_sel:DWORD
	s_waitcnt lgkmcnt(0)
	v_pk_fma_f16 v12, v1, v61, v12
	v_pk_fma_f16 v54, v2, v61, v54
	v_pk_fma_f16 v1, v1, v8, v55
	v_pk_fma_f16 v2, v2, v8, v60
	v_mul_u32_u24_sdwa v8, v9, v51 dst_sel:DWORD dst_unused:UNUSED_PAD src0_sel:WORD_0 src1_sel:DWORD
	v_mul_u32_u24_sdwa v9, v9, v51 dst_sel:DWORD dst_unused:UNUSED_PAD src0_sel:WORD_1 src1_sel:DWORD
	v_mul_u32_u24_sdwa v55, v10, v51 dst_sel:DWORD dst_unused:UNUSED_PAD src0_sel:WORD_0 src1_sel:DWORD
	v_mul_u32_u24_sdwa v10, v10, v51 dst_sel:DWORD dst_unused:UNUSED_PAD src0_sel:WORD_1 src1_sel:DWORD
	v_mul_u32_u24_sdwa v60, v11, v51 dst_sel:DWORD dst_unused:UNUSED_PAD src0_sel:WORD_0 src1_sel:DWORD
	v_pk_fma_f16 v12, v3, v8, v12
	v_pk_fma_f16 v8, v4, v8, v54
	;; [unrolled: 1-line block ×4, first 2 shown]
	ds_read2_b64 v[1:4], v7 offset0:192 offset1:224
	v_mul_u32_u24_sdwa v11, v11, v51 dst_sel:DWORD dst_unused:UNUSED_PAD src0_sel:WORD_1 src1_sel:DWORD
	s_waitcnt lgkmcnt(0)
	v_pk_fma_f16 v7, v1, v55, v12
	v_pk_fma_f16 v8, v2, v55, v8
	;; [unrolled: 1-line block ×8, first 2 shown]
	ds_read_b128 v[1:4], v45 offset:192
	ds_read_b128 v[7:10], v45 offset:208
	ds_read2_b64 v[69:72], v5 offset1:32
	s_waitcnt lgkmcnt(2)
	v_mul_u32_u24_sdwa v60, v1, v51 dst_sel:DWORD dst_unused:UNUSED_PAD src0_sel:WORD_0 src1_sel:DWORD
	v_mul_u32_u24_sdwa v1, v1, v51 dst_sel:DWORD dst_unused:UNUSED_PAD src0_sel:WORD_1 src1_sel:DWORD
	v_mul_u32_u24_sdwa v61, v3, v51 dst_sel:DWORD dst_unused:UNUSED_PAD src0_sel:WORD_1 src1_sel:DWORD
	s_waitcnt lgkmcnt(0)
	v_pk_fma_f16 v12, v69, v60, v12
	v_pk_fma_f16 v54, v70, v60, v54
	;; [unrolled: 1-line block ×4, first 2 shown]
	v_mul_u32_u24_sdwa v11, v2, v51 dst_sel:DWORD dst_unused:UNUSED_PAD src0_sel:WORD_0 src1_sel:DWORD
	v_mul_u32_u24_sdwa v2, v2, v51 dst_sel:DWORD dst_unused:UNUSED_PAD src0_sel:WORD_1 src1_sel:DWORD
	v_mul_u32_u24_sdwa v60, v3, v51 dst_sel:DWORD dst_unused:UNUSED_PAD src0_sel:WORD_0 src1_sel:DWORD
	v_mul_u32_u24_sdwa v69, v4, v51 dst_sel:DWORD dst_unused:UNUSED_PAD src0_sel:WORD_0 src1_sel:DWORD
	v_mul_u32_u24_sdwa v70, v4, v51 dst_sel:DWORD dst_unused:UNUSED_PAD src0_sel:WORD_1 src1_sel:DWORD
	v_pk_fma_f16 v12, v71, v11, v12
	v_pk_fma_f16 v11, v72, v11, v54
	;; [unrolled: 1-line block ×4, first 2 shown]
	ds_read2_b64 v[1:4], v5 offset0:64 offset1:96
	s_waitcnt lgkmcnt(0)
	v_pk_fma_f16 v12, v1, v60, v12
	v_pk_fma_f16 v11, v2, v60, v11
	;; [unrolled: 1-line block ×4, first 2 shown]
	v_mul_u32_u24_sdwa v60, v7, v51 dst_sel:DWORD dst_unused:UNUSED_PAD src0_sel:WORD_0 src1_sel:DWORD
	v_pk_fma_f16 v12, v3, v69, v12
	v_pk_fma_f16 v11, v4, v69, v11
	;; [unrolled: 1-line block ×4, first 2 shown]
	ds_read2_b64 v[1:4], v5 offset0:128 offset1:160
	v_mul_u32_u24_sdwa v7, v7, v51 dst_sel:DWORD dst_unused:UNUSED_PAD src0_sel:WORD_1 src1_sel:DWORD
	s_waitcnt lgkmcnt(0)
	v_pk_fma_f16 v12, v1, v60, v12
	v_pk_fma_f16 v11, v2, v60, v11
	;; [unrolled: 1-line block ×4, first 2 shown]
	v_mul_u32_u24_sdwa v7, v8, v51 dst_sel:DWORD dst_unused:UNUSED_PAD src0_sel:WORD_0 src1_sel:DWORD
	v_mul_u32_u24_sdwa v8, v8, v51 dst_sel:DWORD dst_unused:UNUSED_PAD src0_sel:WORD_1 src1_sel:DWORD
	v_mul_u32_u24_sdwa v54, v9, v51 dst_sel:DWORD dst_unused:UNUSED_PAD src0_sel:WORD_0 src1_sel:DWORD
	v_mul_u32_u24_sdwa v9, v9, v51 dst_sel:DWORD dst_unused:UNUSED_PAD src0_sel:WORD_1 src1_sel:DWORD
	v_mul_u32_u24_sdwa v55, v10, v51 dst_sel:DWORD dst_unused:UNUSED_PAD src0_sel:WORD_0 src1_sel:DWORD
	v_pk_fma_f16 v12, v3, v7, v12
	v_pk_fma_f16 v7, v4, v7, v11
	;; [unrolled: 1-line block ×4, first 2 shown]
	ds_read2_b64 v[1:4], v5 offset0:192 offset1:224
	v_mul_u32_u24_sdwa v10, v10, v51 dst_sel:DWORD dst_unused:UNUSED_PAD src0_sel:WORD_1 src1_sel:DWORD
	s_waitcnt lgkmcnt(0)
	v_pk_fma_f16 v5, v1, v54, v12
	v_pk_fma_f16 v7, v2, v54, v7
	;; [unrolled: 1-line block ×8, first 2 shown]
	ds_read_b128 v[1:4], v45 offset:224
	ds_read_b128 v[7:10], v45 offset:240
	ds_read2_b64 v[69:72], v6 offset1:32
	s_waitcnt lgkmcnt(2)
	v_mul_u32_u24_sdwa v55, v1, v51 dst_sel:DWORD dst_unused:UNUSED_PAD src0_sel:WORD_0 src1_sel:DWORD
	v_mul_u32_u24_sdwa v1, v1, v51 dst_sel:DWORD dst_unused:UNUSED_PAD src0_sel:WORD_1 src1_sel:DWORD
	v_mul_u32_u24_sdwa v60, v3, v51 dst_sel:DWORD dst_unused:UNUSED_PAD src0_sel:WORD_1 src1_sel:DWORD
	v_mul_u32_u24_sdwa v61, v4, v51 dst_sel:DWORD dst_unused:UNUSED_PAD src0_sel:WORD_0 src1_sel:DWORD
	s_waitcnt lgkmcnt(0)
	v_pk_fma_f16 v5, v69, v55, v5
	v_pk_fma_f16 v11, v70, v55, v11
	;; [unrolled: 1-line block ×4, first 2 shown]
	v_mul_u32_u24_sdwa v54, v2, v51 dst_sel:DWORD dst_unused:UNUSED_PAD src0_sel:WORD_0 src1_sel:DWORD
	v_mul_u32_u24_sdwa v2, v2, v51 dst_sel:DWORD dst_unused:UNUSED_PAD src0_sel:WORD_1 src1_sel:DWORD
	v_mul_u32_u24_sdwa v55, v3, v51 dst_sel:DWORD dst_unused:UNUSED_PAD src0_sel:WORD_0 src1_sel:DWORD
	v_mul_u32_u24_sdwa v69, v4, v51 dst_sel:DWORD dst_unused:UNUSED_PAD src0_sel:WORD_1 src1_sel:DWORD
	v_pk_fma_f16 v5, v71, v54, v5
	v_pk_fma_f16 v11, v72, v54, v11
	;; [unrolled: 1-line block ×4, first 2 shown]
	ds_read2_b64 v[1:4], v6 offset0:64 offset1:96
	s_waitcnt lgkmcnt(0)
	v_pk_fma_f16 v5, v1, v55, v5
	v_pk_fma_f16 v11, v2, v55, v11
	v_pk_fma_f16 v1, v1, v60, v12
	v_pk_fma_f16 v2, v2, v60, v54
	v_mul_u32_u24_sdwa v55, v7, v51 dst_sel:DWORD dst_unused:UNUSED_PAD src0_sel:WORD_0 src1_sel:DWORD
	v_pk_fma_f16 v5, v3, v61, v5
	v_pk_fma_f16 v11, v4, v61, v11
	;; [unrolled: 1-line block ×4, first 2 shown]
	ds_read2_b64 v[1:4], v6 offset0:128 offset1:160
	v_mul_u32_u24_sdwa v7, v7, v51 dst_sel:DWORD dst_unused:UNUSED_PAD src0_sel:WORD_1 src1_sel:DWORD
	s_waitcnt lgkmcnt(0)
	v_pk_fma_f16 v5, v1, v55, v5
	v_pk_fma_f16 v11, v2, v55, v11
	;; [unrolled: 1-line block ×4, first 2 shown]
	v_mul_u32_u24_sdwa v7, v8, v51 dst_sel:DWORD dst_unused:UNUSED_PAD src0_sel:WORD_0 src1_sel:DWORD
	v_mul_u32_u24_sdwa v8, v8, v51 dst_sel:DWORD dst_unused:UNUSED_PAD src0_sel:WORD_1 src1_sel:DWORD
	v_mul_u32_u24_sdwa v12, v9, v51 dst_sel:DWORD dst_unused:UNUSED_PAD src0_sel:WORD_0 src1_sel:DWORD
	v_mul_u32_u24_sdwa v9, v9, v51 dst_sel:DWORD dst_unused:UNUSED_PAD src0_sel:WORD_1 src1_sel:DWORD
	v_mul_u32_u24_sdwa v54, v10, v51 dst_sel:DWORD dst_unused:UNUSED_PAD src0_sel:WORD_0 src1_sel:DWORD
	v_pk_fma_f16 v5, v3, v7, v5
	v_pk_fma_f16 v7, v4, v7, v11
	;; [unrolled: 1-line block ×4, first 2 shown]
	ds_read2_b64 v[1:4], v6 offset0:192 offset1:224
	s_waitcnt lgkmcnt(0)
	s_barrier
	buffer_gl0_inv
	s_load_dword s0, s[6:7], 0x4
	v_mul_u32_u24_sdwa v10, v10, v51 dst_sel:DWORD dst_unused:UNUSED_PAD src0_sel:WORD_1 src1_sel:DWORD
	v_pk_fma_f16 v5, v1, v12, v5
	v_pk_fma_f16 v6, v2, v12, v7
	;; [unrolled: 1-line block ×4, first 2 shown]
	s_waitcnt lgkmcnt(0)
	s_lshl_b32 s0, s0, 6
	v_pk_fma_f16 v60, v3, v54, v5
	v_pk_fma_f16 v61, v4, v54, v6
	;; [unrolled: 1-line block ×4, first 2 shown]
	v_add_f32_e32 v2, v64, v66
	v_add_f32_e32 v1, v63, v65
	s_add_i32 s8, s0, s8
	s_cmp_ge_i32 s8, s30
	v_fmac_f32_e32 v2, v53, v67
	v_fmac_f32_e32 v1, v52, v68
	s_cbranch_scc1 .LBB78_27
; %bb.26:                               ;   in Loop: Header=BB78_9 Depth=1
	v_mov_b32_e32 v9, v31
	v_mov_b32_e32 v10, v32
	;; [unrolled: 1-line block ×4, first 2 shown]
	s_branch .LBB78_9
.LBB78_27:
	v_mov_b32_e32 v5, v36
.LBB78_28:
	v_cmp_lt_i32_e32 vcc_lo, v62, v37
	s_cmp_lg_u64 s[16:17], 0
	s_cselect_b32 s0, -1, 0
	s_cmp_eq_u32 s28, 0
	v_cndmask_b32_e32 v3, v5, v62, vcc_lo
	v_cmp_lt_i32_e32 vcc_lo, v56, v37
	s_cselect_b32 s1, -1, 0
	s_and_b32 s0, s1, s0
	v_lshlrev_b32_e32 v3, 2, v3
	v_cndmask_b32_e32 v6, v5, v56, vcc_lo
	v_cmp_lt_i32_e32 vcc_lo, v57, v37
	ds_bpermute_b32 v4, v3, v2
	ds_bpermute_b32 v3, v3, v1
	v_lshlrev_b32_e32 v6, 2, v6
	s_waitcnt lgkmcnt(1)
	v_add_f32_e32 v2, v2, v4
	s_waitcnt lgkmcnt(0)
	v_add_f32_e32 v1, v1, v3
	ds_bpermute_b32 v3, v6, v2
	ds_bpermute_b32 v4, v6, v1
	v_cndmask_b32_e32 v6, v5, v57, vcc_lo
	v_cmp_lt_i32_e32 vcc_lo, v58, v37
	v_lshlrev_b32_e32 v6, 2, v6
	s_waitcnt lgkmcnt(1)
	v_add_f32_e32 v2, v2, v3
	s_waitcnt lgkmcnt(0)
	v_add_f32_e32 v1, v1, v4
	ds_bpermute_b32 v3, v6, v2
	ds_bpermute_b32 v4, v6, v1
	v_cndmask_b32_e32 v6, v5, v58, vcc_lo
	v_cmp_lt_i32_e32 vcc_lo, v59, v37
	v_lshlrev_b32_e32 v6, 2, v6
	v_cndmask_b32_e32 v5, v5, v59, vcc_lo
	s_and_b32 vcc_lo, exec_lo, s0
	v_lshlrev_b32_e32 v5, 2, v5
	s_waitcnt lgkmcnt(1)
	v_add_f32_e32 v2, v2, v3
	s_waitcnt lgkmcnt(0)
	v_add_f32_e32 v1, v1, v4
	ds_bpermute_b32 v3, v6, v2
	ds_bpermute_b32 v4, v6, v1
	s_waitcnt lgkmcnt(1)
	v_add_f32_e32 v2, v2, v3
	s_waitcnt lgkmcnt(0)
	v_add_f32_e32 v3, v1, v4
	ds_bpermute_b32 v1, v5, v2
	ds_bpermute_b32 v4, v5, v3
	s_waitcnt lgkmcnt(1)
	v_add_f32_e32 v1, v2, v1
	s_waitcnt lgkmcnt(0)
	v_add_f32_e32 v2, v3, v4
	s_cbranch_vccz .LBB78_31
; %bb.29:
	v_add_nc_u32_e32 v3, s33, v33
	v_max_f32_e32 v5, v31, v31
	v_max_f32_e32 v7, v32, v32
	v_ashrrev_i32_e32 v4, 31, v3
	v_lshlrev_b64 v[3:4], 2, v[3:4]
	v_add_co_u32 v3, vcc_lo, s16, v3
	v_add_co_ci_u32_e64 v4, null, s17, v4, vcc_lo
	global_load_dwordx2 v[3:4], v[3:4], off
	s_waitcnt vmcnt(0)
	v_max_f32_e32 v6, v3, v3
	v_max_f32_e32 v8, v4, v4
	;; [unrolled: 1-line block ×4, first 2 shown]
	v_sub_f32_e32 v7, v31, v5
	v_sub_f32_e32 v8, v32, v6
	;; [unrolled: 1-line block ×4, first 2 shown]
	v_mov_b32_e32 v32, v6
	v_mul_f32_e32 v9, 0x3fb8aa3b, v7
	v_mul_f32_e32 v11, 0x3fb8aa3b, v8
	;; [unrolled: 1-line block ×4, first 2 shown]
	v_cmp_ngt_f32_e32 vcc_lo, 0xc2ce8ed0, v7
	v_fma_f32 v14, 0x3fb8aa3b, v7, -v9
	v_rndne_f32_e32 v15, v9
	v_fma_f32 v18, 0x3fb8aa3b, v8, -v11
	v_rndne_f32_e32 v19, v11
	v_fma_f32 v16, 0x3fb8aa3b, v3, -v10
	v_fmac_f32_e32 v14, 0x32a5705f, v7
	v_sub_f32_e32 v9, v9, v15
	v_rndne_f32_e32 v17, v10
	v_fmac_f32_e32 v18, 0x32a5705f, v8
	v_sub_f32_e32 v11, v11, v19
	v_fmac_f32_e32 v16, 0x32a5705f, v3
	v_add_f32_e32 v9, v9, v14
	v_sub_f32_e32 v10, v10, v17
	v_cvt_i32_f32_e32 v14, v15
	v_add_f32_e32 v11, v11, v18
	v_fma_f32 v20, 0x3fb8aa3b, v4, -v12
	v_exp_f32_e32 v9, v9
	v_add_f32_e32 v10, v10, v16
	v_rndne_f32_e32 v21, v12
	v_exp_f32_e32 v11, v11
	v_cvt_i32_f32_e32 v16, v19
	v_fmac_f32_e32 v20, 0x32a5705f, v4
	v_exp_f32_e32 v10, v10
	v_sub_f32_e32 v12, v12, v21
	v_cvt_i32_f32_e32 v15, v17
	v_cvt_i32_f32_e32 v17, v21
	v_ldexp_f32 v9, v9, v14
	v_mov_b32_e32 v18, 0x10001
	v_add_f32_e32 v12, v12, v20
	v_ldexp_f32 v11, v11, v16
	v_mov_b32_e32 v31, v5
	v_cndmask_b32_e32 v9, 0, v9, vcc_lo
	v_cmp_ngt_f32_e32 vcc_lo, 0xc2ce8ed0, v8
	v_ldexp_f32 v10, v10, v15
	v_exp_f32_e32 v12, v12
	v_cndmask_b32_e32 v11, 0, v11, vcc_lo
	v_cmp_ngt_f32_e32 vcc_lo, 0xc2ce8ed0, v3
	v_cndmask_b32_e32 v10, 0, v10, vcc_lo
	v_cmp_nlt_f32_e32 vcc_lo, 0x42b17218, v7
	v_ldexp_f32 v12, v12, v17
	v_cndmask_b32_e32 v7, 0x7f800000, v9, vcc_lo
	v_cmp_nlt_f32_e32 vcc_lo, 0x42b17218, v8
	v_cndmask_b32_e32 v8, 0x7f800000, v11, vcc_lo
	v_cmp_ngt_f32_e32 vcc_lo, 0xc2ce8ed0, v4
	v_cvt_f16_f32_e32 v11, v8
	v_cndmask_b32_e32 v9, 0, v12, vcc_lo
	v_cmp_nlt_f32_e32 vcc_lo, 0x42b17218, v3
	v_mul_u32_u24_sdwa v5, v11, v18 dst_sel:DWORD dst_unused:UNUSED_PAD src0_sel:WORD_0 src1_sel:DWORD
	v_cndmask_b32_e32 v3, 0x7f800000, v10, vcc_lo
	v_cmp_nlt_f32_e32 vcc_lo, 0x42b17218, v4
	v_cvt_f16_f32_e32 v10, v7
	v_pk_mul_f16 v55, v55, v5
	v_pk_mul_f16 v54, v54, v5
	v_fmac_f32_e32 v3, v1, v7
	v_cndmask_b32_e32 v4, 0x7f800000, v9, vcc_lo
	v_mul_u32_u24_sdwa v7, v10, v18 dst_sel:DWORD dst_unused:UNUSED_PAD src0_sel:WORD_0 src1_sel:DWORD
	v_mov_b32_e32 v1, v3
	v_fmac_f32_e32 v4, v2, v8
	v_pk_mul_f16 v60, v60, v7
	v_pk_mul_f16 v61, v61, v7
	v_mov_b32_e32 v2, v4
	s_mov_b32 s0, exec_lo
	v_cmpx_gt_i32_e64 s2, v13
	s_cbranch_execnz .LBB78_32
.LBB78_30:
	s_endpgm
.LBB78_31:
	v_mov_b32_e32 v4, v2
	v_mov_b32_e32 v3, v1
	s_mov_b32 s0, exec_lo
	v_cmpx_gt_i32_e64 s2, v13
	s_cbranch_execz .LBB78_30
.LBB78_32:
	s_load_dword s1, s[4:5], 0xd4
	v_mov_b32_e32 v7, 1.0
	s_waitcnt lgkmcnt(0)
	s_cmp_lg_u32 s1, 1
	s_cselect_b32 s5, -1, 0
	s_cmp_eq_u32 s1, 1
	s_cselect_b32 s4, -1, 0
	s_and_b32 vcc_lo, exec_lo, s5
	s_cbranch_vccnz .LBB78_34
; %bb.33:
	v_div_scale_f32 v5, null, v1, v1, 1.0
	v_rcp_f32_e32 v6, v5
	v_fma_f32 v7, -v5, v6, 1.0
	v_fmac_f32_e32 v6, v7, v6
	v_div_scale_f32 v7, vcc_lo, 1.0, v1, 1.0
	v_mul_f32_e32 v8, v7, v6
	v_fma_f32 v9, -v5, v8, v7
	v_fmac_f32_e32 v8, v9, v6
	v_fma_f32 v5, -v5, v8, v7
	v_div_fmas_f32 v5, v5, v6, v8
	v_div_fixup_f32 v7, v5, v1, 1.0
.LBB78_34:
	v_mad_u64_u32 v[5:6], null, s29, s2, v[13:14]
	v_cmp_eq_u32_e32 vcc_lo, 0, v0
	v_cvt_f32_f16_sdwa v9, v60 dst_sel:DWORD dst_unused:UNUSED_PAD src0_sel:WORD_1
	v_cvt_f32_f16_e32 v10, v61
	v_cvt_f32_f16_sdwa v11, v61 dst_sel:DWORD dst_unused:UNUSED_PAD src0_sel:WORD_1
	v_mul_f32_e32 v9, v7, v9
	v_mul_lo_u32 v1, v5, s3
	v_mul_f32_e32 v10, v7, v10
	v_mul_f32_e32 v11, v7, v11
	v_add3_u32 v1, s33, v33, v1
	v_mad_u64_u32 v[5:6], null, s1, v1, s[28:29]
	v_mov_b32_e32 v1, 0
	v_cvt_f32_f16_e32 v6, v60
	v_mul_f32_e32 v8, v7, v6
	v_lshl_add_u32 v0, v5, 7, v34
	v_lshlrev_b64 v[0:1], 2, v[0:1]
	v_add_co_u32 v0, s0, s20, v0
	v_add_co_ci_u32_e64 v1, null, s21, v1, s0
	s_and_b32 s0, vcc_lo, s5
	global_store_dwordx4 v[0:1], v[8:11], off
	s_and_saveexec_b32 s2, s0
	s_cbranch_execz .LBB78_36
; %bb.35:
	v_ashrrev_i32_e32 v6, 31, v5
	v_mov_b32_e32 v7, v3
	v_lshlrev_b64 v[0:1], 3, v[5:6]
	v_mov_b32_e32 v6, v31
	v_add_co_u32 v0, vcc_lo, s22, v0
	v_add_co_ci_u32_e64 v1, null, s23, v1, vcc_lo
	global_store_dwordx2 v[0:1], v[6:7], off
.LBB78_36:
	s_or_b32 exec_lo, exec_lo, s2
	v_mov_b32_e32 v1, 1.0
	s_andn2_b32 vcc_lo, exec_lo, s4
	s_cbranch_vccnz .LBB78_38
; %bb.37:
	v_div_scale_f32 v0, null, v2, v2, 1.0
	v_rcp_f32_e32 v1, v0
	v_fma_f32 v3, -v0, v1, 1.0
	v_fmac_f32_e32 v1, v3, v1
	v_div_scale_f32 v3, vcc_lo, 1.0, v2, 1.0
	v_mul_f32_e32 v6, v3, v1
	v_fma_f32 v7, -v0, v6, v3
	v_fmac_f32_e32 v6, v7, v1
	v_fma_f32 v0, -v0, v6, v3
	v_div_fmas_f32 v0, v0, v1, v6
	v_div_fixup_f32 v1, v0, v2, 1.0
.LBB78_38:
	v_add_nc_u32_e32 v0, s1, v5
	v_mov_b32_e32 v3, 0
	v_cvt_f32_f16_e32 v5, v55
	v_cvt_f32_f16_sdwa v6, v55 dst_sel:DWORD dst_unused:UNUSED_PAD src0_sel:WORD_1
	v_cvt_f32_f16_e32 v7, v54
	v_lshl_add_u32 v2, v0, 7, v34
	v_cvt_f32_f16_sdwa v8, v54 dst_sel:DWORD dst_unused:UNUSED_PAD src0_sel:WORD_1
	v_mul_f32_e32 v5, v1, v5
	v_mul_f32_e32 v6, v1, v6
	;; [unrolled: 1-line block ×3, first 2 shown]
	v_lshlrev_b64 v[2:3], 2, v[2:3]
	v_mul_f32_e32 v8, v1, v8
	v_add_co_u32 v1, vcc_lo, s20, v2
	v_add_co_ci_u32_e64 v2, null, s21, v3, vcc_lo
	global_store_dwordx4 v[1:2], v[5:8], off
	s_and_b32 exec_lo, exec_lo, s0
	s_cbranch_execz .LBB78_30
; %bb.39:
	v_ashrrev_i32_e32 v1, 31, v0
	v_mov_b32_e32 v3, v32
	v_lshlrev_b64 v[0:1], 3, v[0:1]
	v_add_co_u32 v0, vcc_lo, s22, v0
	v_add_co_ci_u32_e64 v1, null, s23, v1, vcc_lo
	global_store_dwordx2 v[0:1], v[3:4], off
	s_endpgm
	.section	.rodata,"a",@progbits
	.p2align	6, 0x0
	.amdhsa_kernel _ZL15flash_attn_tileILi128ELi128ELi2ELi4ELb1EEvPKcS1_S1_S1_S1_PKiPfP15HIP_vector_typeIfLj2EEffffjfiS5_IjLj3EEiiiiiiiiiiiliiliiiiil
		.amdhsa_group_segment_fixed_size 12288
		.amdhsa_private_segment_fixed_size 0
		.amdhsa_kernarg_size 464
		.amdhsa_user_sgpr_count 6
		.amdhsa_user_sgpr_private_segment_buffer 1
		.amdhsa_user_sgpr_dispatch_ptr 0
		.amdhsa_user_sgpr_queue_ptr 0
		.amdhsa_user_sgpr_kernarg_segment_ptr 1
		.amdhsa_user_sgpr_dispatch_id 0
		.amdhsa_user_sgpr_flat_scratch_init 0
		.amdhsa_user_sgpr_private_segment_size 0
		.amdhsa_wavefront_size32 1
		.amdhsa_uses_dynamic_stack 0
		.amdhsa_system_sgpr_private_segment_wavefront_offset 0
		.amdhsa_system_sgpr_workgroup_id_x 1
		.amdhsa_system_sgpr_workgroup_id_y 1
		.amdhsa_system_sgpr_workgroup_id_z 1
		.amdhsa_system_sgpr_workgroup_info 0
		.amdhsa_system_vgpr_workitem_id 1
		.amdhsa_next_free_vgpr 81
		.amdhsa_next_free_sgpr 40
		.amdhsa_reserve_vcc 1
		.amdhsa_reserve_flat_scratch 0
		.amdhsa_float_round_mode_32 0
		.amdhsa_float_round_mode_16_64 0
		.amdhsa_float_denorm_mode_32 3
		.amdhsa_float_denorm_mode_16_64 3
		.amdhsa_dx10_clamp 1
		.amdhsa_ieee_mode 1
		.amdhsa_fp16_overflow 0
		.amdhsa_workgroup_processor_mode 1
		.amdhsa_memory_ordered 1
		.amdhsa_forward_progress 1
		.amdhsa_shared_vgpr_count 0
		.amdhsa_exception_fp_ieee_invalid_op 0
		.amdhsa_exception_fp_denorm_src 0
		.amdhsa_exception_fp_ieee_div_zero 0
		.amdhsa_exception_fp_ieee_overflow 0
		.amdhsa_exception_fp_ieee_underflow 0
		.amdhsa_exception_fp_ieee_inexact 0
		.amdhsa_exception_int_div_zero 0
	.end_amdhsa_kernel
	.section	.text._ZL15flash_attn_tileILi128ELi128ELi2ELi4ELb1EEvPKcS1_S1_S1_S1_PKiPfP15HIP_vector_typeIfLj2EEffffjfiS5_IjLj3EEiiiiiiiiiiiliiliiiiil,"axG",@progbits,_ZL15flash_attn_tileILi128ELi128ELi2ELi4ELb1EEvPKcS1_S1_S1_S1_PKiPfP15HIP_vector_typeIfLj2EEffffjfiS5_IjLj3EEiiiiiiiiiiiliiliiiiil,comdat
.Lfunc_end78:
	.size	_ZL15flash_attn_tileILi128ELi128ELi2ELi4ELb1EEvPKcS1_S1_S1_S1_PKiPfP15HIP_vector_typeIfLj2EEffffjfiS5_IjLj3EEiiiiiiiiiiiliiliiiiil, .Lfunc_end78-_ZL15flash_attn_tileILi128ELi128ELi2ELi4ELb1EEvPKcS1_S1_S1_S1_PKiPfP15HIP_vector_typeIfLj2EEffffjfiS5_IjLj3EEiiiiiiiiiiiliiliiiiil
                                        ; -- End function
	.set _ZL15flash_attn_tileILi128ELi128ELi2ELi4ELb1EEvPKcS1_S1_S1_S1_PKiPfP15HIP_vector_typeIfLj2EEffffjfiS5_IjLj3EEiiiiiiiiiiiliiliiiiil.num_vgpr, 74
	.set _ZL15flash_attn_tileILi128ELi128ELi2ELi4ELb1EEvPKcS1_S1_S1_S1_PKiPfP15HIP_vector_typeIfLj2EEffffjfiS5_IjLj3EEiiiiiiiiiiiliiliiiiil.num_agpr, 0
	.set _ZL15flash_attn_tileILi128ELi128ELi2ELi4ELb1EEvPKcS1_S1_S1_S1_PKiPfP15HIP_vector_typeIfLj2EEffffjfiS5_IjLj3EEiiiiiiiiiiiliiliiiiil.numbered_sgpr, 40
	.set _ZL15flash_attn_tileILi128ELi128ELi2ELi4ELb1EEvPKcS1_S1_S1_S1_PKiPfP15HIP_vector_typeIfLj2EEffffjfiS5_IjLj3EEiiiiiiiiiiiliiliiiiil.num_named_barrier, 0
	.set _ZL15flash_attn_tileILi128ELi128ELi2ELi4ELb1EEvPKcS1_S1_S1_S1_PKiPfP15HIP_vector_typeIfLj2EEffffjfiS5_IjLj3EEiiiiiiiiiiiliiliiiiil.private_seg_size, 0
	.set _ZL15flash_attn_tileILi128ELi128ELi2ELi4ELb1EEvPKcS1_S1_S1_S1_PKiPfP15HIP_vector_typeIfLj2EEffffjfiS5_IjLj3EEiiiiiiiiiiiliiliiiiil.uses_vcc, 1
	.set _ZL15flash_attn_tileILi128ELi128ELi2ELi4ELb1EEvPKcS1_S1_S1_S1_PKiPfP15HIP_vector_typeIfLj2EEffffjfiS5_IjLj3EEiiiiiiiiiiiliiliiiiil.uses_flat_scratch, 0
	.set _ZL15flash_attn_tileILi128ELi128ELi2ELi4ELb1EEvPKcS1_S1_S1_S1_PKiPfP15HIP_vector_typeIfLj2EEffffjfiS5_IjLj3EEiiiiiiiiiiiliiliiiiil.has_dyn_sized_stack, 0
	.set _ZL15flash_attn_tileILi128ELi128ELi2ELi4ELb1EEvPKcS1_S1_S1_S1_PKiPfP15HIP_vector_typeIfLj2EEffffjfiS5_IjLj3EEiiiiiiiiiiiliiliiiiil.has_recursion, 0
	.set _ZL15flash_attn_tileILi128ELi128ELi2ELi4ELb1EEvPKcS1_S1_S1_S1_PKiPfP15HIP_vector_typeIfLj2EEffffjfiS5_IjLj3EEiiiiiiiiiiiliiliiiiil.has_indirect_call, 0
	.section	.AMDGPU.csdata,"",@progbits
; Kernel info:
; codeLenInByte = 15424
; TotalNumSgprs: 42
; NumVgprs: 74
; ScratchSize: 0
; MemoryBound: 0
; FloatMode: 240
; IeeeMode: 1
; LDSByteSize: 12288 bytes/workgroup (compile time only)
; SGPRBlocks: 0
; VGPRBlocks: 10
; NumSGPRsForWavesPerEU: 42
; NumVGPRsForWavesPerEU: 81
; Occupancy: 10
; WaveLimiterHint : 1
; COMPUTE_PGM_RSRC2:SCRATCH_EN: 0
; COMPUTE_PGM_RSRC2:USER_SGPR: 6
; COMPUTE_PGM_RSRC2:TRAP_HANDLER: 0
; COMPUTE_PGM_RSRC2:TGID_X_EN: 1
; COMPUTE_PGM_RSRC2:TGID_Y_EN: 1
; COMPUTE_PGM_RSRC2:TGID_Z_EN: 1
; COMPUTE_PGM_RSRC2:TIDIG_COMP_CNT: 1
	.section	.text._ZL15flash_attn_tileILi128ELi128ELi1ELi4ELb1EEvPKcS1_S1_S1_S1_PKiPfP15HIP_vector_typeIfLj2EEffffjfiS5_IjLj3EEiiiiiiiiiiiliiliiiiil,"axG",@progbits,_ZL15flash_attn_tileILi128ELi128ELi1ELi4ELb1EEvPKcS1_S1_S1_S1_PKiPfP15HIP_vector_typeIfLj2EEffffjfiS5_IjLj3EEiiiiiiiiiiiliiliiiiil,comdat
	.globl	_ZL15flash_attn_tileILi128ELi128ELi1ELi4ELb1EEvPKcS1_S1_S1_S1_PKiPfP15HIP_vector_typeIfLj2EEffffjfiS5_IjLj3EEiiiiiiiiiiiliiliiiiil ; -- Begin function _ZL15flash_attn_tileILi128ELi128ELi1ELi4ELb1EEvPKcS1_S1_S1_S1_PKiPfP15HIP_vector_typeIfLj2EEffffjfiS5_IjLj3EEiiiiiiiiiiiliiliiiiil
	.p2align	8
	.type	_ZL15flash_attn_tileILi128ELi128ELi1ELi4ELb1EEvPKcS1_S1_S1_S1_PKiPfP15HIP_vector_typeIfLj2EEffffjfiS5_IjLj3EEiiiiiiiiiiiliiliiiiil,@function
_ZL15flash_attn_tileILi128ELi128ELi1ELi4ELb1EEvPKcS1_S1_S1_S1_PKiPfP15HIP_vector_typeIfLj2EEffffjfiS5_IjLj3EEiiiiiiiiiiiliiliiiiil: ; @_ZL15flash_attn_tileILi128ELi128ELi1ELi4ELb1EEvPKcS1_S1_S1_S1_PKiPfP15HIP_vector_typeIfLj2EEffffjfiS5_IjLj3EEiiiiiiiiiiiliiliiiiil
; %bb.0:
	s_clause 0x1
	s_load_dwordx4 s[0:3], s[4:5], 0x5c
	s_load_dwordx2 s[30:31], s[4:5], 0x80
	s_mov_b32 s28, s7
	s_mov_b64 s[34:35], 0
	s_waitcnt lgkmcnt(0)
	s_ashr_i32 s7, s3, 31
	s_lshr_b32 s7, s7, 30
	s_add_i32 s7, s3, s7
	s_ashr_i32 s7, s7, 2
	v_cvt_f32_u32_e32 v2, s7
	s_sub_i32 s10, 0, s7
	v_rcp_iflag_f32_e32 v2, v2
	v_mul_f32_e32 v2, 0x4f7ffffe, v2
	v_cvt_u32_f32_e32 v2, v2
	v_readfirstlane_b32 s9, v2
	s_mul_i32 s10, s10, s9
	s_mul_hi_u32 s10, s9, s10
	s_add_i32 s9, s9, s10
	s_mul_hi_u32 s9, s8, s9
	s_mul_i32 s10, s9, s7
	s_add_i32 s11, s9, 1
	s_sub_i32 s10, s8, s10
	s_sub_i32 s12, s10, s7
	s_cmp_ge_u32 s10, s7
	s_cselect_b32 s9, s11, s9
	s_cselect_b32 s10, s12, s10
	s_add_i32 s11, s9, 1
	s_cmp_ge_u32 s10, s7
	s_cselect_b32 s7, s11, s9
	s_abs_i32 s9, s31
	s_lshl_b32 s8, s8, 2
	v_cvt_f32_u32_e32 v2, s9
	s_sub_i32 s11, 0, s9
	s_mul_i32 s12, s7, s3
	s_abs_i32 s13, s3
	s_sub_i32 s29, s8, s12
	v_rcp_iflag_f32_e32 v2, v2
	v_mul_f32_e32 v2, 0x4f7ffffe, v2
	v_cvt_u32_f32_e32 v2, v2
	v_readfirstlane_b32 s10, v2
	s_mul_i32 s11, s11, s10
	s_mul_hi_u32 s11, s10, s11
	s_add_i32 s10, s10, s11
	s_mul_hi_u32 s8, s13, s10
	s_xor_b32 s10, s3, s31
	s_mul_i32 s11, s8, s9
	s_ashr_i32 s10, s10, 31
	s_sub_i32 s11, s13, s11
	s_add_i32 s12, s8, 1
	s_sub_i32 s13, s11, s9
	s_cmp_ge_u32 s11, s9
	s_cselect_b32 s8, s12, s8
	s_cselect_b32 s11, s13, s11
	s_add_i32 s12, s8, 1
	s_cmp_ge_u32 s11, s9
	s_cselect_b32 s8, s12, s8
	s_xor_b32 s8, s8, s10
	s_sub_i32 s33, s8, s10
	s_clause 0x1
	s_load_dwordx16 s[8:23], s[4:5], 0x0
	s_load_dwordx2 s[36:37], s[4:5], 0xb8
	s_abs_i32 s31, s33
	v_cvt_f32_u32_e32 v2, s31
	v_rcp_iflag_f32_e32 v2, v2
	v_mul_f32_e32 v2, 0x4f7ffffe, v2
	s_waitcnt lgkmcnt(0)
	s_cmp_eq_u64 s[14:15], 0
	v_cvt_u32_f32_e32 v2, v2
	v_readfirstlane_b32 s38, v2
	s_cbranch_scc1 .LBB79_2
; %bb.1:
	s_abs_i32 s26, s36
	s_abs_i32 s27, s7
	v_cvt_f32_u32_e32 v2, s26
	s_sub_i32 s25, 0, s26
	v_rcp_iflag_f32_e32 v2, v2
	v_mul_f32_e32 v2, 0x4f7ffffe, v2
	v_cvt_u32_f32_e32 v2, v2
	v_readfirstlane_b32 s24, v2
	s_mul_i32 s25, s25, s24
	s_mul_hi_u32 s25, s24, s25
	s_add_i32 s24, s24, s25
	s_mul_hi_u32 s34, s27, s24
	s_load_dwordx2 s[24:25], s[4:5], 0xc8
	s_mul_i32 s34, s34, s26
	s_sub_i32 s27, s27, s34
	s_ashr_i32 s34, s7, 31
	s_sub_i32 s35, s27, s26
	s_cmp_ge_u32 s27, s26
	s_cselect_b32 s27, s35, s27
	s_sub_i32 s35, s27, s26
	s_cmp_ge_u32 s27, s26
	s_cselect_b32 s26, s35, s27
	s_xor_b32 s26, s26, s34
	s_sub_i32 s26, s26, s34
	s_ashr_i32 s27, s26, 31
	s_waitcnt lgkmcnt(0)
	s_mul_hi_u32 s34, s24, s26
	s_mul_i32 s27, s24, s27
	s_mul_i32 s25, s25, s26
	s_add_i32 s27, s34, s27
	s_mul_i32 s24, s24, s26
	s_add_i32 s27, s27, s25
	s_add_u32 s34, s14, s24
	s_addc_u32 s35, s15, s27
.LBB79_2:
	v_lshrrev_b32_e32 v2, 2, v1
	s_load_dwordx4 s[24:27], s[4:5], 0x70
	v_and_b32_e32 v36, 3, v1
	v_lshlrev_b32_e32 v38, 3, v0
	v_lshl_add_u32 v39, v1, 8, 0x2400
	v_add_nc_u32_e32 v17, s6, v2
	v_mul_hi_u32 v2, s0, v17
	v_add_nc_u32_e32 v2, v17, v2
	s_waitcnt lgkmcnt(0)
	s_mul_i32 s14, s7, s26
	s_mov_b32 s0, s25
	v_lshrrev_b32_e32 v2, s1, v2
	s_mul_i32 s1, s29, s25
	s_ashr_i32 s15, s14, 31
	s_add_u32 s8, s8, s14
	s_addc_u32 s9, s9, s15
	v_mul_lo_u32 v2, v2, s2
	s_ashr_i32 s14, s1, 31
	s_add_u32 s15, s8, s1
	s_addc_u32 s14, s9, s14
	s_ashr_i32 s1, s25, 31
	s_ashr_i32 s25, s24, 31
	s_lshr_b64 s[8:9], s[0:1], 2
	s_lshr_b32 s0, s1, 2
	v_sub_nc_u32_e32 v2, v17, v2
	v_mad_u64_u32 v[3:4], null, s8, v36, 0
	s_lshr_b64 s[8:9], s[24:25], 2
	v_mad_u64_u32 v[5:6], null, s8, v2, 0
	v_mad_u64_u32 v[7:8], null, s0, v36, v[4:5]
	s_lshr_b32 s0, s25, 2
	s_cmp_eq_u64 s[18:19], 0
	v_mad_u64_u32 v[8:9], null, s0, v2, v[6:7]
	v_mov_b32_e32 v4, v7
	v_lshlrev_b32_e32 v7, 4, v0
	s_load_dword s0, s[4:5], 0x40
	v_lshlrev_b64 v[3:4], 2, v[3:4]
	v_mov_b32_e32 v6, v8
	v_add_co_u32 v3, vcc_lo, s15, v3
	v_lshlrev_b64 v[5:6], 2, v[5:6]
	v_add_co_ci_u32_e64 v4, null, s14, v4, vcc_lo
	v_add_co_u32 v3, vcc_lo, v3, v5
	v_add_co_ci_u32_e64 v4, null, v4, v6, vcc_lo
	v_add_co_u32 v3, vcc_lo, v3, v7
	v_add_co_ci_u32_e64 v4, null, 0, v4, vcc_lo
	v_add_nc_u32_e32 v7, v39, v38
	global_load_dwordx4 v[3:6], v[3:4], off
	s_waitcnt vmcnt(0) lgkmcnt(0)
	v_fma_mixlo_f16 v4, s0, v4, 0
	v_fma_mixlo_f16 v3, s0, v3, 0
	;; [unrolled: 1-line block ×4, first 2 shown]
	v_lshlrev_b32_e32 v4, 16, v4
	v_and_b32_e32 v3, 0xffff, v3
	v_and_b32_e32 v5, 0xffff, v5
	v_lshlrev_b32_e32 v6, 16, v6
	v_or_b32_e32 v3, v4, v3
	v_or3_b32 v4, v6, v5, 0
	v_or3_b32 v3, 0, 0, v3
	ds_write_b64 v7, v[3:4]
	s_waitcnt lgkmcnt(0)
	s_barrier
	buffer_gl0_inv
	s_cbranch_scc1 .LBB79_4
; %bb.3:
	s_load_dword s0, s[4:5], 0xd0
	s_mov_b32 s1, 0
	s_waitcnt lgkmcnt(0)
	s_mul_i32 s0, s0, s7
	s_add_i32 s0, s0, s6
	s_lshl_b64 s[0:1], s[0:1], 2
	s_add_u32 s0, s18, s0
	s_addc_u32 s1, s19, s1
	s_load_dword s30, s[0:1], 0x0
.LBB79_4:
	v_mbcnt_lo_u32_b32 v40, -1, 0
	s_lshl_b32 s6, s28, 6
	s_waitcnt lgkmcnt(0)
	s_cmp_lt_i32 s6, s30
	s_cbranch_scc1 .LBB79_7
; %bb.5:
	v_mbcnt_lo_u32_b32 v4, -1, 0
	v_mov_b32_e32 v3, 32
	v_xor_b32_e32 v60, 16, v4
	v_xor_b32_e32 v59, 8, v4
	;; [unrolled: 1-line block ×5, first 2 shown]
	v_lshlrev_b32_e32 v37, 2, v0
	s_cbranch_execz .LBB79_8
; %bb.6:
	v_mov_b32_e32 v57, 0
	v_mov_b32_e32 v2, 0
	;; [unrolled: 1-line block ×4, first 2 shown]
	s_branch .LBB79_20
.LBB79_7:
                                        ; implicit-def: $vgpr4
                                        ; implicit-def: $vgpr3
                                        ; implicit-def: $vgpr60
                                        ; implicit-def: $vgpr59
                                        ; implicit-def: $vgpr61
                                        ; implicit-def: $vgpr62
                                        ; implicit-def: $vgpr63
	v_lshlrev_b32_e32 v37, 2, v0
.LBB79_8:
	s_clause 0x1
	s_load_dwordx4 s[24:27], s[4:5], 0x98
	s_load_dwordx2 s[0:1], s[4:5], 0x8c
	s_sub_i32 s8, 0, s31
	s_abs_i32 s14, s29
	s_mul_i32 s8, s8, s38
	s_ashr_i32 s36, s37, 1
	s_mul_hi_u32 s8, s38, s8
	s_ashr_i32 s15, s29, 31
	s_add_i32 s38, s38, s8
	s_ashr_i32 s33, s33, 31
	s_mul_hi_u32 s37, s14, s38
	s_ashr_i32 s38, s7, 31
	s_load_dwordx2 s[18:19], s[4:5], 0xa8
	s_mul_i32 s39, s37, s31
	v_lshrrev_b32_e32 v3, 3, v0
	v_and_b32_e32 v21, 28, v37
	v_lshrrev_b32_e32 v6, 4, v0
	v_and_b32_e32 v29, 60, v37
	v_lshl_add_u32 v46, v1, 7, 0x2800
	v_lshl_add_u32 v4, v1, 2, v3
	s_waitcnt lgkmcnt(0)
	s_ashr_i32 s8, s26, 2
	s_ashr_i32 s9, s0, 2
	s_mul_hi_u32 s0, s24, s7
	s_mul_i32 s26, s24, s38
	s_mul_i32 s25, s25, s7
	s_add_i32 s0, s0, s26
	s_mul_i32 s24, s24, s7
	s_add_i32 s0, s0, s25
	s_add_u32 s24, s10, s24
	s_addc_u32 s0, s11, s0
	s_sub_i32 s10, s14, s39
	s_xor_b32 s11, s15, s33
	s_add_i32 s14, s37, 1
	s_sub_i32 s15, s10, s31
	s_cmp_ge_u32 s10, s31
	v_mul_lo_u32 v3, s9, v4
	s_cselect_b32 s14, s14, s37
	s_cselect_b32 s10, s15, s10
	s_add_i32 s15, s14, 1
	s_cmp_ge_u32 s10, s31
	s_load_dword s10, s[4:5], 0x54
	s_cselect_b32 s14, s15, s14
	s_mul_hi_u32 s15, s18, s7
	s_xor_b32 s14, s14, s11
	s_mul_i32 s26, s18, s38
	s_sub_i32 s25, s14, s11
	s_mul_i32 s19, s19, s7
	s_mul_i32 s1, s25, s1
	;; [unrolled: 1-line block ×3, first 2 shown]
	s_ashr_i32 s14, s1, 31
	s_add_u32 s11, s24, s1
	s_addc_u32 s14, s0, s14
	s_add_i32 s0, s15, s26
	s_mul_i32 s1, s18, s7
	s_add_i32 s0, s0, s19
	s_add_u32 s1, s12, s1
	v_lshlrev_b32_e32 v5, 2, v21
	s_addc_u32 s0, s13, s0
	s_ashr_i32 s13, s25, 31
	s_add_u32 s12, s1, s25
	s_addc_u32 s13, s0, s13
	s_lshl_b32 s0, s9, 4
	v_lshl_add_u32 v10, v1, 1, v6
	v_mad_u32_u24 v41, 0x90, v4, v5
	v_add_nc_u32_e32 v5, s0, v3
	v_lshlrev_b32_e32 v14, 2, v29
	v_ashrrev_i32_e32 v4, 31, v3
	v_mul_lo_u32 v9, s8, v10
	v_lshlrev_b32_e32 v52, 2, v21
	v_add_nc_u32_e32 v7, s0, v5
	v_ashrrev_i32_e32 v6, 31, v5
	v_lshl_or_b32 v47, v10, 8, v14
	v_lshlrev_b32_e32 v53, 2, v29
	v_mov_b32_e32 v56, 0
	v_add_nc_u32_e32 v11, s0, v7
	s_lshl_b32 s0, s8, 3
	v_ashrrev_i32_e32 v8, 31, v7
	v_add_nc_u32_e32 v13, s0, v9
	v_ashrrev_i32_e32 v10, 31, v9
	v_ashrrev_i32_e32 v12, 31, v11
	v_lshlrev_b64 v[21:22], 2, v[5:6]
	v_lshlrev_b64 v[23:24], 2, v[7:8]
	v_add_nc_u32_e32 v1, s0, v13
	v_ashrrev_i32_e32 v14, 31, v13
	v_lshlrev_b64 v[25:26], 2, v[11:12]
	v_lshlrev_b64 v[27:28], 2, v[9:10]
	v_add_nc_u32_e32 v42, 0x900, v41
	v_add_nc_u32_e32 v15, s0, v1
	v_mad_u64_u32 v[18:19], null, v2, s36, v[0:1]
	v_ashrrev_i32_e32 v2, 31, v1
	v_lshlrev_b64 v[19:20], 2, v[3:4]
	v_ashrrev_i32_e32 v16, 31, v15
	v_lshlrev_b64 v[29:30], 2, v[13:14]
	v_add_nc_u32_e32 v43, 0x1200, v41
	v_lshlrev_b64 v[31:32], 2, v[1:2]
	v_add_nc_u32_e32 v44, 0x1b00, v41
	v_lshlrev_b64 v[33:34], 2, v[15:16]
	v_mul_u32_u24_e32 v45, 0x90, v0
	v_lshl_add_u32 v48, v0, 1, v46
	v_add_nc_u32_e32 v49, 0x800, v47
	v_add_nc_u32_e32 v50, 0x1000, v47
	;; [unrolled: 1-line block ×3, first 2 shown]
	v_mov_b32_e32 v58, 0xfeffffff
	v_mov_b32_e32 v54, 0x10001
	;; [unrolled: 1-line block ×4, first 2 shown]
	s_add_u32 s0, s4, 0xd0
	s_addc_u32 s1, s5, 0
	s_mov_b32 s15, 0xbbbac73d
.LBB79_9:                               ; =>This Inner Loop Header: Depth=1
	s_mul_hi_i32 s19, s6, s9
	s_mul_i32 s18, s6, s9
	v_mov_b32_e32 v35, 0
	s_lshl_b64 s[18:19], s[18:19], 2
	s_add_u32 s18, s11, s18
	s_addc_u32 s19, s14, s19
	v_add_co_u32 v1, vcc_lo, s18, v19
	v_add_co_ci_u32_e64 v2, null, s19, v20, vcc_lo
	v_add_co_u32 v3, vcc_lo, s18, v21
	v_add_co_ci_u32_e64 v4, null, s19, v22, vcc_lo
	;; [unrolled: 2-line block ×8, first 2 shown]
	s_clause 0x3
	global_load_dwordx4 v[9:12], v[1:2], off
	global_load_dwordx4 v[13:16], v[3:4], off
	;; [unrolled: 1-line block ×4, first 2 shown]
	s_waitcnt vmcnt(3)
	ds_write_b128 v41, v[9:12]
	s_waitcnt vmcnt(2)
	ds_write_b128 v42, v[13:16]
	;; [unrolled: 2-line block ×4, first 2 shown]
	s_waitcnt lgkmcnt(0)
	s_barrier
	buffer_gl0_inv
	ds_read_b128 v[9:12], v45
	ds_read_b128 v[13:16], v39
	ds_read_b128 v[60:63], v45 offset:4608
	v_mov_b32_e32 v59, 0
	s_waitcnt lgkmcnt(1)
	;;#ASMSTART
	v_dot2_f32_f16 v35, v9, v13, v35
	;;#ASMEND
	;;#ASMSTART
	v_dot2_f32_f16 v35, v10, v14, v35
	;;#ASMEND
	;;#ASMSTART
	v_dot2_f32_f16 v35, v11, v15, v35
	;;#ASMEND
	;;#ASMSTART
	v_dot2_f32_f16 v35, v12, v16, v35
	;;#ASMEND
	s_waitcnt lgkmcnt(0)
	;;#ASMSTART
	v_dot2_f32_f16 v59, v60, v13, v59
	;;#ASMEND
	;;#ASMSTART
	v_dot2_f32_f16 v59, v61, v14, v59
	;;#ASMEND
	;;#ASMSTART
	v_dot2_f32_f16 v59, v62, v15, v59
	;;#ASMEND
	;;#ASMSTART
	v_dot2_f32_f16 v59, v63, v16, v59
	;;#ASMEND
	ds_read_b128 v[9:12], v45 offset:16
	ds_read_b128 v[13:16], v39 offset:16
	ds_read_b128 v[60:63], v45 offset:4624
	s_waitcnt lgkmcnt(1)
	;;#ASMSTART
	v_dot2_f32_f16 v35, v9, v13, v35
	;;#ASMEND
	;;#ASMSTART
	v_dot2_f32_f16 v35, v10, v14, v35
	;;#ASMEND
	;;#ASMSTART
	v_dot2_f32_f16 v35, v11, v15, v35
	;;#ASMEND
	;;#ASMSTART
	v_dot2_f32_f16 v35, v12, v16, v35
	;;#ASMEND
	s_waitcnt lgkmcnt(0)
	;;#ASMSTART
	v_dot2_f32_f16 v59, v60, v13, v59
	;;#ASMEND
	;;#ASMSTART
	v_dot2_f32_f16 v59, v61, v14, v59
	;;#ASMEND
	;;#ASMSTART
	v_dot2_f32_f16 v59, v62, v15, v59
	;;#ASMEND
	;;#ASMSTART
	v_dot2_f32_f16 v59, v63, v16, v59
	;;#ASMEND
	ds_read_b128 v[9:12], v45 offset:32
	ds_read_b128 v[13:16], v39 offset:32
	ds_read_b128 v[60:63], v45 offset:4640
	;; [unrolled: 29-line block ×7, first 2 shown]
	s_waitcnt lgkmcnt(1)
	;;#ASMSTART
	v_dot2_f32_f16 v35, v9, v13, v35
	;;#ASMEND
	;;#ASMSTART
	v_dot2_f32_f16 v35, v10, v14, v35
	;;#ASMEND
	;;#ASMSTART
	v_dot2_f32_f16 v35, v11, v15, v35
	;;#ASMEND
	;;#ASMSTART
	v_dot2_f32_f16 v35, v12, v16, v35
	;;#ASMEND
	s_waitcnt lgkmcnt(0)
	;;#ASMSTART
	v_dot2_f32_f16 v59, v60, v13, v59
	;;#ASMEND
	;;#ASMSTART
	v_dot2_f32_f16 v59, v61, v14, v59
	;;#ASMEND
	;; [unrolled: 3-line block ×4, first 2 shown]
	s_barrier
	buffer_gl0_inv
	s_clause 0x3
	global_load_dwordx4 v[9:12], v[1:2], off offset:128
	global_load_dwordx4 v[1:4], v[3:4], off offset:128
	;; [unrolled: 1-line block ×4, first 2 shown]
                                        ; implicit-def: $vgpr60
	s_waitcnt vmcnt(3)
	ds_write_b128 v41, v[9:12]
	s_waitcnt vmcnt(2)
	ds_write_b128 v42, v[1:4]
	;; [unrolled: 2-line block ×4, first 2 shown]
	s_waitcnt lgkmcnt(0)
	s_barrier
	buffer_gl0_inv
	ds_read_b128 v[1:4], v45
	ds_read_b128 v[5:8], v39 offset:128
	ds_read_b128 v[9:12], v45 offset:4608
	s_waitcnt lgkmcnt(1)
	;;#ASMSTART
	v_dot2_f32_f16 v35, v1, v5, v35
	;;#ASMEND
	;;#ASMSTART
	v_dot2_f32_f16 v35, v2, v6, v35
	;;#ASMEND
	;;#ASMSTART
	v_dot2_f32_f16 v35, v3, v7, v35
	;;#ASMEND
	;;#ASMSTART
	v_dot2_f32_f16 v35, v4, v8, v35
	;;#ASMEND
	s_waitcnt lgkmcnt(0)
	;;#ASMSTART
	v_dot2_f32_f16 v59, v9, v5, v59
	;;#ASMEND
	;;#ASMSTART
	v_dot2_f32_f16 v59, v10, v6, v59
	;;#ASMEND
	;;#ASMSTART
	v_dot2_f32_f16 v59, v11, v7, v59
	;;#ASMEND
	;;#ASMSTART
	v_dot2_f32_f16 v59, v12, v8, v59
	;;#ASMEND
	ds_read_b128 v[1:4], v45 offset:16
	ds_read_b128 v[5:8], v39 offset:144
	ds_read_b128 v[9:12], v45 offset:4624
	s_waitcnt lgkmcnt(1)
	;;#ASMSTART
	v_dot2_f32_f16 v35, v1, v5, v35
	;;#ASMEND
	;;#ASMSTART
	v_dot2_f32_f16 v35, v2, v6, v35
	;;#ASMEND
	;;#ASMSTART
	v_dot2_f32_f16 v35, v3, v7, v35
	;;#ASMEND
	;;#ASMSTART
	v_dot2_f32_f16 v35, v4, v8, v35
	;;#ASMEND
	s_waitcnt lgkmcnt(0)
	;;#ASMSTART
	v_dot2_f32_f16 v59, v9, v5, v59
	;;#ASMEND
	;;#ASMSTART
	v_dot2_f32_f16 v59, v10, v6, v59
	;;#ASMEND
	;;#ASMSTART
	v_dot2_f32_f16 v59, v11, v7, v59
	;;#ASMEND
	;;#ASMSTART
	v_dot2_f32_f16 v59, v12, v8, v59
	;;#ASMEND
	ds_read_b128 v[1:4], v45 offset:32
	;; [unrolled: 29-line block ×7, first 2 shown]
	ds_read_b128 v[5:8], v39 offset:240
	ds_read_b128 v[9:12], v45 offset:4720
	s_waitcnt lgkmcnt(1)
	;;#ASMSTART
	v_dot2_f32_f16 v35, v1, v5, v35
	;;#ASMEND
	;;#ASMSTART
	v_dot2_f32_f16 v35, v2, v6, v35
	;;#ASMEND
	;; [unrolled: 3-line block ×4, first 2 shown]
	v_cmp_ngt_f32_e64 s18, 0x3f200000, |v35|
	s_waitcnt lgkmcnt(0)
	;;#ASMSTART
	v_dot2_f32_f16 v59, v9, v5, v59
	;;#ASMEND
	;;#ASMSTART
	v_dot2_f32_f16 v59, v10, v6, v59
	;;#ASMEND
	;; [unrolled: 3-line block ×4, first 2 shown]
	s_and_saveexec_b32 s19, s18
	s_xor_b32 s18, exec_lo, s19
	s_cbranch_execz .LBB79_11
; %bb.10:                               ;   in Loop: Header=BB79_9 Depth=1
	v_add_f32_e64 v1, |v35|, |v35|
	v_mul_f32_e32 v2, 0x3fb8aa3b, v1
	v_cmp_ngt_f32_e32 vcc_lo, 0xc2ce8ed0, v1
	v_rndne_f32_e32 v3, v2
	v_fma_f32 v4, 0x3fb8aa3b, v1, -v2
	v_sub_f32_e32 v2, v2, v3
	v_fmac_f32_e32 v4, 0x32a5705f, v1
	v_cvt_i32_f32_e32 v3, v3
	v_add_f32_e32 v2, v2, v4
	v_exp_f32_e32 v2, v2
	v_ldexp_f32 v2, v2, v3
	v_cndmask_b32_e32 v2, 0, v2, vcc_lo
	v_cmp_nlt_f32_e32 vcc_lo, 0x42b17218, v1
	v_cndmask_b32_e32 v1, 0x7f800000, v2, vcc_lo
	v_add_f32_e32 v1, 1.0, v1
	v_rcp_f32_e32 v1, v1
	v_fma_f32 v60, v1, -2.0, 1.0
.LBB79_11:                              ;   in Loop: Header=BB79_9 Depth=1
	s_andn2_saveexec_b32 s18, s18
	s_cbranch_execz .LBB79_13
; %bb.12:                               ;   in Loop: Header=BB79_9 Depth=1
	v_mul_f32_e32 v1, v35, v35
	v_fmaak_f32 v2, s15, v1, 0x3ca908c9
	v_fmaak_f32 v2, v1, v2, 0xbd5c1c4e
	;; [unrolled: 1-line block ×4, first 2 shown]
	v_mul_f32_e64 v2, |v35|, v2
	v_fma_f32 v60, v1, v2, |v35|
.LBB79_13:                              ;   in Loop: Header=BB79_9 Depth=1
	s_or_b32 exec_lo, exec_lo, s18
	v_add_nc_u32_e32 v1, s6, v18
	v_cmp_ngt_f32_e64 s18, 0x3f200000, |v59|
                                        ; implicit-def: $vgpr62
	v_ashrrev_i32_e32 v2, 31, v1
	v_lshlrev_b64 v[1:2], 1, v[1:2]
	v_add_co_u32 v1, vcc_lo, s34, v1
	v_add_co_ci_u32_e64 v2, null, s35, v2, vcc_lo
	global_load_ushort v61, v[1:2], off
	s_and_saveexec_b32 s19, s18
	s_xor_b32 s18, exec_lo, s19
	s_cbranch_execz .LBB79_15
; %bb.14:                               ;   in Loop: Header=BB79_9 Depth=1
	v_add_f32_e64 v3, |v59|, |v59|
	v_mul_f32_e32 v4, 0x3fb8aa3b, v3
	v_cmp_ngt_f32_e32 vcc_lo, 0xc2ce8ed0, v3
	v_rndne_f32_e32 v5, v4
	v_fma_f32 v6, 0x3fb8aa3b, v3, -v4
	v_sub_f32_e32 v4, v4, v5
	v_fmac_f32_e32 v6, 0x32a5705f, v3
	v_cvt_i32_f32_e32 v5, v5
	v_add_f32_e32 v4, v4, v6
	v_exp_f32_e32 v4, v4
	v_ldexp_f32 v4, v4, v5
	v_cndmask_b32_e32 v4, 0, v4, vcc_lo
	v_cmp_nlt_f32_e32 vcc_lo, 0x42b17218, v3
	v_cndmask_b32_e32 v3, 0x7f800000, v4, vcc_lo
	v_add_f32_e32 v3, 1.0, v3
	v_rcp_f32_e32 v3, v3
	v_fma_f32 v62, v3, -2.0, 1.0
.LBB79_15:                              ;   in Loop: Header=BB79_9 Depth=1
	s_andn2_saveexec_b32 s18, s18
	s_cbranch_execz .LBB79_17
; %bb.16:                               ;   in Loop: Header=BB79_9 Depth=1
	v_mul_f32_e32 v3, v59, v59
	v_fmaak_f32 v4, s15, v3, 0x3ca908c9
	v_fmaak_f32 v4, v3, v4, 0xbd5c1c4e
	v_fmaak_f32 v4, v3, v4, 0x3e088382
	v_fmaak_f32 v4, v3, v4, 0xbeaaaa99
	v_mul_f32_e64 v4, |v59|, v4
	v_fma_f32 v62, v3, v4, |v59|
.LBB79_17:                              ;   in Loop: Header=BB79_9 Depth=1
	s_or_b32 exec_lo, exec_lo, s18
	global_load_ushort v63, v[1:2], off offset:64
	s_mul_hi_i32 s19, s6, s8
	s_mul_i32 s18, s6, s8
	s_waitcnt vmcnt(0)
	s_lshl_b64 s[18:19], s[18:19], 2
	s_barrier
	s_add_u32 s18, s12, s18
	s_addc_u32 s19, s13, s19
	v_add_co_u32 v1, vcc_lo, s18, v27
	v_add_co_ci_u32_e64 v2, null, s19, v28, vcc_lo
	v_add_co_u32 v3, vcc_lo, s18, v29
	v_add_co_ci_u32_e64 v4, null, s19, v30, vcc_lo
	v_add_co_u32 v7, vcc_lo, s18, v31
	v_add_co_ci_u32_e64 v8, null, s19, v32, vcc_lo
	v_add_co_u32 v11, vcc_lo, s18, v33
	v_add_co_ci_u32_e64 v12, null, s19, v34, vcc_lo
	v_add_co_u32 v1, vcc_lo, v1, v53
	v_add_co_ci_u32_e64 v2, null, 0, v2, vcc_lo
	v_add_co_u32 v5, vcc_lo, v3, v53
	v_add_co_ci_u32_e64 v6, null, 0, v4, vcc_lo
	v_add_co_u32 v9, vcc_lo, v7, v53
	v_add_co_ci_u32_e64 v10, null, 0, v8, vcc_lo
	v_add_co_u32 v13, vcc_lo, v11, v53
	v_add_co_ci_u32_e64 v14, null, 0, v12, vcc_lo
	buffer_gl0_inv
	s_clause 0x3
	global_load_dwordx4 v[1:4], v[1:2], off
	global_load_dwordx4 v[5:8], v[5:6], off
	;; [unrolled: 1-line block ×4, first 2 shown]
	v_bfi_b32 v35, 0x7fffffff, v60, v35
	v_bfi_b32 v59, 0x7fffffff, v62, v59
	v_xor_b32_e32 v60, 16, v40
	s_or_b32 s18, s6, 32
	v_fma_mix_f32 v64, s10, v35, v61 op_sel_hi:[0,0,1]
	s_mul_hi_i32 s19, s18, s8
	v_cmp_gt_i32_e32 vcc_lo, 32, v60
	s_mul_i32 s18, s18, s8
	s_lshl_b64 s[18:19], s[18:19], 2
	v_cndmask_b32_e32 v35, v40, v60, vcc_lo
	s_add_u32 s18, s12, s18
	s_addc_u32 s19, s13, s19
	v_lshlrev_b32_e32 v35, 2, v35
	v_fma_mix_f32 v65, s10, v59, v63 op_sel_hi:[0,0,1]
	v_add_f32_e32 v59, 0x40051340, v64
	v_add_f32_e32 v61, 0x40051340, v65
	v_max3_f32 v61, v58, v59, v61
	v_xor_b32_e32 v59, 8, v40
	ds_bpermute_b32 v35, v35, v61
	v_cmp_gt_i32_e32 vcc_lo, 32, v59
	v_cndmask_b32_e32 v62, v40, v59, vcc_lo
	v_lshlrev_b32_e32 v62, 2, v62
	s_waitcnt lgkmcnt(0)
	v_max_f32_e32 v35, v35, v35
	v_max_f32_e32 v35, v61, v35
	v_xor_b32_e32 v61, 4, v40
	ds_bpermute_b32 v62, v62, v35
	v_cmp_gt_i32_e32 vcc_lo, 32, v61
	v_cndmask_b32_e32 v63, v40, v61, vcc_lo
	v_lshlrev_b32_e32 v63, 2, v63
	s_waitcnt lgkmcnt(0)
	v_max_f32_e32 v62, v62, v62
	v_max_f32_e32 v35, v35, v62
	;; [unrolled: 8-line block ×4, first 2 shown]
	ds_bpermute_b32 v66, v67, v35
	s_waitcnt lgkmcnt(0)
	v_max_f32_e32 v66, v66, v66
	v_max_f32_e32 v35, v35, v66
	v_add_nc_u32_e32 v66, 0x1800, v38
	v_sub_f32_e32 v68, v64, v35
	v_sub_f32_e32 v67, v65, v35
	;; [unrolled: 1-line block ×3, first 2 shown]
	v_add_nc_u32_e32 v65, 0x800, v38
	v_add_nc_u32_e32 v64, 0x1000, v38
	v_mul_f32_e32 v69, 0x3fb8aa3b, v68
	v_mul_f32_e32 v70, 0x3fb8aa3b, v67
	v_fma_f32 v71, 0x3fb8aa3b, v68, -v69
	v_rndne_f32_e32 v72, v69
	v_fma_f32 v73, 0x3fb8aa3b, v67, -v70
	v_rndne_f32_e32 v74, v70
	v_fmac_f32_e32 v71, 0x32a5705f, v68
	v_sub_f32_e32 v69, v69, v72
	v_fmac_f32_e32 v73, 0x32a5705f, v67
	v_sub_f32_e32 v58, v70, v74
	v_cvt_i32_f32_e32 v72, v72
	v_mul_f32_e32 v70, 0x3fb8aa3b, v75
	v_add_f32_e32 v69, v69, v71
	v_cvt_i32_f32_e32 v74, v74
	v_add_f32_e32 v58, v58, v73
	v_fma_f32 v71, 0x3fb8aa3b, v75, -v70
	v_exp_f32_e32 v69, v69
	v_rndne_f32_e32 v73, v70
	v_exp_f32_e32 v58, v58
	v_fmac_f32_e32 v71, 0x32a5705f, v75
	v_sub_f32_e32 v70, v70, v73
	v_ldexp_f32 v69, v69, v72
	v_add_co_u32 v72, vcc_lo, s18, v27
	v_add_co_ci_u32_e64 v76, null, s19, v28, vcc_lo
	v_cmp_ngt_f32_e32 vcc_lo, 0xc2ce8ed0, v68
	v_ldexp_f32 v58, v58, v74
	v_add_f32_e32 v70, v70, v71
	v_cndmask_b32_e32 v69, 0, v69, vcc_lo
	v_cmp_ngt_f32_e32 vcc_lo, 0xc2ce8ed0, v67
	v_exp_f32_e32 v70, v70
	v_cndmask_b32_e32 v71, 0, v58, vcc_lo
	v_cmp_nlt_f32_e32 vcc_lo, 0x42b17218, v68
	v_cndmask_b32_e32 v58, 0x7f800000, v69, vcc_lo
	v_cmp_nlt_f32_e32 vcc_lo, 0x42b17218, v67
	v_cndmask_b32_e32 v67, 0x7f800000, v71, vcc_lo
	v_cvt_i32_f32_e32 v71, v73
	v_cvt_f16_f32_e32 v73, v58
	v_add_co_u32 v68, vcc_lo, s18, v29
	v_cvt_f16_f32_e32 v74, v67
	v_add_co_ci_u32_e64 v69, null, s19, v30, vcc_lo
	v_add_co_u32 v77, vcc_lo, s18, v31
	ds_write_b16 v48, v73
	ds_write_b16 v48, v74 offset:64
	s_waitcnt vmcnt(3)
	ds_write_b128 v47, v[1:4]
	s_waitcnt vmcnt(2)
	ds_write_b128 v49, v[5:8]
	;; [unrolled: 2-line block ×4, first 2 shown]
	s_waitcnt lgkmcnt(0)
	s_barrier
	buffer_gl0_inv
	ds_read_b128 v[2:5], v46
	ds_read_b128 v[10:13], v46 offset:16
	v_add_co_ci_u32_e64 v78, null, s19, v32, vcc_lo
	v_add_co_u32 v16, vcc_lo, s18, v33
	v_ldexp_f32 v70, v70, v71
	v_add_co_ci_u32_e64 v73, null, s19, v34, vcc_lo
	v_cmp_ngt_f32_e32 vcc_lo, 0xc2ce8ed0, v75
	ds_read2_b64 v[6:9], v38 offset1:32
	v_cndmask_b32_e32 v1, 0, v70, vcc_lo
	v_add_co_u32 v14, vcc_lo, v72, v53
	v_add_co_ci_u32_e64 v15, null, 0, v76, vcc_lo
	v_cmp_nlt_f32_e32 vcc_lo, 0x42b17218, v75
	s_waitcnt lgkmcnt(2)
	v_mul_u32_u24_sdwa v74, v2, v54 dst_sel:DWORD dst_unused:UNUSED_PAD src0_sel:WORD_0 src1_sel:DWORD
	v_mul_u32_u24_sdwa v2, v2, v54 dst_sel:DWORD dst_unused:UNUSED_PAD src0_sel:WORD_1 src1_sel:DWORD
	v_cndmask_b32_e32 v1, 0x7f800000, v1, vcc_lo
	v_add_co_u32 v120, vcc_lo, v68, v53
	v_add_co_ci_u32_e64 v121, null, 0, v69, vcc_lo
	v_cvt_f16_f32_e32 v72, v1
	ds_read2_b64 v[68:71], v38 offset0:64 offset1:96
	s_waitcnt lgkmcnt(1)
	v_pk_mul_f16 v6, v6, v74
	v_pk_mul_f16 v7, v7, v74
	v_add_co_u32 v124, vcc_lo, v77, v53
	v_mul_u32_u24_sdwa v76, v72, v54 dst_sel:DWORD dst_unused:UNUSED_PAD src0_sel:WORD_0 src1_sel:DWORD
	v_add_co_ci_u32_e64 v125, null, 0, v78, vcc_lo
	v_add_co_u32 v126, vcc_lo, v16, v53
	v_add_co_ci_u32_e64 v127, null, 0, v73, vcc_lo
	ds_read2_b64 v[72:75], v38 offset0:128 offset1:160
	v_pk_fma_f16 v6, v56, v76, v6
	v_pk_fma_f16 v7, v57, v76, v7
	v_mul_u32_u24_sdwa v16, v3, v54 dst_sel:DWORD dst_unused:UNUSED_PAD src0_sel:WORD_0 src1_sel:DWORD
	v_mul_u32_u24_sdwa v3, v3, v54 dst_sel:DWORD dst_unused:UNUSED_PAD src0_sel:WORD_1 src1_sel:DWORD
	ds_read2_b64 v[76:79], v38 offset0:192 offset1:224
	ds_read2_b64 v[80:83], v65 offset1:32
	v_pk_fma_f16 v56, v8, v2, v6
	v_pk_fma_f16 v2, v9, v2, v7
	ds_read2_b64 v[6:9], v65 offset0:64 offset1:96
	ds_read2_b64 v[84:87], v65 offset0:128 offset1:160
	;; [unrolled: 1-line block ×3, first 2 shown]
	ds_read2_b64 v[92:95], v64 offset1:32
	s_waitcnt lgkmcnt(7)
	v_pk_fma_f16 v56, v68, v16, v56
	v_pk_fma_f16 v2, v69, v16, v2
	v_mul_u32_u24_sdwa v16, v4, v54 dst_sel:DWORD dst_unused:UNUSED_PAD src0_sel:WORD_0 src1_sel:DWORD
	v_pk_fma_f16 v56, v70, v3, v56
	v_pk_fma_f16 v2, v71, v3, v2
	v_mul_u32_u24_sdwa v3, v4, v54 dst_sel:DWORD dst_unused:UNUSED_PAD src0_sel:WORD_1 src1_sel:DWORD
	ds_read_b128 v[68:71], v46 offset:32
	ds_read_b128 v[96:99], v46 offset:48
	ds_read2_b64 v[100:103], v64 offset0:64 offset1:96
	ds_read2_b64 v[104:107], v64 offset0:128 offset1:160
	;; [unrolled: 1-line block ×3, first 2 shown]
	s_waitcnt lgkmcnt(11)
	v_pk_fma_f16 v4, v72, v16, v56
	v_pk_fma_f16 v2, v73, v16, v2
	v_mul_u32_u24_sdwa v16, v5, v54 dst_sel:DWORD dst_unused:UNUSED_PAD src0_sel:WORD_0 src1_sel:DWORD
	v_mul_u32_u24_sdwa v56, v5, v54 dst_sel:DWORD dst_unused:UNUSED_PAD src0_sel:WORD_1 src1_sel:DWORD
	v_pk_fma_f16 v4, v74, v3, v4
	v_pk_fma_f16 v2, v75, v3, v2
	ds_read2_b64 v[72:75], v66 offset1:32
	ds_read2_b64 v[112:115], v66 offset0:64 offset1:96
	s_waitcnt lgkmcnt(12)
	v_pk_fma_f16 v57, v76, v16, v4
	v_pk_fma_f16 v16, v77, v16, v2
	v_mul_u32_u24_sdwa v76, v10, v54 dst_sel:DWORD dst_unused:UNUSED_PAD src0_sel:WORD_0 src1_sel:DWORD
	v_mul_u32_u24_sdwa v10, v10, v54 dst_sel:DWORD dst_unused:UNUSED_PAD src0_sel:WORD_1 src1_sel:DWORD
	ds_read2_b64 v[2:5], v66 offset0:128 offset1:160
	ds_read2_b64 v[116:119], v66 offset0:192 offset1:224
	v_pk_fma_f16 v57, v78, v56, v57
	v_pk_fma_f16 v16, v79, v56, v16
	s_waitcnt lgkmcnt(0)
	s_barrier
	buffer_gl0_inv
	v_pk_fma_f16 v56, v80, v76, v57
	v_pk_fma_f16 v16, v81, v76, v16
	s_clause 0x1
	global_load_dwordx4 v[76:79], v[14:15], off
	global_load_dwordx4 v[120:123], v[120:121], off
	v_mul_u32_u24_sdwa v15, v11, v54 dst_sel:DWORD dst_unused:UNUSED_PAD src0_sel:WORD_0 src1_sel:DWORD
	v_mul_u32_u24_sdwa v11, v11, v54 dst_sel:DWORD dst_unused:UNUSED_PAD src0_sel:WORD_1 src1_sel:DWORD
	v_pk_fma_f16 v14, v82, v10, v56
	v_pk_fma_f16 v10, v83, v10, v16
	s_clause 0x1
	global_load_dwordx4 v[80:83], v[124:125], off
	global_load_dwordx4 v[124:127], v[126:127], off
	v_mul_u32_u24_sdwa v16, v98, v54 dst_sel:DWORD dst_unused:UNUSED_PAD src0_sel:WORD_1 src1_sel:DWORD
	s_waitcnt vmcnt(3)
	ds_write_b128 v47, v[76:79]
	s_waitcnt vmcnt(2)
	ds_write_b128 v49, v[120:123]
	;; [unrolled: 2-line block ×4, first 2 shown]
	v_pk_fma_f16 v6, v6, v15, v14
	v_pk_fma_f16 v7, v7, v15, v10
	v_mul_u32_u24_sdwa v10, v12, v54 dst_sel:DWORD dst_unused:UNUSED_PAD src0_sel:WORD_0 src1_sel:DWORD
	v_mul_u32_u24_sdwa v14, v98, v54 dst_sel:DWORD dst_unused:UNUSED_PAD src0_sel:WORD_0 src1_sel:DWORD
	s_waitcnt lgkmcnt(0)
	v_pk_fma_f16 v6, v8, v11, v6
	v_pk_fma_f16 v7, v9, v11, v7
	v_mul_u32_u24_sdwa v8, v12, v54 dst_sel:DWORD dst_unused:UNUSED_PAD src0_sel:WORD_1 src1_sel:DWORD
	v_mul_u32_u24_sdwa v9, v13, v54 dst_sel:DWORD dst_unused:UNUSED_PAD src0_sel:WORD_0 src1_sel:DWORD
	s_barrier
	v_pk_fma_f16 v6, v84, v10, v6
	v_pk_fma_f16 v7, v85, v10, v7
	v_mul_u32_u24_sdwa v10, v13, v54 dst_sel:DWORD dst_unused:UNUSED_PAD src0_sel:WORD_1 src1_sel:DWORD
	buffer_gl0_inv
	v_pk_fma_f16 v6, v86, v8, v6
	v_pk_fma_f16 v7, v87, v8, v7
	v_mul_u32_u24_sdwa v8, v68, v54 dst_sel:DWORD dst_unused:UNUSED_PAD src0_sel:WORD_0 src1_sel:DWORD
	v_pk_fma_f16 v6, v88, v9, v6
	v_pk_fma_f16 v7, v89, v9, v7
	v_mul_u32_u24_sdwa v9, v68, v54 dst_sel:DWORD dst_unused:UNUSED_PAD src0_sel:WORD_1 src1_sel:DWORD
	v_pk_fma_f16 v6, v90, v10, v6
	v_pk_fma_f16 v7, v91, v10, v7
	v_mul_u32_u24_sdwa v10, v69, v54 dst_sel:DWORD dst_unused:UNUSED_PAD src0_sel:WORD_0 src1_sel:DWORD
	v_pk_fma_f16 v6, v92, v8, v6
	v_pk_fma_f16 v7, v93, v8, v7
	v_mul_u32_u24_sdwa v8, v69, v54 dst_sel:DWORD dst_unused:UNUSED_PAD src0_sel:WORD_1 src1_sel:DWORD
	;; [unrolled: 6-line block ×4, first 2 shown]
	ds_read_b128 v[68:71], v46 offset:80
	v_pk_fma_f16 v6, v106, v10, v6
	v_pk_fma_f16 v7, v107, v10, v7
	v_mul_u32_u24_sdwa v10, v96, v54 dst_sel:DWORD dst_unused:UNUSED_PAD src0_sel:WORD_0 src1_sel:DWORD
	v_pk_fma_f16 v6, v108, v8, v6
	v_pk_fma_f16 v7, v109, v8, v7
	v_mul_u32_u24_sdwa v8, v96, v54 dst_sel:DWORD dst_unused:UNUSED_PAD src0_sel:WORD_1 src1_sel:DWORD
	v_pk_fma_f16 v6, v110, v9, v6
	v_pk_fma_f16 v7, v111, v9, v7
	v_mul_u32_u24_sdwa v9, v97, v54 dst_sel:DWORD dst_unused:UNUSED_PAD src0_sel:WORD_0 src1_sel:DWORD
	v_pk_fma_f16 v6, v72, v10, v6
	v_pk_fma_f16 v7, v73, v10, v7
	v_mul_u32_u24_sdwa v10, v97, v54 dst_sel:DWORD dst_unused:UNUSED_PAD src0_sel:WORD_1 src1_sel:DWORD
	v_pk_fma_f16 v6, v74, v8, v6
	v_pk_fma_f16 v7, v75, v8, v7
	ds_read2_b64 v[72:75], v38 offset0:128 offset1:160
	v_pk_fma_f16 v6, v112, v9, v6
	v_pk_fma_f16 v11, v113, v9, v7
	;; [unrolled: 1-line block ×3, first 2 shown]
	ds_read_b128 v[6:9], v46 offset:64
	v_pk_fma_f16 v15, v115, v10, v11
	v_pk_fma_f16 v2, v2, v14, v12
	ds_read2_b64 v[10:13], v38 offset1:32
	v_pk_fma_f16 v3, v3, v14, v15
	v_mul_u32_u24_sdwa v14, v99, v54 dst_sel:DWORD dst_unused:UNUSED_PAD src0_sel:WORD_0 src1_sel:DWORD
	v_pk_fma_f16 v2, v4, v16, v2
	v_pk_fma_f16 v15, v5, v16, v3
	v_mul_u32_u24_sdwa v16, v99, v54 dst_sel:DWORD dst_unused:UNUSED_PAD src0_sel:WORD_1 src1_sel:DWORD
	v_pk_fma_f16 v56, v116, v14, v2
	ds_read2_b64 v[2:5], v38 offset0:64 offset1:96
	v_pk_fma_f16 v14, v117, v14, v15
	v_pk_fma_f16 v15, v118, v16, v56
	s_waitcnt lgkmcnt(2)
	v_mul_u32_u24_sdwa v56, v6, v54 dst_sel:DWORD dst_unused:UNUSED_PAD src0_sel:WORD_0 src1_sel:DWORD
	v_pk_fma_f16 v14, v119, v16, v14
	v_mul_u32_u24_sdwa v6, v6, v54 dst_sel:DWORD dst_unused:UNUSED_PAD src0_sel:WORD_1 src1_sel:DWORD
	s_waitcnt lgkmcnt(1)
	v_pk_fma_f16 v10, v10, v56, v15
	v_pk_fma_f16 v11, v11, v56, v14
	v_mul_u32_u24_sdwa v14, v7, v54 dst_sel:DWORD dst_unused:UNUSED_PAD src0_sel:WORD_0 src1_sel:DWORD
	v_mul_u32_u24_sdwa v7, v7, v54 dst_sel:DWORD dst_unused:UNUSED_PAD src0_sel:WORD_1 src1_sel:DWORD
	v_mul_u32_u24_sdwa v56, v70, v54 dst_sel:DWORD dst_unused:UNUSED_PAD src0_sel:WORD_0 src1_sel:DWORD
	v_pk_fma_f16 v15, v12, v6, v10
	v_pk_fma_f16 v6, v13, v6, v11
	ds_read2_b64 v[10:13], v38 offset0:192 offset1:224
	s_waitcnt lgkmcnt(1)
	v_pk_fma_f16 v2, v2, v14, v15
	v_pk_fma_f16 v3, v3, v14, v6
	v_mul_u32_u24_sdwa v6, v8, v54 dst_sel:DWORD dst_unused:UNUSED_PAD src0_sel:WORD_0 src1_sel:DWORD
	v_mul_u32_u24_sdwa v8, v8, v54 dst_sel:DWORD dst_unused:UNUSED_PAD src0_sel:WORD_1 src1_sel:DWORD
	v_pk_fma_f16 v14, v4, v7, v2
	v_pk_fma_f16 v7, v5, v7, v3
	ds_read2_b64 v[2:5], v65 offset1:32
	v_pk_fma_f16 v14, v72, v6, v14
	v_pk_fma_f16 v6, v73, v6, v7
	v_mul_u32_u24_sdwa v7, v9, v54 dst_sel:DWORD dst_unused:UNUSED_PAD src0_sel:WORD_0 src1_sel:DWORD
	v_pk_fma_f16 v14, v74, v8, v14
	v_pk_fma_f16 v6, v75, v8, v6
	ds_read2_b64 v[72:75], v65 offset0:64 offset1:96
	v_mul_u32_u24_sdwa v8, v9, v54 dst_sel:DWORD dst_unused:UNUSED_PAD src0_sel:WORD_1 src1_sel:DWORD
	s_waitcnt lgkmcnt(2)
	v_pk_fma_f16 v9, v10, v7, v14
	v_pk_fma_f16 v6, v11, v7, v6
	v_mul_u32_u24_sdwa v10, v68, v54 dst_sel:DWORD dst_unused:UNUSED_PAD src0_sel:WORD_0 src1_sel:DWORD
	v_mul_u32_u24_sdwa v14, v69, v54 dst_sel:DWORD dst_unused:UNUSED_PAD src0_sel:WORD_1 src1_sel:DWORD
	v_pk_fma_f16 v11, v12, v8, v9
	v_pk_fma_f16 v12, v13, v8, v6
	ds_read2_b64 v[6:9], v65 offset0:128 offset1:160
	v_mul_u32_u24_sdwa v13, v68, v54 dst_sel:DWORD dst_unused:UNUSED_PAD src0_sel:WORD_1 src1_sel:DWORD
	s_waitcnt lgkmcnt(2)
	v_pk_fma_f16 v2, v2, v10, v11
	v_pk_fma_f16 v3, v3, v10, v12
	v_mul_u32_u24_sdwa v10, v69, v54 dst_sel:DWORD dst_unused:UNUSED_PAD src0_sel:WORD_0 src1_sel:DWORD
	v_pk_fma_f16 v11, v4, v13, v2
	v_pk_fma_f16 v12, v5, v13, v3
	ds_read2_b64 v[2:5], v65 offset0:192 offset1:224
	s_waitcnt lgkmcnt(2)
	v_pk_fma_f16 v15, v72, v10, v11
	v_pk_fma_f16 v16, v73, v10, v12
	ds_read_b128 v[10:13], v46 offset:96
	v_pk_fma_f16 v15, v74, v14, v15
	v_pk_fma_f16 v14, v75, v14, v16
	ds_read2_b64 v[72:75], v64 offset1:32
	v_mul_u32_u24_sdwa v16, v70, v54 dst_sel:DWORD dst_unused:UNUSED_PAD src0_sel:WORD_1 src1_sel:DWORD
	s_waitcnt lgkmcnt(3)
	v_pk_fma_f16 v6, v6, v56, v15
	v_pk_fma_f16 v7, v7, v56, v14
	v_mul_u32_u24_sdwa v14, v71, v54 dst_sel:DWORD dst_unused:UNUSED_PAD src0_sel:WORD_0 src1_sel:DWORD
	v_mul_u32_u24_sdwa v56, v71, v54 dst_sel:DWORD dst_unused:UNUSED_PAD src0_sel:WORD_1 src1_sel:DWORD
	ds_read_b128 v[68:71], v46 offset:112
	v_pk_fma_f16 v15, v8, v16, v6
	v_pk_fma_f16 v16, v9, v16, v7
	ds_read2_b64 v[6:9], v64 offset0:64 offset1:96
	s_waitcnt lgkmcnt(4)
	v_pk_fma_f16 v2, v2, v14, v15
	v_pk_fma_f16 v3, v3, v14, v16
	s_waitcnt lgkmcnt(3)
	v_mul_u32_u24_sdwa v14, v10, v54 dst_sel:DWORD dst_unused:UNUSED_PAD src0_sel:WORD_0 src1_sel:DWORD
	v_mul_u32_u24_sdwa v10, v10, v54 dst_sel:DWORD dst_unused:UNUSED_PAD src0_sel:WORD_1 src1_sel:DWORD
	v_pk_fma_f16 v15, v4, v56, v2
	v_pk_fma_f16 v16, v5, v56, v3
	ds_read2_b64 v[2:5], v64 offset0:128 offset1:160
	s_waitcnt lgkmcnt(3)
	v_pk_fma_f16 v15, v72, v14, v15
	v_pk_fma_f16 v14, v73, v14, v16
	v_mul_u32_u24_sdwa v16, v11, v54 dst_sel:DWORD dst_unused:UNUSED_PAD src0_sel:WORD_0 src1_sel:DWORD
	v_mul_u32_u24_sdwa v11, v11, v54 dst_sel:DWORD dst_unused:UNUSED_PAD src0_sel:WORD_1 src1_sel:DWORD
	s_waitcnt lgkmcnt(2)
	v_mul_u32_u24_sdwa v56, v68, v54 dst_sel:DWORD dst_unused:UNUSED_PAD src0_sel:WORD_1 src1_sel:DWORD
	v_pk_fma_f16 v15, v74, v10, v15
	v_pk_fma_f16 v10, v75, v10, v14
	ds_read2_b64 v[72:75], v64 offset0:192 offset1:224
	s_waitcnt lgkmcnt(2)
	v_pk_fma_f16 v6, v6, v16, v15
	v_pk_fma_f16 v7, v7, v16, v10
	v_mul_u32_u24_sdwa v10, v12, v54 dst_sel:DWORD dst_unused:UNUSED_PAD src0_sel:WORD_0 src1_sel:DWORD
	v_mul_u32_u24_sdwa v12, v12, v54 dst_sel:DWORD dst_unused:UNUSED_PAD src0_sel:WORD_1 src1_sel:DWORD
	v_pk_fma_f16 v14, v8, v11, v6
	v_pk_fma_f16 v11, v9, v11, v7
	ds_read2_b64 v[6:9], v66 offset1:32
	s_waitcnt lgkmcnt(2)
	v_pk_fma_f16 v2, v2, v10, v14
	v_pk_fma_f16 v3, v3, v10, v11
	v_mul_u32_u24_sdwa v10, v13, v54 dst_sel:DWORD dst_unused:UNUSED_PAD src0_sel:WORD_0 src1_sel:DWORD
	v_mul_u32_u24_sdwa v13, v13, v54 dst_sel:DWORD dst_unused:UNUSED_PAD src0_sel:WORD_1 src1_sel:DWORD
	v_mul_u32_u24_sdwa v14, v68, v54 dst_sel:DWORD dst_unused:UNUSED_PAD src0_sel:WORD_0 src1_sel:DWORD
	v_pk_fma_f16 v11, v4, v12, v2
	v_pk_fma_f16 v12, v5, v12, v3
	ds_read2_b64 v[2:5], v66 offset0:64 offset1:96
	s_waitcnt lgkmcnt(2)
	v_pk_fma_f16 v11, v72, v10, v11
	v_pk_fma_f16 v10, v73, v10, v12
	;; [unrolled: 1-line block ×4, first 2 shown]
	ds_read2_b64 v[10:13], v66 offset0:128 offset1:160
	ds_read2_b64 v[72:75], v66 offset0:192 offset1:224
	s_waitcnt lgkmcnt(0)
	v_pk_fma_f16 v6, v6, v14, v15
	v_pk_fma_f16 v7, v7, v14, v16
	v_mul_u32_u24_sdwa v14, v69, v54 dst_sel:DWORD dst_unused:UNUSED_PAD src0_sel:WORD_0 src1_sel:DWORD
	s_barrier
	buffer_gl0_inv
	v_pk_fma_f16 v6, v8, v56, v6
	v_pk_fma_f16 v7, v9, v56, v7
	v_mul_u32_u24_sdwa v8, v69, v54 dst_sel:DWORD dst_unused:UNUSED_PAD src0_sel:WORD_1 src1_sel:DWORD
	s_load_dword s18, s[0:1], 0x4
	v_pk_fma_f16 v2, v2, v14, v6
	v_pk_fma_f16 v3, v3, v14, v7
	v_mul_u32_u24_sdwa v6, v70, v54 dst_sel:DWORD dst_unused:UNUSED_PAD src0_sel:WORD_0 src1_sel:DWORD
	v_pk_fma_f16 v2, v4, v8, v2
	v_pk_fma_f16 v3, v5, v8, v3
	v_mul_u32_u24_sdwa v4, v70, v54 dst_sel:DWORD dst_unused:UNUSED_PAD src0_sel:WORD_1 src1_sel:DWORD
	v_mul_u32_u24_sdwa v5, v71, v54 dst_sel:DWORD dst_unused:UNUSED_PAD src0_sel:WORD_0 src1_sel:DWORD
	v_pk_fma_f16 v2, v10, v6, v2
	v_pk_fma_f16 v3, v11, v6, v3
	;; [unrolled: 1-line block ×4, first 2 shown]
	v_add_f32_e32 v2, v58, v67
	v_mul_u32_u24_sdwa v4, v71, v54 dst_sel:DWORD dst_unused:UNUSED_PAD src0_sel:WORD_1 src1_sel:DWORD
	s_waitcnt lgkmcnt(0)
	s_lshl_b32 s18, s18, 6
	v_pk_fma_f16 v6, v72, v5, v6
	v_pk_fma_f16 v3, v73, v5, v3
	v_fmac_f32_e32 v2, v55, v1
	s_add_i32 s6, s18, s6
	v_pk_fma_f16 v56, v74, v4, v6
	v_pk_fma_f16 v57, v75, v4, v3
	s_cmp_ge_i32 s6, s30
	s_cbranch_scc1 .LBB79_19
; %bb.18:                               ;   in Loop: Header=BB79_9 Depth=1
	v_mov_b32_e32 v58, v35
	v_mov_b32_e32 v55, v2
	s_branch .LBB79_9
.LBB79_19:
	v_mov_b32_e32 v3, 32
	v_mov_b32_e32 v4, v40
.LBB79_20:
	v_cmp_lt_i32_e32 vcc_lo, v60, v3
	s_cmp_lg_u64 s[16:17], 0
	s_cselect_b32 s0, -1, 0
	s_cmp_eq_u32 s28, 0
	v_cndmask_b32_e32 v1, v4, v60, vcc_lo
	v_cmp_lt_i32_e32 vcc_lo, v59, v3
	s_cselect_b32 s1, -1, 0
	s_and_b32 s0, s1, s0
	v_lshlrev_b32_e32 v1, 2, v1
	v_cndmask_b32_e32 v5, v4, v59, vcc_lo
	v_cmp_lt_i32_e32 vcc_lo, v61, v3
	ds_bpermute_b32 v1, v1, v2
	v_lshlrev_b32_e32 v5, 2, v5
	s_waitcnt lgkmcnt(0)
	v_add_f32_e32 v1, v2, v1
	ds_bpermute_b32 v2, v5, v1
	v_cndmask_b32_e32 v5, v4, v61, vcc_lo
	v_cmp_lt_i32_e32 vcc_lo, v62, v3
	v_lshlrev_b32_e32 v5, 2, v5
	s_waitcnt lgkmcnt(0)
	v_add_f32_e32 v1, v1, v2
	ds_bpermute_b32 v2, v5, v1
	v_cndmask_b32_e32 v5, v4, v62, vcc_lo
	v_cmp_lt_i32_e32 vcc_lo, v63, v3
	v_lshlrev_b32_e32 v5, 2, v5
	v_cndmask_b32_e32 v3, v4, v63, vcc_lo
	s_and_b32 vcc_lo, exec_lo, s0
	v_lshlrev_b32_e32 v3, 2, v3
	s_waitcnt lgkmcnt(0)
	v_add_f32_e32 v1, v1, v2
	ds_bpermute_b32 v2, v5, v1
	s_waitcnt lgkmcnt(0)
	v_add_f32_e32 v2, v1, v2
	v_add_nc_u32_e32 v1, s29, v36
	ds_bpermute_b32 v3, v3, v2
	s_waitcnt lgkmcnt(0)
	v_add_f32_e32 v36, v2, v3
	s_cbranch_vccz .LBB79_22
; %bb.21:
	v_ashrrev_i32_e32 v2, 31, v1
	v_lshlrev_b64 v[2:3], 2, v[1:2]
	v_add_co_u32 v2, vcc_lo, s16, v2
	v_add_co_ci_u32_e64 v3, null, s17, v3, vcc_lo
	global_load_dword v2, v[2:3], off
	v_max_f32_e32 v3, v35, v35
	s_waitcnt vmcnt(0)
	v_max_f32_e32 v4, v2, v2
	v_max_f32_e32 v3, v3, v4
	v_sub_f32_e32 v4, v35, v3
	v_sub_f32_e32 v2, v2, v3
	v_mov_b32_e32 v35, v3
	v_mul_f32_e32 v5, 0x3fb8aa3b, v4
	v_mul_f32_e32 v6, 0x3fb8aa3b, v2
	v_cmp_ngt_f32_e32 vcc_lo, 0xc2ce8ed0, v4
	v_fma_f32 v7, 0x3fb8aa3b, v4, -v5
	v_rndne_f32_e32 v8, v5
	v_fma_f32 v9, 0x3fb8aa3b, v2, -v6
	v_rndne_f32_e32 v10, v6
	v_fmac_f32_e32 v7, 0x32a5705f, v4
	v_sub_f32_e32 v5, v5, v8
	v_fmac_f32_e32 v9, 0x32a5705f, v2
	v_sub_f32_e32 v6, v6, v10
	v_add_f32_e32 v5, v5, v7
	v_cvt_i32_f32_e32 v7, v8
	v_add_f32_e32 v6, v6, v9
	v_cvt_i32_f32_e32 v8, v10
	v_exp_f32_e32 v5, v5
	v_exp_f32_e32 v6, v6
	v_ldexp_f32 v5, v5, v7
	v_ldexp_f32 v6, v6, v8
	v_cndmask_b32_e32 v5, 0, v5, vcc_lo
	v_cmp_ngt_f32_e32 vcc_lo, 0xc2ce8ed0, v2
	v_cndmask_b32_e32 v6, 0, v6, vcc_lo
	v_cmp_nlt_f32_e32 vcc_lo, 0x42b17218, v4
	v_cndmask_b32_e32 v4, 0x7f800000, v5, vcc_lo
	v_cmp_nlt_f32_e32 vcc_lo, 0x42b17218, v2
	v_mov_b32_e32 v5, 0x10001
	v_cndmask_b32_e32 v2, 0x7f800000, v6, vcc_lo
	v_cvt_f16_f32_e32 v6, v4
	v_fmac_f32_e32 v2, v36, v4
	v_mul_u32_u24_sdwa v4, v6, v5 dst_sel:DWORD dst_unused:UNUSED_PAD src0_sel:WORD_0 src1_sel:DWORD
	v_mov_b32_e32 v36, v2
	v_pk_mul_f16 v56, v56, v4
	v_pk_mul_f16 v57, v57, v4
.LBB79_22:
	v_div_scale_f32 v4, null, v36, v36, 1.0
	v_div_scale_f32 v6, vcc_lo, 1.0, v36, 1.0
	s_load_dword s0, s[4:5], 0xd4
	v_rcp_f32_e32 v5, v4
	v_cvt_f32_f16_e32 v8, v57
	v_cvt_f32_f16_sdwa v9, v57 dst_sel:DWORD dst_unused:UNUSED_PAD src0_sel:WORD_1
	v_fma_f32 v2, -v4, v5, 1.0
	v_fmac_f32_e32 v5, v2, v5
	v_mad_u64_u32 v[2:3], null, s7, s2, v[17:18]
	s_waitcnt lgkmcnt(0)
	s_cmp_lg_u32 s0, 1
	v_mul_f32_e32 v7, v6, v5
	s_cselect_b32 s1, -1, 0
	v_mad_u64_u32 v[1:2], null, v2, s3, v[1:2]
	v_fma_f32 v3, -v4, v7, v6
	v_fmac_f32_e32 v7, v3, v5
	v_mad_u64_u32 v[1:2], null, s0, v1, s[28:29]
	v_fma_f32 v3, -v4, v7, v6
	v_cvt_f32_f16_e32 v4, v56
	v_div_fmas_f32 v2, v3, v5, v7
	v_mov_b32_e32 v3, 0
	v_cmp_eq_u32_e32 vcc_lo, 0, v0
	v_cvt_f32_f16_sdwa v5, v56 dst_sel:DWORD dst_unused:UNUSED_PAD src0_sel:WORD_1
	v_div_fixup_f32 v0, v2, v36, 1.0
	v_lshl_add_u32 v2, v1, 7, v37
	v_cndmask_b32_e64 v0, v0, 1.0, s1
	v_lshlrev_b64 v[6:7], 2, v[2:3]
	v_mul_f32_e32 v2, v0, v4
	v_mul_f32_e32 v3, v0, v5
	v_add_co_u32 v6, s0, s20, v6
	v_mul_f32_e32 v4, v0, v8
	v_mul_f32_e32 v5, v0, v9
	v_add_co_ci_u32_e64 v7, null, s21, v7, s0
	s_and_b32 s0, vcc_lo, s1
	global_store_dwordx4 v[6:7], v[2:5], off
	s_and_saveexec_b32 s1, s0
	s_cbranch_execz .LBB79_24
; %bb.23:
	v_ashrrev_i32_e32 v2, 31, v1
	v_lshlrev_b64 v[0:1], 3, v[1:2]
	v_add_co_u32 v0, vcc_lo, s22, v0
	v_add_co_ci_u32_e64 v1, null, s23, v1, vcc_lo
	global_store_dwordx2 v[0:1], v[35:36], off
.LBB79_24:
	s_endpgm
	.section	.rodata,"a",@progbits
	.p2align	6, 0x0
	.amdhsa_kernel _ZL15flash_attn_tileILi128ELi128ELi1ELi4ELb1EEvPKcS1_S1_S1_S1_PKiPfP15HIP_vector_typeIfLj2EEffffjfiS5_IjLj3EEiiiiiiiiiiiliiliiiiil
		.amdhsa_group_segment_fixed_size 10752
		.amdhsa_private_segment_fixed_size 0
		.amdhsa_kernarg_size 464
		.amdhsa_user_sgpr_count 6
		.amdhsa_user_sgpr_private_segment_buffer 1
		.amdhsa_user_sgpr_dispatch_ptr 0
		.amdhsa_user_sgpr_queue_ptr 0
		.amdhsa_user_sgpr_kernarg_segment_ptr 1
		.amdhsa_user_sgpr_dispatch_id 0
		.amdhsa_user_sgpr_flat_scratch_init 0
		.amdhsa_user_sgpr_private_segment_size 0
		.amdhsa_wavefront_size32 1
		.amdhsa_uses_dynamic_stack 0
		.amdhsa_system_sgpr_private_segment_wavefront_offset 0
		.amdhsa_system_sgpr_workgroup_id_x 1
		.amdhsa_system_sgpr_workgroup_id_y 1
		.amdhsa_system_sgpr_workgroup_id_z 1
		.amdhsa_system_sgpr_workgroup_info 0
		.amdhsa_system_vgpr_workitem_id 1
		.amdhsa_next_free_vgpr 128
		.amdhsa_next_free_sgpr 40
		.amdhsa_reserve_vcc 1
		.amdhsa_reserve_flat_scratch 0
		.amdhsa_float_round_mode_32 0
		.amdhsa_float_round_mode_16_64 0
		.amdhsa_float_denorm_mode_32 3
		.amdhsa_float_denorm_mode_16_64 3
		.amdhsa_dx10_clamp 1
		.amdhsa_ieee_mode 1
		.amdhsa_fp16_overflow 0
		.amdhsa_workgroup_processor_mode 1
		.amdhsa_memory_ordered 1
		.amdhsa_forward_progress 1
		.amdhsa_shared_vgpr_count 0
		.amdhsa_exception_fp_ieee_invalid_op 0
		.amdhsa_exception_fp_denorm_src 0
		.amdhsa_exception_fp_ieee_div_zero 0
		.amdhsa_exception_fp_ieee_overflow 0
		.amdhsa_exception_fp_ieee_underflow 0
		.amdhsa_exception_fp_ieee_inexact 0
		.amdhsa_exception_int_div_zero 0
	.end_amdhsa_kernel
	.section	.text._ZL15flash_attn_tileILi128ELi128ELi1ELi4ELb1EEvPKcS1_S1_S1_S1_PKiPfP15HIP_vector_typeIfLj2EEffffjfiS5_IjLj3EEiiiiiiiiiiiliiliiiiil,"axG",@progbits,_ZL15flash_attn_tileILi128ELi128ELi1ELi4ELb1EEvPKcS1_S1_S1_S1_PKiPfP15HIP_vector_typeIfLj2EEffffjfiS5_IjLj3EEiiiiiiiiiiiliiliiiiil,comdat
.Lfunc_end79:
	.size	_ZL15flash_attn_tileILi128ELi128ELi1ELi4ELb1EEvPKcS1_S1_S1_S1_PKiPfP15HIP_vector_typeIfLj2EEffffjfiS5_IjLj3EEiiiiiiiiiiiliiliiiiil, .Lfunc_end79-_ZL15flash_attn_tileILi128ELi128ELi1ELi4ELb1EEvPKcS1_S1_S1_S1_PKiPfP15HIP_vector_typeIfLj2EEffffjfiS5_IjLj3EEiiiiiiiiiiiliiliiiiil
                                        ; -- End function
	.set _ZL15flash_attn_tileILi128ELi128ELi1ELi4ELb1EEvPKcS1_S1_S1_S1_PKiPfP15HIP_vector_typeIfLj2EEffffjfiS5_IjLj3EEiiiiiiiiiiiliiliiiiil.num_vgpr, 128
	.set _ZL15flash_attn_tileILi128ELi128ELi1ELi4ELb1EEvPKcS1_S1_S1_S1_PKiPfP15HIP_vector_typeIfLj2EEffffjfiS5_IjLj3EEiiiiiiiiiiiliiliiiiil.num_agpr, 0
	.set _ZL15flash_attn_tileILi128ELi128ELi1ELi4ELb1EEvPKcS1_S1_S1_S1_PKiPfP15HIP_vector_typeIfLj2EEffffjfiS5_IjLj3EEiiiiiiiiiiiliiliiiiil.numbered_sgpr, 40
	.set _ZL15flash_attn_tileILi128ELi128ELi1ELi4ELb1EEvPKcS1_S1_S1_S1_PKiPfP15HIP_vector_typeIfLj2EEffffjfiS5_IjLj3EEiiiiiiiiiiiliiliiiiil.num_named_barrier, 0
	.set _ZL15flash_attn_tileILi128ELi128ELi1ELi4ELb1EEvPKcS1_S1_S1_S1_PKiPfP15HIP_vector_typeIfLj2EEffffjfiS5_IjLj3EEiiiiiiiiiiiliiliiiiil.private_seg_size, 0
	.set _ZL15flash_attn_tileILi128ELi128ELi1ELi4ELb1EEvPKcS1_S1_S1_S1_PKiPfP15HIP_vector_typeIfLj2EEffffjfiS5_IjLj3EEiiiiiiiiiiiliiliiiiil.uses_vcc, 1
	.set _ZL15flash_attn_tileILi128ELi128ELi1ELi4ELb1EEvPKcS1_S1_S1_S1_PKiPfP15HIP_vector_typeIfLj2EEffffjfiS5_IjLj3EEiiiiiiiiiiiliiliiiiil.uses_flat_scratch, 0
	.set _ZL15flash_attn_tileILi128ELi128ELi1ELi4ELb1EEvPKcS1_S1_S1_S1_PKiPfP15HIP_vector_typeIfLj2EEffffjfiS5_IjLj3EEiiiiiiiiiiiliiliiiiil.has_dyn_sized_stack, 0
	.set _ZL15flash_attn_tileILi128ELi128ELi1ELi4ELb1EEvPKcS1_S1_S1_S1_PKiPfP15HIP_vector_typeIfLj2EEffffjfiS5_IjLj3EEiiiiiiiiiiiliiliiiiil.has_recursion, 0
	.set _ZL15flash_attn_tileILi128ELi128ELi1ELi4ELb1EEvPKcS1_S1_S1_S1_PKiPfP15HIP_vector_typeIfLj2EEffffjfiS5_IjLj3EEiiiiiiiiiiiliiliiiiil.has_indirect_call, 0
	.section	.AMDGPU.csdata,"",@progbits
; Kernel info:
; codeLenInByte = 9256
; TotalNumSgprs: 42
; NumVgprs: 128
; ScratchSize: 0
; MemoryBound: 0
; FloatMode: 240
; IeeeMode: 1
; LDSByteSize: 10752 bytes/workgroup (compile time only)
; SGPRBlocks: 0
; VGPRBlocks: 15
; NumSGPRsForWavesPerEU: 42
; NumVGPRsForWavesPerEU: 128
; Occupancy: 8
; WaveLimiterHint : 1
; COMPUTE_PGM_RSRC2:SCRATCH_EN: 0
; COMPUTE_PGM_RSRC2:USER_SGPR: 6
; COMPUTE_PGM_RSRC2:TRAP_HANDLER: 0
; COMPUTE_PGM_RSRC2:TGID_X_EN: 1
; COMPUTE_PGM_RSRC2:TGID_Y_EN: 1
; COMPUTE_PGM_RSRC2:TGID_Z_EN: 1
; COMPUTE_PGM_RSRC2:TIDIG_COMP_CNT: 1
	.section	.text._ZL15flash_attn_tileILi128ELi128ELi32ELi2ELb1EEvPKcS1_S1_S1_S1_PKiPfP15HIP_vector_typeIfLj2EEffffjfiS5_IjLj3EEiiiiiiiiiiiliiliiiiil,"axG",@progbits,_ZL15flash_attn_tileILi128ELi128ELi32ELi2ELb1EEvPKcS1_S1_S1_S1_PKiPfP15HIP_vector_typeIfLj2EEffffjfiS5_IjLj3EEiiiiiiiiiiiliiliiiiil,comdat
	.globl	_ZL15flash_attn_tileILi128ELi128ELi32ELi2ELb1EEvPKcS1_S1_S1_S1_PKiPfP15HIP_vector_typeIfLj2EEffffjfiS5_IjLj3EEiiiiiiiiiiiliiliiiiil ; -- Begin function _ZL15flash_attn_tileILi128ELi128ELi32ELi2ELb1EEvPKcS1_S1_S1_S1_PKiPfP15HIP_vector_typeIfLj2EEffffjfiS5_IjLj3EEiiiiiiiiiiiliiliiiiil
	.p2align	8
	.type	_ZL15flash_attn_tileILi128ELi128ELi32ELi2ELb1EEvPKcS1_S1_S1_S1_PKiPfP15HIP_vector_typeIfLj2EEffffjfiS5_IjLj3EEiiiiiiiiiiiliiliiiiil,@function
_ZL15flash_attn_tileILi128ELi128ELi32ELi2ELb1EEvPKcS1_S1_S1_S1_PKiPfP15HIP_vector_typeIfLj2EEffffjfiS5_IjLj3EEiiiiiiiiiiiliiliiiiil: ; @_ZL15flash_attn_tileILi128ELi128ELi32ELi2ELb1EEvPKcS1_S1_S1_S1_PKiPfP15HIP_vector_typeIfLj2EEffffjfiS5_IjLj3EEiiiiiiiiiiiliiliiiiil
; %bb.0:
	s_clause 0x1
	s_load_dwordx4 s[0:3], s[4:5], 0x5c
	s_load_dwordx2 s[34:35], s[4:5], 0x80
	s_mov_b32 s28, s7
	s_mov_b64 s[36:37], 0
	s_waitcnt lgkmcnt(0)
	s_lshr_b32 s7, s3, 31
	s_add_i32 s7, s3, s7
	s_ashr_i32 s7, s7, 1
	v_cvt_f32_u32_e32 v2, s7
	s_sub_i32 s10, 0, s7
	v_rcp_iflag_f32_e32 v2, v2
	v_mul_f32_e32 v2, 0x4f7ffffe, v2
	v_cvt_u32_f32_e32 v2, v2
	v_readfirstlane_b32 s9, v2
	s_mul_i32 s10, s10, s9
	s_mul_hi_u32 s10, s9, s10
	s_add_i32 s9, s9, s10
	s_mul_hi_u32 s9, s8, s9
	s_mul_i32 s10, s9, s7
	s_add_i32 s11, s9, 1
	s_sub_i32 s10, s8, s10
	s_sub_i32 s12, s10, s7
	s_cmp_ge_u32 s10, s7
	s_cselect_b32 s9, s11, s9
	s_cselect_b32 s10, s12, s10
	s_add_i32 s11, s9, 1
	s_cmp_ge_u32 s10, s7
	s_cselect_b32 s7, s11, s9
	s_abs_i32 s9, s35
	s_lshl_b32 s8, s8, 1
	v_cvt_f32_u32_e32 v2, s9
	s_sub_i32 s11, 0, s9
	s_mul_i32 s12, s7, s3
	s_abs_i32 s13, s3
	s_sub_i32 s30, s8, s12
	v_rcp_iflag_f32_e32 v2, v2
	v_mul_f32_e32 v2, 0x4f7ffffe, v2
	v_cvt_u32_f32_e32 v2, v2
	v_readfirstlane_b32 s10, v2
	s_mul_i32 s11, s11, s10
	s_mul_hi_u32 s11, s10, s11
	s_add_i32 s10, s10, s11
	s_mul_hi_u32 s8, s13, s10
	s_xor_b32 s10, s3, s35
	s_mul_i32 s11, s8, s9
	s_ashr_i32 s10, s10, 31
	s_sub_i32 s11, s13, s11
	s_add_i32 s12, s8, 1
	s_sub_i32 s13, s11, s9
	s_cmp_ge_u32 s11, s9
	s_cselect_b32 s8, s12, s8
	s_cselect_b32 s11, s13, s11
	s_add_i32 s12, s8, 1
	s_cmp_ge_u32 s11, s9
	s_cselect_b32 s8, s12, s8
	s_xor_b32 s8, s8, s10
	s_sub_i32 s31, s8, s10
	s_clause 0x1
	s_load_dwordx16 s[8:23], s[4:5], 0x0
	s_load_dwordx2 s[38:39], s[4:5], 0xb8
	s_abs_i32 s29, s31
	v_cvt_f32_u32_e32 v2, s29
	v_rcp_iflag_f32_e32 v2, v2
	v_mul_f32_e32 v2, 0x4f7ffffe, v2
	s_waitcnt lgkmcnt(0)
	s_cmp_eq_u64 s[14:15], 0
	v_cvt_u32_f32_e32 v2, v2
	v_readfirstlane_b32 s33, v2
	s_cbranch_scc1 .LBB80_2
; %bb.1:
	s_abs_i32 s26, s38
	s_abs_i32 s27, s7
	v_cvt_f32_u32_e32 v2, s26
	s_sub_i32 s25, 0, s26
	v_rcp_iflag_f32_e32 v2, v2
	v_mul_f32_e32 v2, 0x4f7ffffe, v2
	v_cvt_u32_f32_e32 v2, v2
	v_readfirstlane_b32 s24, v2
	s_mul_i32 s25, s25, s24
	s_mul_hi_u32 s25, s24, s25
	s_add_i32 s24, s24, s25
	s_mul_hi_u32 s35, s27, s24
	s_load_dwordx2 s[24:25], s[4:5], 0xc8
	s_mul_i32 s35, s35, s26
	s_sub_i32 s27, s27, s35
	s_ashr_i32 s35, s7, 31
	s_sub_i32 s36, s27, s26
	s_cmp_ge_u32 s27, s26
	s_cselect_b32 s27, s36, s27
	s_sub_i32 s36, s27, s26
	s_cmp_ge_u32 s27, s26
	s_cselect_b32 s26, s36, s27
	s_xor_b32 s26, s26, s35
	s_sub_i32 s26, s26, s35
	s_ashr_i32 s27, s26, 31
	s_waitcnt lgkmcnt(0)
	s_mul_hi_u32 s35, s24, s26
	s_mul_i32 s27, s24, s27
	s_mul_i32 s25, s25, s26
	s_add_i32 s27, s35, s27
	s_mul_i32 s24, s24, s26
	s_add_i32 s27, s27, s25
	s_add_u32 s36, s14, s24
	s_addc_u32 s37, s15, s27
.LBB80_2:
	v_lshlrev_b32_e32 v25, 2, v1
	s_lshl_b32 s14, s6, 5
	v_lshlrev_b32_e32 v18, 3, v1
	s_load_dwordx4 s[24:27], s[4:5], 0x70
	v_add_nc_u32_e32 v26, s14, v25
	v_or_b32_e32 v38, 2, v18
	v_or_b32_e32 v56, 3, v18
	;; [unrolled: 1-line block ×3, first 2 shown]
	v_mul_hi_u32 v2, v26, s0
	v_or_b32_e32 v58, 5, v18
	v_lshrrev_b32_e32 v37, 1, v38
	v_lshrrev_b32_e32 v34, 1, v56
	;; [unrolled: 1-line block ×3, first 2 shown]
	v_or_b32_e32 v59, 6, v18
	v_lshrrev_b32_e32 v30, 1, v58
	v_add_nc_u32_e32 v39, s14, v37
	v_add_nc_u32_e32 v2, v26, v2
	;; [unrolled: 1-line block ×5, first 2 shown]
	v_mul_hi_u32 v3, v39, s0
	v_lshrrev_b32_e32 v2, s1, v2
	s_waitcnt lgkmcnt(0)
	s_mul_i32 s15, s7, s26
	v_mul_hi_u32 v6, v36, s0
	s_mul_i32 s26, s30, s25
	s_ashr_i32 s27, s15, 31
	v_mul_lo_u32 v2, v2, s2
	s_add_u32 s8, s8, s15
	v_add_nc_u32_e32 v4, v39, v3
	s_addc_u32 s9, s9, s27
	s_ashr_i32 s27, s26, 31
	s_add_u32 s15, s8, s26
	s_mov_b32 s40, s24
	s_addc_u32 s26, s9, s27
	v_sub_nc_u32_e32 v3, v26, v2
	v_lshrrev_b32_e32 v2, s1, v4
	s_ashr_i32 s41, s24, 31
	v_add_nc_u32_e32 v6, v36, v6
	s_lshr_b64 s[8:9], s[40:41], 2
	s_lshr_b32 s9, s41, 2
	v_mul_lo_u32 v7, v2, s2
	v_mad_u64_u32 v[4:5], null, s8, v3, 0
	v_lshrrev_b32_e32 v8, s1, v6
	s_ashr_i32 s24, s25, 31
	s_and_b32 s25, s25, -4
	v_lshlrev_b32_e32 v2, 4, v0
	s_add_u32 s25, s15, s25
	v_sub_nc_u32_e32 v7, v39, v7
	v_mad_u64_u32 v[5:6], null, s9, v3, v[5:6]
	v_mul_lo_u32 v6, v8, s2
	s_addc_u32 s24, s26, s24
	v_mad_u64_u32 v[13:14], null, s8, v7, 0
	v_mul_hi_u32 v8, v35, s0
	v_mul_hi_u32 v20, v33, s0
	v_lshlrev_b64 v[4:5], 2, v[4:5]
	v_lshrrev_b32_e32 v29, 1, v59
	v_sub_nc_u32_e32 v17, v36, v6
	v_or_b32_e32 v60, 7, v18
	v_mov_b32_e32 v6, v14
	s_cmp_eq_u64 s[18:19], 0
	v_add_nc_u32_e32 v19, v35, v8
	v_mad_u64_u32 v[15:16], null, s8, v17, 0
	v_mad_u64_u32 v[6:7], null, s9, v7, v[6:7]
	v_add_co_u32 v7, vcc_lo, s15, v4
	v_add_co_ci_u32_e64 v9, null, s26, v5, vcc_lo
	v_add_co_u32 v10, vcc_lo, s25, v4
	v_add_co_ci_u32_e64 v11, null, s24, v5, vcc_lo
	;; [unrolled: 2-line block ×4, first 2 shown]
	v_mov_b32_e32 v14, v6
	s_clause 0x1
	global_load_dwordx4 v[5:8], v[4:5], off
	global_load_dwordx4 v[9:12], v[9:10], off
	v_mov_b32_e32 v4, v16
	v_lshrrev_b32_e32 v19, s1, v19
	v_add_nc_u32_e32 v31, s14, v29
	v_lshrrev_b32_e32 v27, 1, v60
	v_lshlrev_b64 v[13:14], 2, v[13:14]
	v_add_nc_u32_e32 v28, s14, v27
	v_add_co_u32 v18, vcc_lo, s15, v13
	v_mul_hi_u32 v22, v28, s0
	v_add_nc_u32_e32 v24, v28, v22
	v_lshrrev_b32_e32 v24, s1, v24
	s_waitcnt vmcnt(1)
	v_mad_u64_u32 v[16:17], null, s9, v17, v[4:5]
	v_mul_lo_u32 v4, v19, s2
	v_add_nc_u32_e32 v17, v33, v20
	v_mul_hi_u32 v20, v31, s0
	v_add_co_ci_u32_e64 v19, null, s26, v14, vcc_lo
	v_lshlrev_b64 v[15:16], 2, v[15:16]
	v_sub_nc_u32_e32 v21, v35, v4
	v_lshrrev_b32_e32 v4, s1, v17
	v_add_nc_u32_e32 v20, v31, v20
	v_add_co_u32 v17, vcc_lo, v18, v2
	v_mad_u64_u32 v[13:14], null, s8, v21, 0
	v_mul_lo_u32 v4, v4, s2
	v_add_co_ci_u32_e64 v18, null, 0, v19, vcc_lo
	v_add_co_u32 v40, vcc_lo, s25, v15
	v_add_co_ci_u32_e64 v41, null, s24, v16, vcc_lo
	v_sub_nc_u32_e32 v23, v33, v4
	v_mov_b32_e32 v4, v14
	v_lshrrev_b32_e32 v14, s1, v20
	v_mad_u64_u32 v[19:20], null, s8, v23, 0
	v_mad_u64_u32 v[21:22], null, s9, v21, v[4:5]
	v_mul_lo_u32 v22, v14, s2
	v_mov_b32_e32 v4, v20
	v_mul_lo_u32 v20, v24, s2
	v_mov_b32_e32 v14, v21
	v_sub_nc_u32_e32 v42, v31, v22
	v_mad_u64_u32 v[15:16], null, s9, v23, v[4:5]
	v_lshlrev_b64 v[13:14], 2, v[13:14]
	v_add_co_u32 v23, vcc_lo, v40, v2
	v_mad_u64_u32 v[21:22], null, s8, v42, 0
	v_sub_nc_u32_e32 v43, v28, v20
	v_mov_b32_e32 v20, v15
	v_add_co_ci_u32_e64 v24, null, 0, v41, vcc_lo
	v_mad_u64_u32 v[48:49], null, s8, v43, 0
	v_mov_b32_e32 v4, v22
	v_add_co_u32 v22, vcc_lo, s15, v13
	v_add_co_ci_u32_e64 v41, null, s26, v14, vcc_lo
	v_mad_u64_u32 v[15:16], null, s9, v42, v[4:5]
	v_mov_b32_e32 v4, v49
	v_lshlrev_b64 v[13:14], 2, v[19:20]
	v_add_co_u32 v40, vcc_lo, v22, v2
	v_add_co_ci_u32_e64 v41, null, 0, v41, vcc_lo
	v_mad_u64_u32 v[19:20], null, s9, v43, v[4:5]
	v_add_co_u32 v4, vcc_lo, s25, v13
	v_add_co_ci_u32_e64 v13, null, s24, v14, vcc_lo
	v_mov_b32_e32 v22, v15
	v_add_co_u32 v44, vcc_lo, v4, v2
	v_mov_b32_e32 v49, v19
	v_add_co_ci_u32_e64 v45, null, 0, v13, vcc_lo
	v_lshlrev_b64 v[50:51], 2, v[21:22]
	s_clause 0x3
	global_load_dwordx4 v[13:16], v[17:18], off
	global_load_dwordx4 v[18:21], v[23:24], off
	;; [unrolled: 1-line block ×4, first 2 shown]
	v_lshlrev_b64 v[22:23], 2, v[48:49]
	s_load_dword s8, s[4:5], 0x40
	v_add_co_u32 v4, vcc_lo, s15, v50
	v_add_co_ci_u32_e64 v17, null, s26, v51, vcc_lo
	v_add_co_u32 v24, vcc_lo, s25, v22
	v_add_co_ci_u32_e64 v48, null, s24, v23, vcc_lo
	;; [unrolled: 2-line block ×4, first 2 shown]
	s_clause 0x1
	global_load_dwordx4 v[48:51], v[22:23], off
	global_load_dwordx4 v[52:55], v[52:53], off
	s_waitcnt lgkmcnt(0)
	v_fma_mixlo_f16 v5, s8, v5, 0
	v_fma_mixlo_f16 v6, s8, v6, 0
	;; [unrolled: 1-line block ×4, first 2 shown]
	s_waitcnt vmcnt(6)
	v_fma_mixlo_f16 v9, s8, v9, 0
	v_fma_mixlo_f16 v10, s8, v10, 0
	v_fma_mixlo_f16 v11, s8, v11, 0
	v_fma_mixlo_f16 v12, s8, v12, 0
	v_lshlrev_b32_e32 v6, 16, v6
	v_and_b32_e32 v5, 0xffff, v5
	v_lshlrev_b32_e32 v8, 16, v8
	v_and_b32_e32 v7, 0xffff, v7
	;; [unrolled: 2-line block ×4, first 2 shown]
	v_lshlrev_b32_e32 v4, 3, v0
	v_lshlrev_b32_e32 v17, 11, v1
	v_or_b32_e32 v5, v6, v5
	v_or3_b32 v6, v8, v7, 0
	v_or_b32_e32 v7, v10, v9
	v_or3_b32 v8, v12, v11, 0
	;; [unrolled: 2-line block ×3, first 2 shown]
	v_lshl_add_u32 v23, v38, 8, v4
	v_or3_b32 v7, 0, 0, v7
	v_lshl_add_u32 v24, v56, 8, v4
	v_lshl_add_u32 v38, v57, 8, v4
	;; [unrolled: 1-line block ×4, first 2 shown]
	ds_write2_b64 v22, v[5:6], v[7:8] offset1:32
	v_lshl_add_u32 v58, v60, 8, v4
	s_waitcnt vmcnt(5)
	v_fma_mixlo_f16 v9, s8, v13, 0
	v_fma_mixlo_f16 v10, s8, v14, 0
	s_waitcnt vmcnt(4)
	v_fma_mixlo_f16 v13, s8, v18, 0
	v_fma_mixlo_f16 v14, s8, v19, 0
	s_waitcnt vmcnt(3)
	v_fma_mixlo_f16 v18, s8, v40, 0
	v_fma_mixlo_f16 v19, s8, v41, 0
	v_fma_mixlo_f16 v11, s8, v15, 0
	v_fma_mixlo_f16 v12, s8, v16, 0
	s_waitcnt vmcnt(2)
	v_fma_mixlo_f16 v40, s8, v44, 0
	v_fma_mixlo_f16 v41, s8, v45, 0
	;; [unrolled: 1-line block ×4, first 2 shown]
	v_lshlrev_b32_e32 v10, 16, v10
	v_and_b32_e32 v9, 0xffff, v9
	v_lshlrev_b32_e32 v14, 16, v14
	v_and_b32_e32 v13, 0xffff, v13
	v_fma_mixlo_f16 v20, s8, v42, 0
	v_fma_mixlo_f16 v21, s8, v43, 0
	v_lshlrev_b32_e32 v19, 16, v19
	v_and_b32_e32 v18, 0xffff, v18
	v_fma_mixlo_f16 v42, s8, v46, 0
	v_fma_mixlo_f16 v43, s8, v47, 0
	v_lshlrev_b32_e32 v12, 16, v12
	v_and_b32_e32 v11, 0xffff, v11
	v_lshlrev_b32_e32 v41, 16, v41
	s_waitcnt vmcnt(1)
	v_fma_mixlo_f16 v44, s8, v48, 0
	v_fma_mixlo_f16 v45, s8, v49, 0
	s_waitcnt vmcnt(0)
	v_fma_mixlo_f16 v48, s8, v52, 0
	v_fma_mixlo_f16 v49, s8, v53, 0
	v_and_b32_e32 v40, 0xffff, v40
	v_fma_mixlo_f16 v46, s8, v50, 0
	v_fma_mixlo_f16 v47, s8, v51, 0
	v_lshlrev_b32_e32 v45, 16, v45
	v_and_b32_e32 v44, 0xffff, v44
	v_fma_mixlo_f16 v50, s8, v54, 0
	v_fma_mixlo_f16 v51, s8, v55, 0
	v_lshlrev_b32_e32 v16, 16, v16
	v_and_b32_e32 v15, 0xffff, v15
	v_lshlrev_b32_e32 v49, 16, v49
	v_and_b32_e32 v48, 0xffff, v48
	v_or_b32_e32 v5, v10, v9
	v_or_b32_e32 v7, v14, v13
	v_lshlrev_b32_e32 v21, 16, v21
	v_and_b32_e32 v20, 0xffff, v20
	v_or_b32_e32 v9, v19, v18
	v_lshlrev_b32_e32 v43, 16, v43
	v_and_b32_e32 v42, 0xffff, v42
	v_or3_b32 v6, v12, v11, 0
	v_or_b32_e32 v11, v41, v40
	v_lshlrev_b32_e32 v47, 16, v47
	v_and_b32_e32 v46, 0xffff, v46
	v_or_b32_e32 v13, v45, v44
	v_lshlrev_b32_e32 v51, 16, v51
	v_and_b32_e32 v50, 0xffff, v50
	v_or3_b32 v8, v16, v15, 0
	v_or_b32_e32 v15, v49, v48
	v_or3_b32 v5, 0, 0, v5
	v_or3_b32 v7, 0, 0, v7
	;; [unrolled: 1-line block ×10, first 2 shown]
	ds_write_b64 v23, v[5:6]
	ds_write_b64 v24, v[7:8]
	;; [unrolled: 1-line block ×6, first 2 shown]
	s_waitcnt lgkmcnt(0)
	s_barrier
	buffer_gl0_inv
	s_cbranch_scc1 .LBB80_4
; %bb.3:
	s_load_dword s8, s[4:5], 0xd0
	s_mov_b32 s9, 0
	s_waitcnt lgkmcnt(0)
	s_mul_i32 s8, s8, s7
	s_add_i32 s8, s8, s6
	s_lshl_b64 s[8:9], s[8:9], 2
	s_add_u32 s8, s18, s8
	s_addc_u32 s9, s19, s9
	s_load_dword s34, s[8:9], 0x0
.LBB80_4:
	v_mbcnt_lo_u32_b32 v19, -1, 0
	s_lshl_b32 s6, s28, 6
	s_waitcnt lgkmcnt(0)
	s_cmp_lt_i32 s6, s34
	s_cbranch_scc1 .LBB80_7
; %bb.5:
	v_mbcnt_lo_u32_b32 v9, -1, 0
	v_mov_b32_e32 v18, 32
	v_xor_b32_e32 v86, 16, v9
	v_xor_b32_e32 v84, 8, v9
	v_xor_b32_e32 v83, 4, v9
	v_xor_b32_e32 v82, 2, v9
	v_xor_b32_e32 v81, 1, v9
	v_lshlrev_b32_e32 v38, 2, v0
	s_cbranch_execz .LBB80_8
; %bb.6:
	v_mov_b32_e32 v64, 0
	v_mov_b32_e32 v92, 0
	;; [unrolled: 1-line block ×32, first 2 shown]
	s_branch .LBB80_76
.LBB80_7:
                                        ; implicit-def: $vgpr9
                                        ; implicit-def: $vgpr18
                                        ; implicit-def: $vgpr86
                                        ; implicit-def: $vgpr84
                                        ; implicit-def: $vgpr83
                                        ; implicit-def: $vgpr82
                                        ; implicit-def: $vgpr81
	v_lshlrev_b32_e32 v38, 2, v0
.LBB80_8:
	s_clause 0x1
	s_load_dwordx4 s[24:27], s[4:5], 0x98
	s_load_dwordx2 s[18:19], s[4:5], 0x8c
	v_add_nc_u32_e32 v9, 1, v26
	v_lshrrev_b32_e32 v5, 3, v0
	v_and_b32_e32 v11, 28, v38
	v_add_nc_u32_e32 v10, 2, v26
	v_add_nc_u32_e32 v12, 3, v26
	v_mul_hi_u32 v7, s0, v9
	v_add_nc_u32_e32 v5, v5, v25
	v_lshlrev_b32_e32 v6, 2, v11
	v_mul_hi_u32 v8, s0, v10
	v_mul_hi_u32 v13, s0, v12
	s_sub_i32 s8, 0, s29
	s_ashr_i32 s41, s7, 31
	v_mad_u32_u24 v14, 0x90, v5, v6
	v_add_nc_u32_e32 v6, v9, v7
	s_mul_i32 s8, s8, s33
	s_abs_i32 s15, s30
	s_mul_hi_u32 s8, s33, s8
	v_add_nc_u32_e32 v7, v10, v8
	v_add_nc_u32_e32 v8, v12, v13
	v_lshrrev_b32_e32 v13, s1, v6
	s_add_i32 s33, s33, s8
	s_waitcnt lgkmcnt(0)
	s_ashr_i32 s8, s26, 2
	s_ashr_i32 s9, s18, 2
	s_mul_hi_u32 s18, s24, s7
	s_mul_i32 s26, s24, s41
	s_mul_hi_u32 s33, s15, s33
	s_mul_i32 s25, s25, s7
	s_add_i32 s18, s18, s26
	v_lshrrev_b32_e32 v15, 4, v0
	s_mul_i32 s24, s24, s7
	s_ashr_i32 s35, s30, 31
	s_ashr_i32 s31, s31, 31
	;; [unrolled: 1-line block ×3, first 2 shown]
	s_load_dwordx2 s[38:39], s[4:5], 0xa8
	s_mul_i32 s42, s33, s29
	s_add_i32 s18, s18, s25
	v_mul_lo_u32 v13, v13, s2
	s_add_u32 s24, s10, s24
	s_addc_u32 s18, s11, s18
	s_sub_i32 s15, s15, s42
	v_lshl_add_u32 v15, v1, 1, v15
	s_xor_b32 s11, s35, s31
	s_add_i32 s25, s33, 1
	s_sub_i32 s26, s15, s29
	s_cmp_ge_u32 s15, s29
	v_add_nc_u32_e32 v20, 0x4000, v14
	v_add_nc_u32_e32 v21, 0x5200, v14
	v_lshrrev_b32_e32 v14, s1, v7
	v_lshrrev_b32_e32 v8, s1, v8
	v_and_b32_e32 v48, 60, v38
	s_cselect_b32 s25, s25, s33
	s_cselect_b32 s15, s26, s15
	v_mul_lo_u32 v5, s9, v5
	v_sub_nc_u32_e32 v9, v9, v13
	v_mul_lo_u32 v13, s8, v15
	s_add_i32 s26, s25, 1
	s_cmp_ge_u32 s15, s29
	v_mul_lo_u32 v14, v14, s2
	v_mul_lo_u32 v16, v8, s2
	v_lshlrev_b32_e32 v18, 2, v48
	s_load_dword s10, s[4:5], 0x54
	s_cselect_b32 s15, s26, s25
	v_lshl_add_u32 v7, s9, 5, v5
	s_xor_b32 s15, s15, s11
	v_mul_lo_u32 v23, v3, s40
	s_sub_i32 s29, s15, s11
	v_lshl_or_b32 v3, v15, 8, v18
	v_lshl_add_u32 v15, s8, 4, v13
	s_mul_i32 s11, s29, s19
	v_sub_nc_u32_e32 v10, v10, v14
	v_sub_nc_u32_e32 v12, v12, v16
	s_waitcnt lgkmcnt(0)
	s_mul_hi_u32 s25, s38, s7
	s_mul_i32 s26, s38, s41
	s_ashr_i32 s15, s11, 31
	s_add_u32 s11, s24, s11
	v_ashrrev_i32_e32 v6, 31, v5
	v_ashrrev_i32_e32 v8, 31, v7
	;; [unrolled: 1-line block ×4, first 2 shown]
	s_mul_i32 s31, s39, s7
	s_addc_u32 s15, s18, s15
	s_add_i32 s18, s25, s26
	v_lshl_add_u32 v42, v1, 10, 0x6400
	s_mul_i32 s19, s38, s7
	s_mul_i32 s29, s29, s27
	s_add_i32 s18, s18, s31
	v_mul_lo_u32 v24, v9, s40
	v_mul_lo_u32 v40, v10, s40
	;; [unrolled: 1-line block ×3, first 2 shown]
	s_add_u32 s12, s12, s19
	s_movk_i32 s0, 0x4000
	s_addc_u32 s13, s13, s18
	s_ashr_i32 s18, s29, 31
	v_lshlrev_b64 v[9:10], 2, v[5:6]
	v_lshlrev_b32_e32 v46, 2, v11
	v_lshlrev_b64 v[11:12], 2, v[7:8]
	v_lshlrev_b64 v[13:14], 2, v[13:14]
	v_lshlrev_b64 v[15:16], 2, v[15:16]
	s_add_u32 s12, s12, s29
	v_mov_b32_e32 v50, 0
	v_mad_u32_u24 v22, 0x90, v0, s0
	v_add_nc_u32_e32 v43, 0x4000, v3
	v_add_nc_u32_e32 v44, 0x5000, v3
	v_or_b32_e32 v45, 0x4000, v4
	v_mov_b32_e32 v79, 0xfeffffff
	v_mov_b32_e32 v18, 32
	v_add_nc_u32_e32 v47, v42, v2
	v_lshlrev_b32_e32 v48, 2, v48
	v_mov_b32_e32 v49, 0x10001
	v_mov_b32_e32 v51, 0
	;; [unrolled: 1-line block ×31, first 2 shown]
	s_addc_u32 s13, s13, s18
	s_add_u32 s0, s4, 0xd0
	s_addc_u32 s1, s5, 0
	s_mov_b32 s18, 0xbbbac73d
.LBB80_9:                               ; =>This Inner Loop Header: Depth=1
	s_mul_hi_i32 s25, s6, s9
	s_mul_i32 s24, s6, s9
	v_mov_b32_e32 v81, 0
	s_lshl_b64 s[24:25], s[24:25], 2
	v_mov_b32_e32 v94, 0
	s_add_u32 s19, s11, s24
	s_addc_u32 s24, s15, s25
	v_add_co_u32 v1, vcc_lo, s19, v9
	v_add_co_ci_u32_e64 v2, null, s24, v10, vcc_lo
	v_add_co_u32 v3, vcc_lo, s19, v11
	v_add_co_ci_u32_e64 v4, null, s24, v12, vcc_lo
	;; [unrolled: 2-line block ×4, first 2 shown]
	s_clause 0x1
	global_load_dwordx4 v[82:85], v[1:2], off
	global_load_dwordx4 v[95:98], v[3:4], off
	v_mov_b32_e32 v92, 0
	v_mov_b32_e32 v91, 0
	;; [unrolled: 1-line block ×10, first 2 shown]
	s_waitcnt vmcnt(1)
	ds_write_b128 v20, v[82:85]
	s_waitcnt vmcnt(0)
	ds_write_b128 v21, v[95:98]
	s_waitcnt lgkmcnt(0)
	s_barrier
	buffer_gl0_inv
	ds_read_b128 v[97:100], v22
	ds_read_b128 v[101:104], v17
	ds_read_b128 v[105:108], v17 offset:256
	ds_read_b128 v[109:112], v17 offset:512
	;; [unrolled: 1-line block ×8, first 2 shown]
	v_mov_b32_e32 v82, 0
	v_mov_b32_e32 v96, 0
	;; [unrolled: 1-line block ×4, first 2 shown]
	s_waitcnt lgkmcnt(8)
	;;#ASMSTART
	v_dot2_f32_f16 v81, v97, v101, v81
	;;#ASMEND
	;;#ASMSTART
	v_dot2_f32_f16 v81, v98, v102, v81
	;;#ASMEND
	;;#ASMSTART
	v_dot2_f32_f16 v81, v99, v103, v81
	;;#ASMEND
	;;#ASMSTART
	v_dot2_f32_f16 v81, v100, v104, v81
	;;#ASMEND
	s_waitcnt lgkmcnt(7)
	;;#ASMSTART
	v_dot2_f32_f16 v94, v97, v105, v94
	;;#ASMEND
	;;#ASMSTART
	v_dot2_f32_f16 v94, v98, v106, v94
	;;#ASMEND
	;;#ASMSTART
	v_dot2_f32_f16 v94, v99, v107, v94
	;;#ASMEND
	;;#ASMSTART
	v_dot2_f32_f16 v94, v100, v108, v94
	;;#ASMEND
	;; [unrolled: 13-line block ×8, first 2 shown]
	;;#ASMSTART
	v_dot2_f32_f16 v82, v117, v101, v82
	;;#ASMEND
	;;#ASMSTART
	v_dot2_f32_f16 v82, v118, v102, v82
	;;#ASMEND
	;; [unrolled: 3-line block ×32, first 2 shown]
	ds_read_b128 v[97:100], v22 offset:16
	ds_read_b128 v[101:104], v17 offset:16
	;; [unrolled: 1-line block ×10, first 2 shown]
	s_waitcnt lgkmcnt(8)
	;;#ASMSTART
	v_dot2_f32_f16 v81, v97, v101, v81
	;;#ASMEND
	;;#ASMSTART
	v_dot2_f32_f16 v81, v98, v102, v81
	;;#ASMEND
	;;#ASMSTART
	v_dot2_f32_f16 v81, v99, v103, v81
	;;#ASMEND
	;;#ASMSTART
	v_dot2_f32_f16 v81, v100, v104, v81
	;;#ASMEND
	s_waitcnt lgkmcnt(7)
	;;#ASMSTART
	v_dot2_f32_f16 v94, v97, v105, v94
	;;#ASMEND
	;;#ASMSTART
	v_dot2_f32_f16 v94, v98, v106, v94
	;;#ASMEND
	;;#ASMSTART
	v_dot2_f32_f16 v94, v99, v107, v94
	;;#ASMEND
	;;#ASMSTART
	v_dot2_f32_f16 v94, v100, v108, v94
	;;#ASMEND
	;; [unrolled: 13-line block ×8, first 2 shown]
	;;#ASMSTART
	v_dot2_f32_f16 v82, v117, v101, v82
	;;#ASMEND
	;;#ASMSTART
	v_dot2_f32_f16 v82, v118, v102, v82
	;;#ASMEND
	;; [unrolled: 3-line block ×32, first 2 shown]
	ds_read_b128 v[97:100], v22 offset:32
	ds_read_b128 v[101:104], v17 offset:32
	;; [unrolled: 1-line block ×10, first 2 shown]
	s_waitcnt lgkmcnt(8)
	;;#ASMSTART
	v_dot2_f32_f16 v81, v97, v101, v81
	;;#ASMEND
	;;#ASMSTART
	v_dot2_f32_f16 v81, v98, v102, v81
	;;#ASMEND
	;;#ASMSTART
	v_dot2_f32_f16 v81, v99, v103, v81
	;;#ASMEND
	;;#ASMSTART
	v_dot2_f32_f16 v81, v100, v104, v81
	;;#ASMEND
	s_waitcnt lgkmcnt(7)
	;;#ASMSTART
	v_dot2_f32_f16 v94, v97, v105, v94
	;;#ASMEND
	;;#ASMSTART
	v_dot2_f32_f16 v94, v98, v106, v94
	;;#ASMEND
	;;#ASMSTART
	v_dot2_f32_f16 v94, v99, v107, v94
	;;#ASMEND
	;;#ASMSTART
	v_dot2_f32_f16 v94, v100, v108, v94
	;;#ASMEND
	;; [unrolled: 13-line block ×8, first 2 shown]
	;;#ASMSTART
	v_dot2_f32_f16 v82, v117, v101, v82
	;;#ASMEND
	;;#ASMSTART
	v_dot2_f32_f16 v82, v118, v102, v82
	;;#ASMEND
	;; [unrolled: 3-line block ×32, first 2 shown]
	ds_read_b128 v[97:100], v22 offset:48
	ds_read_b128 v[101:104], v17 offset:48
	;; [unrolled: 1-line block ×10, first 2 shown]
	s_waitcnt lgkmcnt(8)
	;;#ASMSTART
	v_dot2_f32_f16 v81, v97, v101, v81
	;;#ASMEND
	;;#ASMSTART
	v_dot2_f32_f16 v81, v98, v102, v81
	;;#ASMEND
	;;#ASMSTART
	v_dot2_f32_f16 v81, v99, v103, v81
	;;#ASMEND
	;;#ASMSTART
	v_dot2_f32_f16 v81, v100, v104, v81
	;;#ASMEND
	s_waitcnt lgkmcnt(7)
	;;#ASMSTART
	v_dot2_f32_f16 v94, v97, v105, v94
	;;#ASMEND
	;;#ASMSTART
	v_dot2_f32_f16 v94, v98, v106, v94
	;;#ASMEND
	;;#ASMSTART
	v_dot2_f32_f16 v94, v99, v107, v94
	;;#ASMEND
	;;#ASMSTART
	v_dot2_f32_f16 v94, v100, v108, v94
	;;#ASMEND
	s_waitcnt lgkmcnt(6)
	;;#ASMSTART
	v_dot2_f32_f16 v92, v97, v109, v92
	;;#ASMEND
	;;#ASMSTART
	v_dot2_f32_f16 v92, v98, v110, v92
	;;#ASMEND
	;;#ASMSTART
	v_dot2_f32_f16 v92, v99, v111, v92
	;;#ASMEND
	;;#ASMSTART
	v_dot2_f32_f16 v92, v100, v112, v92
	;;#ASMEND
	s_waitcnt lgkmcnt(5)
	;;#ASMSTART
	v_dot2_f32_f16 v91, v97, v113, v91
	;;#ASMEND
	;;#ASMSTART
	v_dot2_f32_f16 v91, v98, v114, v91
	;;#ASMEND
	;;#ASMSTART
	v_dot2_f32_f16 v91, v99, v115, v91
	;;#ASMEND
	;;#ASMSTART
	v_dot2_f32_f16 v91, v100, v116, v91
	;;#ASMEND
	s_waitcnt lgkmcnt(3)
	;;#ASMSTART
	v_dot2_f32_f16 v88, v97, v121, v88
	;;#ASMEND
	;;#ASMSTART
	v_dot2_f32_f16 v88, v98, v122, v88
	;;#ASMEND
	;;#ASMSTART
	v_dot2_f32_f16 v88, v99, v123, v88
	;;#ASMEND
	;;#ASMSTART
	v_dot2_f32_f16 v88, v100, v124, v88
	;;#ASMEND
	s_waitcnt lgkmcnt(2)
	;;#ASMSTART
	v_dot2_f32_f16 v87, v97, v125, v87
	;;#ASMEND
	;;#ASMSTART
	v_dot2_f32_f16 v87, v98, v126, v87
	;;#ASMEND
	;;#ASMSTART
	v_dot2_f32_f16 v87, v99, v127, v87
	;;#ASMEND
	;;#ASMSTART
	v_dot2_f32_f16 v87, v100, v128, v87
	;;#ASMEND
	s_waitcnt lgkmcnt(1)
	;;#ASMSTART
	v_dot2_f32_f16 v7, v97, v129, v7
	;;#ASMEND
	;;#ASMSTART
	v_dot2_f32_f16 v7, v98, v130, v7
	;;#ASMEND
	;;#ASMSTART
	v_dot2_f32_f16 v7, v99, v131, v7
	;;#ASMEND
	;;#ASMSTART
	v_dot2_f32_f16 v7, v100, v132, v7
	;;#ASMEND
	s_waitcnt lgkmcnt(0)
	;;#ASMSTART
	v_dot2_f32_f16 v5, v97, v133, v5
	;;#ASMEND
	;;#ASMSTART
	v_dot2_f32_f16 v5, v98, v134, v5
	;;#ASMEND
	;;#ASMSTART
	v_dot2_f32_f16 v5, v99, v135, v5
	;;#ASMEND
	;;#ASMSTART
	v_dot2_f32_f16 v5, v100, v136, v5
	;;#ASMEND
	;;#ASMSTART
	v_dot2_f32_f16 v82, v117, v101, v82
	;;#ASMEND
	;;#ASMSTART
	v_dot2_f32_f16 v82, v118, v102, v82
	;;#ASMEND
	;; [unrolled: 3-line block ×32, first 2 shown]
	ds_read_b128 v[97:100], v22 offset:64
	ds_read_b128 v[101:104], v17 offset:64
	;; [unrolled: 1-line block ×10, first 2 shown]
	s_waitcnt lgkmcnt(8)
	;;#ASMSTART
	v_dot2_f32_f16 v81, v97, v101, v81
	;;#ASMEND
	;;#ASMSTART
	v_dot2_f32_f16 v81, v98, v102, v81
	;;#ASMEND
	;;#ASMSTART
	v_dot2_f32_f16 v81, v99, v103, v81
	;;#ASMEND
	;;#ASMSTART
	v_dot2_f32_f16 v81, v100, v104, v81
	;;#ASMEND
	s_waitcnt lgkmcnt(7)
	;;#ASMSTART
	v_dot2_f32_f16 v94, v97, v105, v94
	;;#ASMEND
	;;#ASMSTART
	v_dot2_f32_f16 v94, v98, v106, v94
	;;#ASMEND
	;;#ASMSTART
	v_dot2_f32_f16 v94, v99, v107, v94
	;;#ASMEND
	;;#ASMSTART
	v_dot2_f32_f16 v94, v100, v108, v94
	;;#ASMEND
	;; [unrolled: 13-line block ×8, first 2 shown]
	;;#ASMSTART
	v_dot2_f32_f16 v82, v117, v101, v82
	;;#ASMEND
	;;#ASMSTART
	v_dot2_f32_f16 v82, v118, v102, v82
	;;#ASMEND
	;; [unrolled: 3-line block ×32, first 2 shown]
	ds_read_b128 v[97:100], v22 offset:80
	ds_read_b128 v[101:104], v17 offset:80
	;; [unrolled: 1-line block ×10, first 2 shown]
	s_waitcnt lgkmcnt(8)
	;;#ASMSTART
	v_dot2_f32_f16 v81, v97, v101, v81
	;;#ASMEND
	;;#ASMSTART
	v_dot2_f32_f16 v81, v98, v102, v81
	;;#ASMEND
	;;#ASMSTART
	v_dot2_f32_f16 v81, v99, v103, v81
	;;#ASMEND
	;;#ASMSTART
	v_dot2_f32_f16 v81, v100, v104, v81
	;;#ASMEND
	s_waitcnt lgkmcnt(7)
	;;#ASMSTART
	v_dot2_f32_f16 v94, v97, v105, v94
	;;#ASMEND
	;;#ASMSTART
	v_dot2_f32_f16 v94, v98, v106, v94
	;;#ASMEND
	;;#ASMSTART
	v_dot2_f32_f16 v94, v99, v107, v94
	;;#ASMEND
	;;#ASMSTART
	v_dot2_f32_f16 v94, v100, v108, v94
	;;#ASMEND
	;; [unrolled: 13-line block ×8, first 2 shown]
	;;#ASMSTART
	v_dot2_f32_f16 v82, v117, v101, v82
	;;#ASMEND
	;;#ASMSTART
	v_dot2_f32_f16 v82, v118, v102, v82
	;;#ASMEND
	;; [unrolled: 3-line block ×32, first 2 shown]
	ds_read_b128 v[97:100], v22 offset:96
	ds_read_b128 v[101:104], v17 offset:96
	ds_read_b128 v[105:108], v17 offset:352
	ds_read_b128 v[109:112], v17 offset:608
	ds_read_b128 v[113:116], v17 offset:864
	ds_read_b128 v[117:120], v22 offset:4704
	ds_read_b128 v[121:124], v17 offset:1120
	ds_read_b128 v[125:128], v17 offset:1376
	ds_read_b128 v[129:132], v17 offset:1632
	ds_read_b128 v[133:136], v17 offset:1888
	s_waitcnt lgkmcnt(8)
	;;#ASMSTART
	v_dot2_f32_f16 v81, v97, v101, v81
	;;#ASMEND
	;;#ASMSTART
	v_dot2_f32_f16 v81, v98, v102, v81
	;;#ASMEND
	;;#ASMSTART
	v_dot2_f32_f16 v81, v99, v103, v81
	;;#ASMEND
	;;#ASMSTART
	v_dot2_f32_f16 v81, v100, v104, v81
	;;#ASMEND
	s_waitcnt lgkmcnt(7)
	;;#ASMSTART
	v_dot2_f32_f16 v94, v97, v105, v94
	;;#ASMEND
	;;#ASMSTART
	v_dot2_f32_f16 v94, v98, v106, v94
	;;#ASMEND
	;;#ASMSTART
	v_dot2_f32_f16 v94, v99, v107, v94
	;;#ASMEND
	;;#ASMSTART
	v_dot2_f32_f16 v94, v100, v108, v94
	;;#ASMEND
	;; [unrolled: 13-line block ×8, first 2 shown]
	;;#ASMSTART
	v_dot2_f32_f16 v82, v117, v101, v82
	;;#ASMEND
	;;#ASMSTART
	v_dot2_f32_f16 v82, v118, v102, v82
	;;#ASMEND
	;;#ASMSTART
	v_dot2_f32_f16 v82, v119, v103, v82
	;;#ASMEND
	;;#ASMSTART
	v_dot2_f32_f16 v82, v120, v104, v82
	;;#ASMEND
	;;#ASMSTART
	v_dot2_f32_f16 v96, v117, v105, v96
	;;#ASMEND
	;;#ASMSTART
	v_dot2_f32_f16 v96, v118, v106, v96
	;;#ASMEND
	;;#ASMSTART
	v_dot2_f32_f16 v96, v119, v107, v96
	;;#ASMEND
	;;#ASMSTART
	v_dot2_f32_f16 v96, v120, v108, v96
	;;#ASMEND
	;;#ASMSTART
	v_dot2_f32_f16 v95, v117, v109, v95
	;;#ASMEND
	;;#ASMSTART
	v_dot2_f32_f16 v95, v118, v110, v95
	;;#ASMEND
	;;#ASMSTART
	v_dot2_f32_f16 v95, v119, v111, v95
	;;#ASMEND
	;;#ASMSTART
	v_dot2_f32_f16 v95, v120, v112, v95
	;;#ASMEND
	;;#ASMSTART
	v_dot2_f32_f16 v93, v117, v113, v93
	;;#ASMEND
	;;#ASMSTART
	v_dot2_f32_f16 v93, v118, v114, v93
	;;#ASMEND
	;;#ASMSTART
	v_dot2_f32_f16 v93, v119, v115, v93
	;;#ASMEND
	;;#ASMSTART
	v_dot2_f32_f16 v93, v120, v116, v93
	;;#ASMEND
	;;#ASMSTART
	v_dot2_f32_f16 v90, v117, v121, v90
	;;#ASMEND
	;;#ASMSTART
	v_dot2_f32_f16 v90, v118, v122, v90
	;;#ASMEND
	;;#ASMSTART
	v_dot2_f32_f16 v90, v119, v123, v90
	;;#ASMEND
	;;#ASMSTART
	v_dot2_f32_f16 v90, v120, v124, v90
	;;#ASMEND
	;;#ASMSTART
	v_dot2_f32_f16 v89, v117, v125, v89
	;;#ASMEND
	;;#ASMSTART
	v_dot2_f32_f16 v89, v118, v126, v89
	;;#ASMEND
	;;#ASMSTART
	v_dot2_f32_f16 v89, v119, v127, v89
	;;#ASMEND
	;;#ASMSTART
	v_dot2_f32_f16 v89, v120, v128, v89
	;;#ASMEND
	;;#ASMSTART
	v_dot2_f32_f16 v85, v117, v129, v85
	;;#ASMEND
	;;#ASMSTART
	v_dot2_f32_f16 v85, v118, v130, v85
	;;#ASMEND
	;;#ASMSTART
	v_dot2_f32_f16 v85, v119, v131, v85
	;;#ASMEND
	;;#ASMSTART
	v_dot2_f32_f16 v85, v120, v132, v85
	;;#ASMEND
	;;#ASMSTART
	v_dot2_f32_f16 v6, v117, v133, v6
	;;#ASMEND
	;;#ASMSTART
	v_dot2_f32_f16 v6, v118, v134, v6
	;;#ASMEND
	;;#ASMSTART
	v_dot2_f32_f16 v6, v119, v135, v6
	;;#ASMEND
	;;#ASMSTART
	v_dot2_f32_f16 v6, v120, v136, v6
	;;#ASMEND
	ds_read_b128 v[97:100], v22 offset:112
	ds_read_b128 v[101:104], v17 offset:112
	;; [unrolled: 1-line block ×10, first 2 shown]
	s_waitcnt lgkmcnt(8)
	;;#ASMSTART
	v_dot2_f32_f16 v81, v97, v101, v81
	;;#ASMEND
	;;#ASMSTART
	v_dot2_f32_f16 v81, v98, v102, v81
	;;#ASMEND
	;;#ASMSTART
	v_dot2_f32_f16 v81, v99, v103, v81
	;;#ASMEND
	;;#ASMSTART
	v_dot2_f32_f16 v81, v100, v104, v81
	;;#ASMEND
	s_waitcnt lgkmcnt(7)
	;;#ASMSTART
	v_dot2_f32_f16 v94, v97, v105, v94
	;;#ASMEND
	;;#ASMSTART
	v_dot2_f32_f16 v94, v98, v106, v94
	;;#ASMEND
	;;#ASMSTART
	v_dot2_f32_f16 v94, v99, v107, v94
	;;#ASMEND
	;;#ASMSTART
	v_dot2_f32_f16 v94, v100, v108, v94
	;;#ASMEND
	;; [unrolled: 13-line block ×8, first 2 shown]
	;;#ASMSTART
	v_dot2_f32_f16 v82, v117, v101, v82
	;;#ASMEND
	;;#ASMSTART
	v_dot2_f32_f16 v82, v118, v102, v82
	;;#ASMEND
	;; [unrolled: 3-line block ×32, first 2 shown]
	s_barrier
	buffer_gl0_inv
	s_clause 0x1
	global_load_dwordx4 v[97:100], v[1:2], off offset:128
	global_load_dwordx4 v[1:4], v[3:4], off offset:128
	s_waitcnt vmcnt(1)
	ds_write_b128 v20, v[97:100]
	s_waitcnt vmcnt(0)
	ds_write_b128 v21, v[1:4]
	s_waitcnt lgkmcnt(0)
	s_barrier
	buffer_gl0_inv
	ds_read_b128 v[1:4], v22
	ds_read_b128 v[97:100], v17 offset:128
	ds_read_b128 v[101:104], v17 offset:384
	;; [unrolled: 1-line block ×9, first 2 shown]
	s_waitcnt lgkmcnt(8)
	;;#ASMSTART
	v_dot2_f32_f16 v81, v1, v97, v81
	;;#ASMEND
	;;#ASMSTART
	v_dot2_f32_f16 v81, v2, v98, v81
	;;#ASMEND
	;;#ASMSTART
	v_dot2_f32_f16 v81, v3, v99, v81
	;;#ASMEND
	;;#ASMSTART
	v_dot2_f32_f16 v81, v4, v100, v81
	;;#ASMEND
	s_waitcnt lgkmcnt(7)
	;;#ASMSTART
	v_dot2_f32_f16 v94, v1, v101, v94
	;;#ASMEND
	;;#ASMSTART
	v_dot2_f32_f16 v94, v2, v102, v94
	;;#ASMEND
	;;#ASMSTART
	v_dot2_f32_f16 v94, v3, v103, v94
	;;#ASMEND
	;;#ASMSTART
	v_dot2_f32_f16 v94, v4, v104, v94
	;;#ASMEND
	;; [unrolled: 13-line block ×8, first 2 shown]
	;;#ASMSTART
	v_dot2_f32_f16 v82, v113, v97, v82
	;;#ASMEND
	;;#ASMSTART
	v_dot2_f32_f16 v82, v114, v98, v82
	;;#ASMEND
	;; [unrolled: 3-line block ×32, first 2 shown]
	ds_read_b128 v[1:4], v22 offset:16
	ds_read_b128 v[97:100], v17 offset:144
	;; [unrolled: 1-line block ×10, first 2 shown]
	s_waitcnt lgkmcnt(8)
	;;#ASMSTART
	v_dot2_f32_f16 v81, v1, v97, v81
	;;#ASMEND
	;;#ASMSTART
	v_dot2_f32_f16 v81, v2, v98, v81
	;;#ASMEND
	;;#ASMSTART
	v_dot2_f32_f16 v81, v3, v99, v81
	;;#ASMEND
	;;#ASMSTART
	v_dot2_f32_f16 v81, v4, v100, v81
	;;#ASMEND
	s_waitcnt lgkmcnt(7)
	;;#ASMSTART
	v_dot2_f32_f16 v94, v1, v101, v94
	;;#ASMEND
	;;#ASMSTART
	v_dot2_f32_f16 v94, v2, v102, v94
	;;#ASMEND
	;;#ASMSTART
	v_dot2_f32_f16 v94, v3, v103, v94
	;;#ASMEND
	;;#ASMSTART
	v_dot2_f32_f16 v94, v4, v104, v94
	;;#ASMEND
	;; [unrolled: 13-line block ×8, first 2 shown]
	;;#ASMSTART
	v_dot2_f32_f16 v82, v113, v97, v82
	;;#ASMEND
	;;#ASMSTART
	v_dot2_f32_f16 v82, v114, v98, v82
	;;#ASMEND
	;; [unrolled: 3-line block ×32, first 2 shown]
	ds_read_b128 v[1:4], v22 offset:32
	ds_read_b128 v[97:100], v17 offset:160
	;; [unrolled: 1-line block ×10, first 2 shown]
	s_waitcnt lgkmcnt(8)
	;;#ASMSTART
	v_dot2_f32_f16 v81, v1, v97, v81
	;;#ASMEND
	;;#ASMSTART
	v_dot2_f32_f16 v81, v2, v98, v81
	;;#ASMEND
	;;#ASMSTART
	v_dot2_f32_f16 v81, v3, v99, v81
	;;#ASMEND
	;;#ASMSTART
	v_dot2_f32_f16 v81, v4, v100, v81
	;;#ASMEND
	s_waitcnt lgkmcnt(7)
	;;#ASMSTART
	v_dot2_f32_f16 v94, v1, v101, v94
	;;#ASMEND
	;;#ASMSTART
	v_dot2_f32_f16 v94, v2, v102, v94
	;;#ASMEND
	;;#ASMSTART
	v_dot2_f32_f16 v94, v3, v103, v94
	;;#ASMEND
	;;#ASMSTART
	v_dot2_f32_f16 v94, v4, v104, v94
	;;#ASMEND
	;; [unrolled: 13-line block ×8, first 2 shown]
	;;#ASMSTART
	v_dot2_f32_f16 v82, v113, v97, v82
	;;#ASMEND
	;;#ASMSTART
	v_dot2_f32_f16 v82, v114, v98, v82
	;;#ASMEND
	;; [unrolled: 3-line block ×32, first 2 shown]
	ds_read_b128 v[1:4], v22 offset:48
	ds_read_b128 v[97:100], v17 offset:176
	;; [unrolled: 1-line block ×10, first 2 shown]
	s_waitcnt lgkmcnt(8)
	;;#ASMSTART
	v_dot2_f32_f16 v81, v1, v97, v81
	;;#ASMEND
	;;#ASMSTART
	v_dot2_f32_f16 v81, v2, v98, v81
	;;#ASMEND
	;;#ASMSTART
	v_dot2_f32_f16 v81, v3, v99, v81
	;;#ASMEND
	;;#ASMSTART
	v_dot2_f32_f16 v81, v4, v100, v81
	;;#ASMEND
	s_waitcnt lgkmcnt(7)
	;;#ASMSTART
	v_dot2_f32_f16 v94, v1, v101, v94
	;;#ASMEND
	;;#ASMSTART
	v_dot2_f32_f16 v94, v2, v102, v94
	;;#ASMEND
	;;#ASMSTART
	v_dot2_f32_f16 v94, v3, v103, v94
	;;#ASMEND
	;;#ASMSTART
	v_dot2_f32_f16 v94, v4, v104, v94
	;;#ASMEND
	;; [unrolled: 13-line block ×8, first 2 shown]
	;;#ASMSTART
	v_dot2_f32_f16 v82, v113, v97, v82
	;;#ASMEND
	;;#ASMSTART
	v_dot2_f32_f16 v82, v114, v98, v82
	;;#ASMEND
	;; [unrolled: 3-line block ×32, first 2 shown]
	ds_read_b128 v[1:4], v22 offset:64
	ds_read_b128 v[97:100], v17 offset:192
	;; [unrolled: 1-line block ×10, first 2 shown]
	s_waitcnt lgkmcnt(8)
	;;#ASMSTART
	v_dot2_f32_f16 v81, v1, v97, v81
	;;#ASMEND
	;;#ASMSTART
	v_dot2_f32_f16 v81, v2, v98, v81
	;;#ASMEND
	;;#ASMSTART
	v_dot2_f32_f16 v81, v3, v99, v81
	;;#ASMEND
	;;#ASMSTART
	v_dot2_f32_f16 v81, v4, v100, v81
	;;#ASMEND
	s_waitcnt lgkmcnt(7)
	;;#ASMSTART
	v_dot2_f32_f16 v94, v1, v101, v94
	;;#ASMEND
	;;#ASMSTART
	v_dot2_f32_f16 v94, v2, v102, v94
	;;#ASMEND
	;;#ASMSTART
	v_dot2_f32_f16 v94, v3, v103, v94
	;;#ASMEND
	;;#ASMSTART
	v_dot2_f32_f16 v94, v4, v104, v94
	;;#ASMEND
	;; [unrolled: 13-line block ×8, first 2 shown]
	;;#ASMSTART
	v_dot2_f32_f16 v82, v113, v97, v82
	;;#ASMEND
	;;#ASMSTART
	v_dot2_f32_f16 v82, v114, v98, v82
	;;#ASMEND
	;; [unrolled: 3-line block ×32, first 2 shown]
	ds_read_b128 v[1:4], v22 offset:80
	ds_read_b128 v[97:100], v17 offset:208
	;; [unrolled: 1-line block ×10, first 2 shown]
	s_waitcnt lgkmcnt(8)
	;;#ASMSTART
	v_dot2_f32_f16 v81, v1, v97, v81
	;;#ASMEND
	;;#ASMSTART
	v_dot2_f32_f16 v81, v2, v98, v81
	;;#ASMEND
	;;#ASMSTART
	v_dot2_f32_f16 v81, v3, v99, v81
	;;#ASMEND
	;;#ASMSTART
	v_dot2_f32_f16 v81, v4, v100, v81
	;;#ASMEND
	s_waitcnt lgkmcnt(7)
	;;#ASMSTART
	v_dot2_f32_f16 v94, v1, v101, v94
	;;#ASMEND
	;;#ASMSTART
	v_dot2_f32_f16 v94, v2, v102, v94
	;;#ASMEND
	;;#ASMSTART
	v_dot2_f32_f16 v94, v3, v103, v94
	;;#ASMEND
	;;#ASMSTART
	v_dot2_f32_f16 v94, v4, v104, v94
	;;#ASMEND
	;; [unrolled: 13-line block ×8, first 2 shown]
	;;#ASMSTART
	v_dot2_f32_f16 v82, v113, v97, v82
	;;#ASMEND
	;;#ASMSTART
	v_dot2_f32_f16 v82, v114, v98, v82
	;;#ASMEND
	;; [unrolled: 3-line block ×32, first 2 shown]
	ds_read_b128 v[1:4], v22 offset:96
	ds_read_b128 v[97:100], v17 offset:224
	;; [unrolled: 1-line block ×10, first 2 shown]
	s_waitcnt lgkmcnt(8)
	;;#ASMSTART
	v_dot2_f32_f16 v81, v1, v97, v81
	;;#ASMEND
	;;#ASMSTART
	v_dot2_f32_f16 v81, v2, v98, v81
	;;#ASMEND
	;;#ASMSTART
	v_dot2_f32_f16 v81, v3, v99, v81
	;;#ASMEND
	;;#ASMSTART
	v_dot2_f32_f16 v81, v4, v100, v81
	;;#ASMEND
	s_waitcnt lgkmcnt(7)
	;;#ASMSTART
	v_dot2_f32_f16 v94, v1, v101, v94
	;;#ASMEND
	;;#ASMSTART
	v_dot2_f32_f16 v94, v2, v102, v94
	;;#ASMEND
	;;#ASMSTART
	v_dot2_f32_f16 v94, v3, v103, v94
	;;#ASMEND
	;;#ASMSTART
	v_dot2_f32_f16 v94, v4, v104, v94
	;;#ASMEND
	;; [unrolled: 13-line block ×8, first 2 shown]
	;;#ASMSTART
	v_dot2_f32_f16 v82, v113, v97, v82
	;;#ASMEND
	;;#ASMSTART
	v_dot2_f32_f16 v82, v114, v98, v82
	;;#ASMEND
	;; [unrolled: 3-line block ×32, first 2 shown]
	ds_read_b128 v[1:4], v22 offset:112
	ds_read_b128 v[97:100], v17 offset:240
	ds_read_b128 v[101:104], v17 offset:496
	ds_read_b128 v[105:108], v17 offset:752
	ds_read_b128 v[109:112], v17 offset:1008
	ds_read_b128 v[113:116], v22 offset:4720
	ds_read_b128 v[117:120], v17 offset:1264
	ds_read_b128 v[121:124], v17 offset:1520
	ds_read_b128 v[125:128], v17 offset:1776
	ds_read_b128 v[129:132], v17 offset:2032
	s_waitcnt lgkmcnt(8)
	;;#ASMSTART
	v_dot2_f32_f16 v81, v1, v97, v81
	;;#ASMEND
	;;#ASMSTART
	v_dot2_f32_f16 v81, v2, v98, v81
	;;#ASMEND
	;;#ASMSTART
	v_dot2_f32_f16 v81, v3, v99, v81
	;;#ASMEND
	;;#ASMSTART
	v_dot2_f32_f16 v81, v4, v100, v81
	;;#ASMEND
	s_waitcnt lgkmcnt(7)
	;;#ASMSTART
	v_dot2_f32_f16 v94, v1, v101, v94
	;;#ASMEND
	;;#ASMSTART
	v_dot2_f32_f16 v94, v2, v102, v94
	;;#ASMEND
	;;#ASMSTART
	v_dot2_f32_f16 v94, v3, v103, v94
	;;#ASMEND
	;;#ASMSTART
	v_dot2_f32_f16 v94, v4, v104, v94
	;;#ASMEND
	;; [unrolled: 13-line block ×8, first 2 shown]
	;;#ASMSTART
	v_dot2_f32_f16 v82, v113, v97, v82
	;;#ASMEND
	;;#ASMSTART
	v_dot2_f32_f16 v82, v114, v98, v82
	;;#ASMEND
	;; [unrolled: 3-line block ×25, first 2 shown]
	v_cmp_ngt_f32_e64 s19, 0x3f200000, |v81|
	;;#ASMSTART
	v_dot2_f32_f16 v85, v114, v126, v85
	;;#ASMEND
	;;#ASMSTART
	v_dot2_f32_f16 v85, v115, v127, v85
	;;#ASMEND
	;; [unrolled: 3-line block ×7, first 2 shown]
                                        ; implicit-def: $vgpr3
	s_and_saveexec_b32 s24, s19
	s_xor_b32 s19, exec_lo, s24
	s_cbranch_execz .LBB80_11
; %bb.10:                               ;   in Loop: Header=BB80_9 Depth=1
	v_add_f32_e64 v1, |v81|, |v81|
	v_mul_f32_e32 v2, 0x3fb8aa3b, v1
	v_cmp_ngt_f32_e32 vcc_lo, 0xc2ce8ed0, v1
	v_rndne_f32_e32 v3, v2
	v_fma_f32 v4, 0x3fb8aa3b, v1, -v2
	v_sub_f32_e32 v2, v2, v3
	v_fmac_f32_e32 v4, 0x32a5705f, v1
	v_cvt_i32_f32_e32 v3, v3
	v_add_f32_e32 v2, v2, v4
	v_exp_f32_e32 v2, v2
	v_ldexp_f32 v2, v2, v3
	v_cndmask_b32_e32 v2, 0, v2, vcc_lo
	v_cmp_nlt_f32_e32 vcc_lo, 0x42b17218, v1
	v_cndmask_b32_e32 v1, 0x7f800000, v2, vcc_lo
	v_add_f32_e32 v1, 1.0, v1
	v_rcp_f32_e32 v1, v1
	v_fma_f32 v3, v1, -2.0, 1.0
.LBB80_11:                              ;   in Loop: Header=BB80_9 Depth=1
	s_andn2_saveexec_b32 s19, s19
	s_cbranch_execz .LBB80_13
; %bb.12:                               ;   in Loop: Header=BB80_9 Depth=1
	v_mul_f32_e32 v1, v81, v81
	v_fmaak_f32 v2, s18, v1, 0x3ca908c9
	v_fmaak_f32 v2, v1, v2, 0xbd5c1c4e
	;; [unrolled: 1-line block ×4, first 2 shown]
	v_mul_f32_e64 v2, |v81|, v2
	v_fma_f32 v3, v1, v2, |v81|
.LBB80_13:                              ;   in Loop: Header=BB80_9 Depth=1
	s_or_b32 exec_lo, exec_lo, s19
	v_add_nc_u32_e32 v106, s6, v0
	v_cmp_ngt_f32_e64 s19, 0x3f200000, |v82|
                                        ; implicit-def: $vgpr4
	v_add_nc_u32_e32 v1, v106, v23
	v_ashrrev_i32_e32 v2, 31, v1
	v_lshlrev_b64 v[1:2], 1, v[1:2]
	v_add_co_u32 v1, vcc_lo, s36, v1
	v_add_co_ci_u32_e64 v2, null, s37, v2, vcc_lo
	global_load_ushort v103, v[1:2], off
	s_and_saveexec_b32 s24, s19
	s_xor_b32 s19, exec_lo, s24
	s_cbranch_execz .LBB80_15
; %bb.14:                               ;   in Loop: Header=BB80_9 Depth=1
	v_add_f32_e64 v4, |v82|, |v82|
	v_mul_f32_e32 v83, 0x3fb8aa3b, v4
	v_cmp_ngt_f32_e32 vcc_lo, 0xc2ce8ed0, v4
	v_rndne_f32_e32 v84, v83
	v_fma_f32 v86, 0x3fb8aa3b, v4, -v83
	v_sub_f32_e32 v83, v83, v84
	v_fmac_f32_e32 v86, 0x32a5705f, v4
	v_cvt_i32_f32_e32 v84, v84
	v_add_f32_e32 v83, v83, v86
	v_exp_f32_e32 v83, v83
	v_ldexp_f32 v83, v83, v84
	v_cndmask_b32_e32 v83, 0, v83, vcc_lo
	v_cmp_nlt_f32_e32 vcc_lo, 0x42b17218, v4
	v_cndmask_b32_e32 v4, 0x7f800000, v83, vcc_lo
	v_add_f32_e32 v4, 1.0, v4
	v_rcp_f32_e32 v4, v4
	v_fma_f32 v4, v4, -2.0, 1.0
.LBB80_15:                              ;   in Loop: Header=BB80_9 Depth=1
	s_andn2_saveexec_b32 s19, s19
	s_cbranch_execz .LBB80_17
; %bb.16:                               ;   in Loop: Header=BB80_9 Depth=1
	v_mul_f32_e32 v4, v82, v82
	v_fmaak_f32 v83, s18, v4, 0x3ca908c9
	v_fmaak_f32 v83, v4, v83, 0xbd5c1c4e
	;; [unrolled: 1-line block ×4, first 2 shown]
	v_mul_f32_e64 v83, |v82|, v83
	v_fma_f32 v4, v4, v83, |v82|
.LBB80_17:                              ;   in Loop: Header=BB80_9 Depth=1
	s_or_b32 exec_lo, exec_lo, s19
	global_load_ushort v1, v[1:2], off offset:64
	v_bfi_b32 v2, 0x7fffffff, v3, v81
	v_bfi_b32 v3, 0x7fffffff, v4, v82
	v_xor_b32_e32 v86, 16, v19
	v_xor_b32_e32 v84, 8, v19
	;; [unrolled: 1-line block ×3, first 2 shown]
	s_waitcnt vmcnt(1)
	v_fma_mix_f32 v100, s10, v2, v103 op_sel_hi:[0,0,1]
	v_xor_b32_e32 v82, 2, v19
	v_cmp_gt_i32_e32 vcc_lo, 32, v86
	v_cmp_ngt_f32_e64 s19, 0x3f200000, |v94|
	v_add_f32_e32 v2, 0x40051340, v100
	s_waitcnt vmcnt(0)
	v_fma_mix_f32 v101, s10, v3, v1 op_sel_hi:[0,0,1]
	v_cndmask_b32_e32 v3, v19, v86, vcc_lo
	v_cmp_gt_i32_e32 vcc_lo, 32, v84
	v_add_f32_e32 v4, 0x40051340, v101
	v_lshlrev_b32_e32 v3, 2, v3
	v_cndmask_b32_e32 v81, v19, v84, vcc_lo
	v_cmp_gt_i32_e32 vcc_lo, 32, v83
	v_max3_f32 v2, v79, v2, v4
	v_lshlrev_b32_e32 v102, 2, v81
	v_cndmask_b32_e32 v81, v19, v83, vcc_lo
	v_cmp_gt_i32_e32 vcc_lo, 32, v82
	ds_bpermute_b32 v4, v3, v2
	v_lshlrev_b32_e32 v99, 2, v81
	v_cndmask_b32_e32 v81, v19, v82, vcc_lo
	v_lshlrev_b32_e32 v98, 2, v81
	v_xor_b32_e32 v81, 1, v19
	v_cmp_gt_i32_e32 vcc_lo, 32, v81
	v_cndmask_b32_e32 v97, v19, v81, vcc_lo
	s_waitcnt lgkmcnt(0)
	v_max_f32_e32 v4, v4, v4
	v_lshlrev_b32_e32 v97, 2, v97
	v_max_f32_e32 v2, v2, v4
	ds_bpermute_b32 v4, v102, v2
	s_waitcnt lgkmcnt(0)
	v_max_f32_e32 v4, v4, v4
	v_max_f32_e32 v2, v2, v4
	ds_bpermute_b32 v4, v99, v2
	s_waitcnt lgkmcnt(0)
	v_max_f32_e32 v4, v4, v4
	;; [unrolled: 4-line block ×3, first 2 shown]
	v_max_f32_e32 v4, v2, v4
                                        ; implicit-def: $vgpr2
	ds_bpermute_b32 v108, v97, v4
	s_and_saveexec_b32 s24, s19
	s_xor_b32 s19, exec_lo, s24
	s_cbranch_execz .LBB80_19
; %bb.18:                               ;   in Loop: Header=BB80_9 Depth=1
	v_add_f32_e64 v2, |v94|, |v94|
	v_mul_f32_e32 v104, 0x3fb8aa3b, v2
	v_cmp_ngt_f32_e32 vcc_lo, 0xc2ce8ed0, v2
	v_rndne_f32_e32 v105, v104
	v_fma_f32 v107, 0x3fb8aa3b, v2, -v104
	v_sub_f32_e32 v104, v104, v105
	v_fmac_f32_e32 v107, 0x32a5705f, v2
	v_cvt_i32_f32_e32 v105, v105
	v_add_f32_e32 v104, v104, v107
	v_exp_f32_e32 v104, v104
	v_ldexp_f32 v104, v104, v105
	v_cndmask_b32_e32 v104, 0, v104, vcc_lo
	v_cmp_nlt_f32_e32 vcc_lo, 0x42b17218, v2
	v_cndmask_b32_e32 v2, 0x7f800000, v104, vcc_lo
	v_add_f32_e32 v2, 1.0, v2
	v_rcp_f32_e32 v2, v2
	v_fma_f32 v2, v2, -2.0, 1.0
.LBB80_19:                              ;   in Loop: Header=BB80_9 Depth=1
	s_andn2_saveexec_b32 s19, s19
	s_cbranch_execz .LBB80_21
; %bb.20:                               ;   in Loop: Header=BB80_9 Depth=1
	v_mul_f32_e32 v2, v94, v94
	v_fmaak_f32 v104, s18, v2, 0x3ca908c9
	v_fmaak_f32 v104, v2, v104, 0xbd5c1c4e
	;; [unrolled: 1-line block ×4, first 2 shown]
	v_mul_f32_e64 v104, |v94|, v104
	v_fma_f32 v2, v2, v104, |v94|
.LBB80_21:                              ;   in Loop: Header=BB80_9 Depth=1
	s_or_b32 exec_lo, exec_lo, s19
	v_cmp_ngt_f32_e64 s19, 0x3f200000, |v96|
                                        ; implicit-def: $vgpr105
	s_and_saveexec_b32 s24, s19
	s_xor_b32 s19, exec_lo, s24
	s_cbranch_execz .LBB80_23
; %bb.22:                               ;   in Loop: Header=BB80_9 Depth=1
	v_add_f32_e64 v104, |v96|, |v96|
	v_mul_f32_e32 v105, 0x3fb8aa3b, v104
	v_cmp_ngt_f32_e32 vcc_lo, 0xc2ce8ed0, v104
	v_rndne_f32_e32 v107, v105
	v_fma_f32 v109, 0x3fb8aa3b, v104, -v105
	v_sub_f32_e32 v105, v105, v107
	v_fmac_f32_e32 v109, 0x32a5705f, v104
	v_cvt_i32_f32_e32 v107, v107
	v_add_f32_e32 v105, v105, v109
	v_exp_f32_e32 v105, v105
	v_ldexp_f32 v105, v105, v107
	v_cndmask_b32_e32 v105, 0, v105, vcc_lo
	v_cmp_nlt_f32_e32 vcc_lo, 0x42b17218, v104
	v_cndmask_b32_e32 v104, 0x7f800000, v105, vcc_lo
	v_add_f32_e32 v104, 1.0, v104
	v_rcp_f32_e32 v104, v104
	v_fma_f32 v105, v104, -2.0, 1.0
.LBB80_23:                              ;   in Loop: Header=BB80_9 Depth=1
	s_andn2_saveexec_b32 s19, s19
	s_cbranch_execz .LBB80_25
; %bb.24:                               ;   in Loop: Header=BB80_9 Depth=1
	v_mul_f32_e32 v104, v96, v96
	v_fmaak_f32 v105, s18, v104, 0x3ca908c9
	v_fmaak_f32 v105, v104, v105, 0xbd5c1c4e
	;; [unrolled: 1-line block ×4, first 2 shown]
	v_mul_f32_e64 v105, |v96|, v105
	v_fma_f32 v105, v104, v105, |v96|
.LBB80_25:                              ;   in Loop: Header=BB80_9 Depth=1
	s_or_b32 exec_lo, exec_lo, s19
	v_cvt_f32_f16_e32 v103, v103
	v_cvt_f32_f16_e32 v104, v1
	v_bfi_b32 v1, 0x7fffffff, v2, v94
	v_bfi_b32 v2, 0x7fffffff, v105, v96
	v_cmp_ngt_f32_e64 s19, 0x3f200000, |v92|
                                        ; implicit-def: $vgpr96
	v_fmac_f32_e32 v103, s10, v1
	v_fmac_f32_e32 v104, s10, v2
	v_add_f32_e32 v1, 0x40051340, v103
	v_add_f32_e32 v2, 0x40051340, v104
	v_max3_f32 v1, v80, v1, v2
	ds_bpermute_b32 v2, v3, v1
	s_waitcnt lgkmcnt(0)
	v_max_f32_e32 v2, v2, v2
	v_max_f32_e32 v1, v1, v2
	ds_bpermute_b32 v2, v102, v1
	s_waitcnt lgkmcnt(0)
	v_max_f32_e32 v2, v2, v2
	v_max_f32_e32 v1, v1, v2
	;; [unrolled: 4-line block ×4, first 2 shown]
	ds_bpermute_b32 v112, v97, v111
	s_and_saveexec_b32 s24, s19
	s_xor_b32 s19, exec_lo, s24
	s_cbranch_execz .LBB80_27
; %bb.26:                               ;   in Loop: Header=BB80_9 Depth=1
	v_add_f32_e64 v1, |v92|, |v92|
	v_mul_f32_e32 v2, 0x3fb8aa3b, v1
	v_cmp_ngt_f32_e32 vcc_lo, 0xc2ce8ed0, v1
	v_rndne_f32_e32 v94, v2
	v_fma_f32 v96, 0x3fb8aa3b, v1, -v2
	v_sub_f32_e32 v2, v2, v94
	v_fmac_f32_e32 v96, 0x32a5705f, v1
	v_cvt_i32_f32_e32 v94, v94
	v_add_f32_e32 v2, v2, v96
	v_exp_f32_e32 v2, v2
	v_ldexp_f32 v2, v2, v94
	v_cndmask_b32_e32 v2, 0, v2, vcc_lo
	v_cmp_nlt_f32_e32 vcc_lo, 0x42b17218, v1
	v_cndmask_b32_e32 v1, 0x7f800000, v2, vcc_lo
	v_add_f32_e32 v1, 1.0, v1
	v_rcp_f32_e32 v1, v1
	v_fma_f32 v96, v1, -2.0, 1.0
.LBB80_27:                              ;   in Loop: Header=BB80_9 Depth=1
	s_andn2_saveexec_b32 s19, s19
	s_cbranch_execz .LBB80_29
; %bb.28:                               ;   in Loop: Header=BB80_9 Depth=1
	v_mul_f32_e32 v1, v92, v92
	v_fmaak_f32 v2, s18, v1, 0x3ca908c9
	v_fmaak_f32 v2, v1, v2, 0xbd5c1c4e
	;; [unrolled: 1-line block ×4, first 2 shown]
	v_mul_f32_e64 v2, |v92|, v2
	v_fma_f32 v96, v1, v2, |v92|
.LBB80_29:                              ;   in Loop: Header=BB80_9 Depth=1
	s_or_b32 exec_lo, exec_lo, s19
	v_add_nc_u32_e32 v1, v106, v24
	v_cmp_ngt_f32_e64 s19, 0x3f200000, |v95|
                                        ; implicit-def: $vgpr105
	v_ashrrev_i32_e32 v2, 31, v1
	v_lshlrev_b64 v[1:2], 1, v[1:2]
	v_add_co_u32 v1, vcc_lo, s36, v1
	v_add_co_ci_u32_e64 v2, null, s37, v2, vcc_lo
	global_load_ushort v94, v[1:2], off
	s_and_saveexec_b32 s24, s19
	s_xor_b32 s19, exec_lo, s24
	s_cbranch_execz .LBB80_31
; %bb.30:                               ;   in Loop: Header=BB80_9 Depth=1
	v_add_f32_e64 v105, |v95|, |v95|
	v_mul_f32_e32 v107, 0x3fb8aa3b, v105
	v_cmp_ngt_f32_e32 vcc_lo, 0xc2ce8ed0, v105
	v_rndne_f32_e32 v109, v107
	v_fma_f32 v110, 0x3fb8aa3b, v105, -v107
	v_sub_f32_e32 v107, v107, v109
	v_fmac_f32_e32 v110, 0x32a5705f, v105
	v_cvt_i32_f32_e32 v109, v109
	v_add_f32_e32 v107, v107, v110
	v_exp_f32_e32 v107, v107
	v_ldexp_f32 v107, v107, v109
	v_cndmask_b32_e32 v107, 0, v107, vcc_lo
	v_cmp_nlt_f32_e32 vcc_lo, 0x42b17218, v105
	v_cndmask_b32_e32 v105, 0x7f800000, v107, vcc_lo
	v_add_f32_e32 v105, 1.0, v105
	v_rcp_f32_e32 v105, v105
	v_fma_f32 v105, v105, -2.0, 1.0
.LBB80_31:                              ;   in Loop: Header=BB80_9 Depth=1
	s_andn2_saveexec_b32 s19, s19
	s_cbranch_execz .LBB80_33
; %bb.32:                               ;   in Loop: Header=BB80_9 Depth=1
	v_mul_f32_e32 v105, v95, v95
	v_fmaak_f32 v107, s18, v105, 0x3ca908c9
	v_fmaak_f32 v107, v105, v107, 0xbd5c1c4e
	;; [unrolled: 1-line block ×4, first 2 shown]
	v_mul_f32_e64 v107, |v95|, v107
	v_fma_f32 v105, v105, v107, |v95|
.LBB80_33:                              ;   in Loop: Header=BB80_9 Depth=1
	s_or_b32 exec_lo, exec_lo, s19
	global_load_ushort v1, v[1:2], off offset:64
	v_bfi_b32 v2, 0x7fffffff, v96, v92
	v_bfi_b32 v92, 0x7fffffff, v105, v95
	v_cmp_ngt_f32_e64 s19, 0x3f200000, |v91|
	s_waitcnt vmcnt(1)
	v_fma_mix_f32 v95, s10, v2, v94 op_sel_hi:[0,0,1]
	v_add_f32_e32 v2, 0x40051340, v95
	s_waitcnt vmcnt(0)
	v_fma_mix_f32 v96, s10, v92, v1 op_sel_hi:[0,0,1]
	v_add_f32_e32 v92, 0x40051340, v96
	v_max3_f32 v2, v77, v2, v92
	ds_bpermute_b32 v92, v3, v2
	s_waitcnt lgkmcnt(0)
	v_max_f32_e32 v92, v92, v92
	v_max_f32_e32 v2, v2, v92
	ds_bpermute_b32 v92, v102, v2
	s_waitcnt lgkmcnt(0)
	v_max_f32_e32 v92, v92, v92
	v_max_f32_e32 v2, v2, v92
	;; [unrolled: 4-line block ×4, first 2 shown]
                                        ; implicit-def: $vgpr2
	ds_bpermute_b32 v114, v97, v113
	s_and_saveexec_b32 s24, s19
	s_xor_b32 s19, exec_lo, s24
	s_cbranch_execz .LBB80_35
; %bb.34:                               ;   in Loop: Header=BB80_9 Depth=1
	v_add_f32_e64 v2, |v91|, |v91|
	v_mul_f32_e32 v92, 0x3fb8aa3b, v2
	v_cmp_ngt_f32_e32 vcc_lo, 0xc2ce8ed0, v2
	v_rndne_f32_e32 v105, v92
	v_fma_f32 v107, 0x3fb8aa3b, v2, -v92
	v_sub_f32_e32 v92, v92, v105
	v_fmac_f32_e32 v107, 0x32a5705f, v2
	v_cvt_i32_f32_e32 v105, v105
	v_add_f32_e32 v92, v92, v107
	v_exp_f32_e32 v92, v92
	v_ldexp_f32 v92, v92, v105
	v_cndmask_b32_e32 v92, 0, v92, vcc_lo
	v_cmp_nlt_f32_e32 vcc_lo, 0x42b17218, v2
	v_cndmask_b32_e32 v2, 0x7f800000, v92, vcc_lo
	v_add_f32_e32 v2, 1.0, v2
	v_rcp_f32_e32 v2, v2
	v_fma_f32 v2, v2, -2.0, 1.0
.LBB80_35:                              ;   in Loop: Header=BB80_9 Depth=1
	s_andn2_saveexec_b32 s19, s19
	s_cbranch_execz .LBB80_37
; %bb.36:                               ;   in Loop: Header=BB80_9 Depth=1
	v_mul_f32_e32 v2, v91, v91
	v_fmaak_f32 v92, s18, v2, 0x3ca908c9
	v_fmaak_f32 v92, v2, v92, 0xbd5c1c4e
	;; [unrolled: 1-line block ×4, first 2 shown]
	v_mul_f32_e64 v92, |v91|, v92
	v_fma_f32 v2, v2, v92, |v91|
.LBB80_37:                              ;   in Loop: Header=BB80_9 Depth=1
	s_or_b32 exec_lo, exec_lo, s19
	v_cmp_ngt_f32_e64 s19, 0x3f200000, |v93|
                                        ; implicit-def: $vgpr105
	s_and_saveexec_b32 s24, s19
	s_xor_b32 s19, exec_lo, s24
	s_cbranch_execz .LBB80_39
; %bb.38:                               ;   in Loop: Header=BB80_9 Depth=1
	v_add_f32_e64 v92, |v93|, |v93|
	v_mul_f32_e32 v105, 0x3fb8aa3b, v92
	v_cmp_ngt_f32_e32 vcc_lo, 0xc2ce8ed0, v92
	v_rndne_f32_e32 v107, v105
	v_fma_f32 v109, 0x3fb8aa3b, v92, -v105
	v_sub_f32_e32 v105, v105, v107
	v_fmac_f32_e32 v109, 0x32a5705f, v92
	v_cvt_i32_f32_e32 v107, v107
	v_add_f32_e32 v105, v105, v109
	v_exp_f32_e32 v105, v105
	v_ldexp_f32 v105, v105, v107
	v_cndmask_b32_e32 v105, 0, v105, vcc_lo
	v_cmp_nlt_f32_e32 vcc_lo, 0x42b17218, v92
	v_cndmask_b32_e32 v92, 0x7f800000, v105, vcc_lo
	v_add_f32_e32 v92, 1.0, v92
	v_rcp_f32_e32 v92, v92
	v_fma_f32 v105, v92, -2.0, 1.0
.LBB80_39:                              ;   in Loop: Header=BB80_9 Depth=1
	s_andn2_saveexec_b32 s19, s19
	s_cbranch_execz .LBB80_41
; %bb.40:                               ;   in Loop: Header=BB80_9 Depth=1
	v_mul_f32_e32 v92, v93, v93
	v_fmaak_f32 v105, s18, v92, 0x3ca908c9
	v_fmaak_f32 v105, v92, v105, 0xbd5c1c4e
	;; [unrolled: 1-line block ×4, first 2 shown]
	v_mul_f32_e64 v105, |v93|, v105
	v_fma_f32 v105, v92, v105, |v93|
.LBB80_41:                              ;   in Loop: Header=BB80_9 Depth=1
	s_or_b32 exec_lo, exec_lo, s19
	v_cvt_f32_f16_e32 v94, v94
	v_cvt_f32_f16_e32 v92, v1
	v_bfi_b32 v1, 0x7fffffff, v2, v91
	v_bfi_b32 v2, 0x7fffffff, v105, v93
	v_cmp_ngt_f32_e64 s19, 0x3f200000, |v88|
                                        ; implicit-def: $vgpr91
	v_fmac_f32_e32 v94, s10, v1
	v_fmac_f32_e32 v92, s10, v2
	v_add_f32_e32 v1, 0x40051340, v94
	v_add_f32_e32 v2, 0x40051340, v92
	v_max3_f32 v1, v75, v1, v2
	ds_bpermute_b32 v2, v3, v1
	s_waitcnt lgkmcnt(0)
	v_max_f32_e32 v2, v2, v2
	v_max_f32_e32 v1, v1, v2
	ds_bpermute_b32 v2, v102, v1
	s_waitcnt lgkmcnt(0)
	v_max_f32_e32 v2, v2, v2
	v_max_f32_e32 v1, v1, v2
	;; [unrolled: 4-line block ×4, first 2 shown]
	ds_bpermute_b32 v116, v97, v115
	s_and_saveexec_b32 s24, s19
	s_xor_b32 s19, exec_lo, s24
	s_cbranch_execz .LBB80_43
; %bb.42:                               ;   in Loop: Header=BB80_9 Depth=1
	v_add_f32_e64 v1, |v88|, |v88|
	v_mul_f32_e32 v2, 0x3fb8aa3b, v1
	v_cmp_ngt_f32_e32 vcc_lo, 0xc2ce8ed0, v1
	v_rndne_f32_e32 v91, v2
	v_fma_f32 v93, 0x3fb8aa3b, v1, -v2
	v_sub_f32_e32 v2, v2, v91
	v_fmac_f32_e32 v93, 0x32a5705f, v1
	v_cvt_i32_f32_e32 v91, v91
	v_add_f32_e32 v2, v2, v93
	v_exp_f32_e32 v2, v2
	v_ldexp_f32 v2, v2, v91
	v_cndmask_b32_e32 v2, 0, v2, vcc_lo
	v_cmp_nlt_f32_e32 vcc_lo, 0x42b17218, v1
	v_cndmask_b32_e32 v1, 0x7f800000, v2, vcc_lo
	v_add_f32_e32 v1, 1.0, v1
	v_rcp_f32_e32 v1, v1
	v_fma_f32 v91, v1, -2.0, 1.0
.LBB80_43:                              ;   in Loop: Header=BB80_9 Depth=1
	s_andn2_saveexec_b32 s19, s19
	s_cbranch_execz .LBB80_45
; %bb.44:                               ;   in Loop: Header=BB80_9 Depth=1
	v_mul_f32_e32 v1, v88, v88
	v_fmaak_f32 v2, s18, v1, 0x3ca908c9
	v_fmaak_f32 v2, v1, v2, 0xbd5c1c4e
	;; [unrolled: 1-line block ×4, first 2 shown]
	v_mul_f32_e64 v2, |v88|, v2
	v_fma_f32 v91, v1, v2, |v88|
.LBB80_45:                              ;   in Loop: Header=BB80_9 Depth=1
	s_or_b32 exec_lo, exec_lo, s19
	v_add_nc_u32_e32 v1, v106, v40
	v_cmp_ngt_f32_e64 s19, 0x3f200000, |v90|
                                        ; implicit-def: $vgpr105
	v_ashrrev_i32_e32 v2, 31, v1
	v_lshlrev_b64 v[1:2], 1, v[1:2]
	v_add_co_u32 v1, vcc_lo, s36, v1
	v_add_co_ci_u32_e64 v2, null, s37, v2, vcc_lo
	global_load_ushort v93, v[1:2], off
	s_and_saveexec_b32 s24, s19
	s_xor_b32 s19, exec_lo, s24
	s_cbranch_execz .LBB80_47
; %bb.46:                               ;   in Loop: Header=BB80_9 Depth=1
	v_add_f32_e64 v105, |v90|, |v90|
	v_mul_f32_e32 v107, 0x3fb8aa3b, v105
	v_cmp_ngt_f32_e32 vcc_lo, 0xc2ce8ed0, v105
	v_rndne_f32_e32 v109, v107
	v_fma_f32 v110, 0x3fb8aa3b, v105, -v107
	v_sub_f32_e32 v107, v107, v109
	v_fmac_f32_e32 v110, 0x32a5705f, v105
	v_cvt_i32_f32_e32 v109, v109
	v_add_f32_e32 v107, v107, v110
	v_exp_f32_e32 v107, v107
	v_ldexp_f32 v107, v107, v109
	v_cndmask_b32_e32 v107, 0, v107, vcc_lo
	v_cmp_nlt_f32_e32 vcc_lo, 0x42b17218, v105
	v_cndmask_b32_e32 v105, 0x7f800000, v107, vcc_lo
	v_add_f32_e32 v105, 1.0, v105
	v_rcp_f32_e32 v105, v105
	v_fma_f32 v105, v105, -2.0, 1.0
.LBB80_47:                              ;   in Loop: Header=BB80_9 Depth=1
	s_andn2_saveexec_b32 s19, s19
	s_cbranch_execz .LBB80_49
; %bb.48:                               ;   in Loop: Header=BB80_9 Depth=1
	v_mul_f32_e32 v105, v90, v90
	v_fmaak_f32 v107, s18, v105, 0x3ca908c9
	v_fmaak_f32 v107, v105, v107, 0xbd5c1c4e
	v_fmaak_f32 v107, v105, v107, 0x3e088382
	v_fmaak_f32 v107, v105, v107, 0xbeaaaa99
	v_mul_f32_e64 v107, |v90|, v107
	v_fma_f32 v105, v105, v107, |v90|
.LBB80_49:                              ;   in Loop: Header=BB80_9 Depth=1
	s_or_b32 exec_lo, exec_lo, s19
	global_load_ushort v1, v[1:2], off offset:64
	v_bfi_b32 v2, 0x7fffffff, v91, v88
	v_bfi_b32 v88, 0x7fffffff, v105, v90
	v_cmp_ngt_f32_e64 s19, 0x3f200000, |v87|
	s_waitcnt vmcnt(1)
	v_fma_mix_f32 v91, s10, v2, v93 op_sel_hi:[0,0,1]
	v_add_f32_e32 v2, 0x40051340, v91
	s_waitcnt vmcnt(0)
	v_fma_mix_f32 v90, s10, v88, v1 op_sel_hi:[0,0,1]
	v_add_f32_e32 v88, 0x40051340, v90
	v_max3_f32 v2, v74, v2, v88
	ds_bpermute_b32 v88, v3, v2
	s_waitcnt lgkmcnt(0)
	v_max_f32_e32 v88, v88, v88
	v_max_f32_e32 v2, v2, v88
	ds_bpermute_b32 v88, v102, v2
	s_waitcnt lgkmcnt(0)
	v_max_f32_e32 v88, v88, v88
	v_max_f32_e32 v2, v2, v88
	;; [unrolled: 4-line block ×4, first 2 shown]
                                        ; implicit-def: $vgpr2
	ds_bpermute_b32 v117, v97, v88
	s_and_saveexec_b32 s24, s19
	s_xor_b32 s19, exec_lo, s24
	s_cbranch_execz .LBB80_51
; %bb.50:                               ;   in Loop: Header=BB80_9 Depth=1
	v_add_f32_e64 v2, |v87|, |v87|
	v_mul_f32_e32 v105, 0x3fb8aa3b, v2
	v_cmp_ngt_f32_e32 vcc_lo, 0xc2ce8ed0, v2
	v_rndne_f32_e32 v107, v105
	v_fma_f32 v109, 0x3fb8aa3b, v2, -v105
	v_sub_f32_e32 v105, v105, v107
	v_fmac_f32_e32 v109, 0x32a5705f, v2
	v_cvt_i32_f32_e32 v107, v107
	v_add_f32_e32 v105, v105, v109
	v_exp_f32_e32 v105, v105
	v_ldexp_f32 v105, v105, v107
	v_cndmask_b32_e32 v105, 0, v105, vcc_lo
	v_cmp_nlt_f32_e32 vcc_lo, 0x42b17218, v2
	v_cndmask_b32_e32 v2, 0x7f800000, v105, vcc_lo
	v_add_f32_e32 v2, 1.0, v2
	v_rcp_f32_e32 v2, v2
	v_fma_f32 v2, v2, -2.0, 1.0
.LBB80_51:                              ;   in Loop: Header=BB80_9 Depth=1
	s_andn2_saveexec_b32 s19, s19
	s_cbranch_execz .LBB80_53
; %bb.52:                               ;   in Loop: Header=BB80_9 Depth=1
	v_mul_f32_e32 v2, v87, v87
	v_fmaak_f32 v105, s18, v2, 0x3ca908c9
	v_fmaak_f32 v105, v2, v105, 0xbd5c1c4e
	;; [unrolled: 1-line block ×4, first 2 shown]
	v_mul_f32_e64 v105, |v87|, v105
	v_fma_f32 v2, v2, v105, |v87|
.LBB80_53:                              ;   in Loop: Header=BB80_9 Depth=1
	s_or_b32 exec_lo, exec_lo, s19
	v_cmp_ngt_f32_e64 s19, 0x3f200000, |v89|
                                        ; implicit-def: $vgpr107
	s_and_saveexec_b32 s24, s19
	s_xor_b32 s19, exec_lo, s24
	s_cbranch_execz .LBB80_55
; %bb.54:                               ;   in Loop: Header=BB80_9 Depth=1
	v_add_f32_e64 v105, |v89|, |v89|
	v_mul_f32_e32 v107, 0x3fb8aa3b, v105
	v_cmp_ngt_f32_e32 vcc_lo, 0xc2ce8ed0, v105
	v_rndne_f32_e32 v109, v107
	v_fma_f32 v110, 0x3fb8aa3b, v105, -v107
	v_sub_f32_e32 v107, v107, v109
	v_fmac_f32_e32 v110, 0x32a5705f, v105
	v_cvt_i32_f32_e32 v109, v109
	v_add_f32_e32 v107, v107, v110
	v_exp_f32_e32 v107, v107
	v_ldexp_f32 v107, v107, v109
	v_cndmask_b32_e32 v107, 0, v107, vcc_lo
	v_cmp_nlt_f32_e32 vcc_lo, 0x42b17218, v105
	v_cndmask_b32_e32 v105, 0x7f800000, v107, vcc_lo
	v_add_f32_e32 v105, 1.0, v105
	v_rcp_f32_e32 v105, v105
	v_fma_f32 v107, v105, -2.0, 1.0
.LBB80_55:                              ;   in Loop: Header=BB80_9 Depth=1
	s_andn2_saveexec_b32 s19, s19
	s_cbranch_execz .LBB80_57
; %bb.56:                               ;   in Loop: Header=BB80_9 Depth=1
	v_mul_f32_e32 v105, v89, v89
	v_fmaak_f32 v107, s18, v105, 0x3ca908c9
	v_fmaak_f32 v107, v105, v107, 0xbd5c1c4e
	v_fmaak_f32 v107, v105, v107, 0x3e088382
	v_fmaak_f32 v107, v105, v107, 0xbeaaaa99
	v_mul_f32_e64 v107, |v89|, v107
	v_fma_f32 v107, v105, v107, |v89|
.LBB80_57:                              ;   in Loop: Header=BB80_9 Depth=1
	s_or_b32 exec_lo, exec_lo, s19
	v_cvt_f32_f16_e32 v105, v93
	v_cvt_f32_f16_e32 v93, v1
	v_bfi_b32 v1, 0x7fffffff, v2, v87
	v_bfi_b32 v2, 0x7fffffff, v107, v89
	v_cmp_ngt_f32_e64 s19, 0x3f200000, |v7|
                                        ; implicit-def: $vgpr107
	v_fmac_f32_e32 v105, s10, v1
	v_fmac_f32_e32 v93, s10, v2
	v_add_f32_e32 v1, 0x40051340, v105
	v_add_f32_e32 v2, 0x40051340, v93
	v_max3_f32 v1, v71, v1, v2
	ds_bpermute_b32 v2, v3, v1
	s_waitcnt lgkmcnt(0)
	v_max_f32_e32 v2, v2, v2
	v_max_f32_e32 v1, v1, v2
	ds_bpermute_b32 v2, v102, v1
	s_waitcnt lgkmcnt(0)
	v_max_f32_e32 v2, v2, v2
	v_max_f32_e32 v1, v1, v2
	;; [unrolled: 4-line block ×4, first 2 shown]
	ds_bpermute_b32 v89, v97, v87
	s_and_saveexec_b32 s24, s19
	s_xor_b32 s19, exec_lo, s24
	s_cbranch_execz .LBB80_59
; %bb.58:                               ;   in Loop: Header=BB80_9 Depth=1
	v_add_f32_e64 v1, |v7|, |v7|
	v_mul_f32_e32 v2, 0x3fb8aa3b, v1
	v_cmp_ngt_f32_e32 vcc_lo, 0xc2ce8ed0, v1
	v_rndne_f32_e32 v107, v2
	v_fma_f32 v109, 0x3fb8aa3b, v1, -v2
	v_sub_f32_e32 v2, v2, v107
	v_fmac_f32_e32 v109, 0x32a5705f, v1
	v_cvt_i32_f32_e32 v107, v107
	v_add_f32_e32 v2, v2, v109
	v_exp_f32_e32 v2, v2
	v_ldexp_f32 v2, v2, v107
	v_cndmask_b32_e32 v2, 0, v2, vcc_lo
	v_cmp_nlt_f32_e32 vcc_lo, 0x42b17218, v1
	v_cndmask_b32_e32 v1, 0x7f800000, v2, vcc_lo
	v_add_f32_e32 v1, 1.0, v1
	v_rcp_f32_e32 v1, v1
	v_fma_f32 v107, v1, -2.0, 1.0
.LBB80_59:                              ;   in Loop: Header=BB80_9 Depth=1
	s_andn2_saveexec_b32 s19, s19
	s_cbranch_execz .LBB80_61
; %bb.60:                               ;   in Loop: Header=BB80_9 Depth=1
	v_mul_f32_e32 v1, v7, v7
	v_fmaak_f32 v2, s18, v1, 0x3ca908c9
	v_fmaak_f32 v2, v1, v2, 0xbd5c1c4e
	;; [unrolled: 1-line block ×4, first 2 shown]
	v_mul_f32_e64 v2, |v7|, v2
	v_fma_f32 v107, v1, v2, |v7|
.LBB80_61:                              ;   in Loop: Header=BB80_9 Depth=1
	s_or_b32 exec_lo, exec_lo, s19
	v_add_nc_u32_e32 v1, v106, v41
	v_cmp_ngt_f32_e64 s19, 0x3f200000, |v85|
                                        ; implicit-def: $vgpr106
	v_ashrrev_i32_e32 v2, 31, v1
	v_lshlrev_b64 v[1:2], 1, v[1:2]
	v_add_co_u32 v1, vcc_lo, s36, v1
	v_add_co_ci_u32_e64 v2, null, s37, v2, vcc_lo
	global_load_ushort v109, v[1:2], off
	s_and_saveexec_b32 s24, s19
	s_xor_b32 s19, exec_lo, s24
	s_cbranch_execz .LBB80_63
; %bb.62:                               ;   in Loop: Header=BB80_9 Depth=1
	v_add_f32_e64 v106, |v85|, |v85|
	v_mul_f32_e32 v110, 0x3fb8aa3b, v106
	v_cmp_ngt_f32_e32 vcc_lo, 0xc2ce8ed0, v106
	v_rndne_f32_e32 v118, v110
	v_fma_f32 v119, 0x3fb8aa3b, v106, -v110
	v_sub_f32_e32 v110, v110, v118
	v_fmac_f32_e32 v119, 0x32a5705f, v106
	v_cvt_i32_f32_e32 v118, v118
	v_add_f32_e32 v110, v110, v119
	v_exp_f32_e32 v110, v110
	v_ldexp_f32 v110, v110, v118
	v_cndmask_b32_e32 v110, 0, v110, vcc_lo
	v_cmp_nlt_f32_e32 vcc_lo, 0x42b17218, v106
	v_cndmask_b32_e32 v106, 0x7f800000, v110, vcc_lo
	v_add_f32_e32 v106, 1.0, v106
	v_rcp_f32_e32 v106, v106
	v_fma_f32 v106, v106, -2.0, 1.0
.LBB80_63:                              ;   in Loop: Header=BB80_9 Depth=1
	s_andn2_saveexec_b32 s19, s19
	s_cbranch_execz .LBB80_65
; %bb.64:                               ;   in Loop: Header=BB80_9 Depth=1
	v_mul_f32_e32 v106, v85, v85
	v_fmaak_f32 v110, s18, v106, 0x3ca908c9
	v_fmaak_f32 v110, v106, v110, 0xbd5c1c4e
	;; [unrolled: 1-line block ×4, first 2 shown]
	v_mul_f32_e64 v110, |v85|, v110
	v_fma_f32 v106, v106, v110, |v85|
.LBB80_65:                              ;   in Loop: Header=BB80_9 Depth=1
	s_or_b32 exec_lo, exec_lo, s19
	global_load_ushort v118, v[1:2], off offset:64
	v_bfi_b32 v1, 0x7fffffff, v107, v7
	v_bfi_b32 v2, 0x7fffffff, v106, v85
	v_cmp_ngt_f32_e64 s19, 0x3f200000, |v5|
                                        ; implicit-def: $vgpr7
	s_waitcnt vmcnt(1)
	v_fma_mix_f32 v107, s10, v1, v109 op_sel_hi:[0,0,1]
	v_add_f32_e32 v1, 0x40051340, v107
	s_waitcnt vmcnt(0)
	v_fma_mix_f32 v106, s10, v2, v118 op_sel_hi:[0,0,1]
	v_add_f32_e32 v2, 0x40051340, v106
	v_max3_f32 v1, v70, v1, v2
	ds_bpermute_b32 v2, v3, v1
	s_waitcnt lgkmcnt(0)
	v_max_f32_e32 v2, v2, v2
	v_max_f32_e32 v1, v1, v2
	ds_bpermute_b32 v2, v102, v1
	s_waitcnt lgkmcnt(0)
	v_max_f32_e32 v2, v2, v2
	v_max_f32_e32 v1, v1, v2
	;; [unrolled: 4-line block ×4, first 2 shown]
	ds_bpermute_b32 v2, v97, v1
	s_and_saveexec_b32 s24, s19
	s_xor_b32 s19, exec_lo, s24
	s_cbranch_execz .LBB80_67
; %bb.66:                               ;   in Loop: Header=BB80_9 Depth=1
	v_add_f32_e64 v7, |v5|, |v5|
	v_mul_f32_e32 v85, 0x3fb8aa3b, v7
	v_cmp_ngt_f32_e32 vcc_lo, 0xc2ce8ed0, v7
	v_rndne_f32_e32 v110, v85
	v_fma_f32 v119, 0x3fb8aa3b, v7, -v85
	v_sub_f32_e32 v85, v85, v110
	v_fmac_f32_e32 v119, 0x32a5705f, v7
	v_cvt_i32_f32_e32 v110, v110
	v_add_f32_e32 v85, v85, v119
	v_exp_f32_e32 v85, v85
	v_ldexp_f32 v85, v85, v110
	v_cndmask_b32_e32 v85, 0, v85, vcc_lo
	v_cmp_nlt_f32_e32 vcc_lo, 0x42b17218, v7
	v_cndmask_b32_e32 v7, 0x7f800000, v85, vcc_lo
	v_add_f32_e32 v7, 1.0, v7
	v_rcp_f32_e32 v7, v7
	v_fma_f32 v7, v7, -2.0, 1.0
.LBB80_67:                              ;   in Loop: Header=BB80_9 Depth=1
	s_andn2_saveexec_b32 s19, s19
	s_cbranch_execz .LBB80_69
; %bb.68:                               ;   in Loop: Header=BB80_9 Depth=1
	v_mul_f32_e32 v7, v5, v5
	v_fmaak_f32 v85, s18, v7, 0x3ca908c9
	v_fmaak_f32 v85, v7, v85, 0xbd5c1c4e
	;; [unrolled: 1-line block ×4, first 2 shown]
	v_mul_f32_e64 v85, |v5|, v85
	v_fma_f32 v7, v7, v85, |v5|
.LBB80_69:                              ;   in Loop: Header=BB80_9 Depth=1
	s_or_b32 exec_lo, exec_lo, s19
	v_cmp_ngt_f32_e64 s19, 0x3f200000, |v6|
                                        ; implicit-def: $vgpr85
	s_and_saveexec_b32 s24, s19
	s_xor_b32 s19, exec_lo, s24
	s_cbranch_execz .LBB80_71
; %bb.70:                               ;   in Loop: Header=BB80_9 Depth=1
	v_add_f32_e64 v85, |v6|, |v6|
	v_mul_f32_e32 v110, 0x3fb8aa3b, v85
	v_cmp_ngt_f32_e32 vcc_lo, 0xc2ce8ed0, v85
	v_rndne_f32_e32 v119, v110
	v_fma_f32 v120, 0x3fb8aa3b, v85, -v110
	v_sub_f32_e32 v110, v110, v119
	v_fmac_f32_e32 v120, 0x32a5705f, v85
	v_cvt_i32_f32_e32 v119, v119
	v_add_f32_e32 v110, v110, v120
	v_exp_f32_e32 v110, v110
	v_ldexp_f32 v110, v110, v119
	v_cndmask_b32_e32 v110, 0, v110, vcc_lo
	v_cmp_nlt_f32_e32 vcc_lo, 0x42b17218, v85
	v_cndmask_b32_e32 v85, 0x7f800000, v110, vcc_lo
	v_add_f32_e32 v85, 1.0, v85
	v_rcp_f32_e32 v85, v85
	v_fma_f32 v85, v85, -2.0, 1.0
.LBB80_71:                              ;   in Loop: Header=BB80_9 Depth=1
	s_andn2_saveexec_b32 s19, s19
	s_cbranch_execz .LBB80_73
; %bb.72:                               ;   in Loop: Header=BB80_9 Depth=1
	v_mul_f32_e32 v85, v6, v6
	v_fmaak_f32 v110, s18, v85, 0x3ca908c9
	v_fmaak_f32 v110, v85, v110, 0xbd5c1c4e
	;; [unrolled: 1-line block ×4, first 2 shown]
	v_mul_f32_e64 v110, |v6|, v110
	v_fma_f32 v85, v85, v110, |v6|
.LBB80_73:                              ;   in Loop: Header=BB80_9 Depth=1
	s_or_b32 exec_lo, exec_lo, s19
	v_cvt_f32_f16_e32 v110, v109
	v_cvt_f32_f16_e32 v109, v118
	v_bfi_b32 v5, 0x7fffffff, v7, v5
	v_bfi_b32 v6, 0x7fffffff, v85, v6
	v_max_f32_e32 v85, v89, v89
	v_max_f32_e32 v89, v117, v117
	;; [unrolled: 1-line block ×3, first 2 shown]
	v_fmac_f32_e32 v110, s10, v5
	v_fmac_f32_e32 v109, s10, v6
	s_waitcnt lgkmcnt(0)
	v_max_f32_e32 v2, v2, v2
	v_max_f32_e32 v1, v1, v1
	;; [unrolled: 1-line block ×3, first 2 shown]
	v_add_f32_e32 v5, 0x40051340, v110
	v_add_f32_e32 v6, 0x40051340, v109
	v_max_f32_e32 v119, v4, v4
	s_mul_hi_i32 s25, s6, s8
	s_mul_i32 s24, s6, s8
	v_max_f32_e32 v88, v88, v88
	v_max3_f32 v117, v69, v5, v6
	v_max_f32_e32 v6, v87, v85
	s_lshl_b64 s[24:25], s[24:25], 2
	v_max_f32_e32 v112, v112, v112
	v_max_f32_e32 v111, v111, v111
	ds_bpermute_b32 v118, v3, v117
	v_max_f32_e32 v116, v116, v116
	v_max_f32_e32 v115, v115, v115
	s_add_u32 s19, s12, s24
	v_max_f32_e32 v7, v1, v2
	v_max_f32_e32 v1, v119, v108
	s_addc_u32 s24, s13, s25
	v_add_co_u32 v87, vcc_lo, s19, v13
	v_max_f32_e32 v5, v88, v89
	v_max_f32_e32 v2, v111, v112
	v_add_co_ci_u32_e64 v88, null, s24, v14, vcc_lo
	v_add_co_u32 v89, vcc_lo, s19, v15
	v_max_f32_e32 v4, v115, v116
	v_sub_f32_e32 v116, v100, v1
	v_add_co_ci_u32_e64 v108, null, s24, v16, vcc_lo
	v_sub_f32_e32 v115, v79, v1
	s_waitcnt lgkmcnt(0)
	v_max_f32_e32 v85, v118, v118
	v_add_co_u32 v79, vcc_lo, v87, v48
	v_sub_f32_e32 v118, v80, v2
	v_add_co_ci_u32_e64 v80, null, 0, v88, vcc_lo
	v_max_f32_e32 v85, v117, v85
	v_add_co_u32 v87, vcc_lo, v89, v48
	v_max_f32_e32 v114, v114, v114
	v_max_f32_e32 v113, v113, v113
	ds_bpermute_b32 v102, v102, v85
	v_add_co_ci_u32_e64 v88, null, 0, v108, vcc_lo
	s_waitcnt lgkmcnt(0)
	s_barrier
	buffer_gl0_inv
	v_max_f32_e32 v3, v113, v114
	v_sub_f32_e32 v117, v101, v1
	v_sub_f32_e32 v119, v103, v2
	v_mul_f32_e32 v89, 0x3fb8aa3b, v116
	v_mul_f32_e32 v120, 0x3fb8aa3b, v115
	v_sub_f32_e32 v104, v104, v2
	v_mul_f32_e32 v108, 0x3fb8aa3b, v117
	v_mul_f32_e32 v121, 0x3fb8aa3b, v119
	;; [unrolled: 1-line block ×3, first 2 shown]
	v_fma_f32 v125, 0x3fb8aa3b, v115, -v120
	v_rndne_f32_e32 v126, v120
	v_mul_f32_e32 v122, 0x3fb8aa3b, v104
	v_fma_f32 v127, 0x3fb8aa3b, v119, -v121
	v_rndne_f32_e32 v128, v121
	v_max_f32_e32 v100, v102, v102
	v_fmac_f32_e32 v125, 0x32a5705f, v115
	v_sub_f32_e32 v120, v120, v126
	v_fma_f32 v129, 0x3fb8aa3b, v104, -v122
	v_rndne_f32_e32 v130, v122
	v_max_f32_e32 v85, v85, v100
	s_clause 0x1
	global_load_dwordx4 v[100:103], v[79:80], off
	global_load_dwordx4 v[111:114], v[87:88], off
	v_fma_f32 v79, 0x3fb8aa3b, v116, -v89
	v_rndne_f32_e32 v80, v89
	v_fma_f32 v87, 0x3fb8aa3b, v117, -v108
	ds_bpermute_b32 v88, v99, v85
	v_rndne_f32_e32 v99, v108
	v_fmac_f32_e32 v79, 0x32a5705f, v116
	v_sub_f32_e32 v89, v89, v80
	v_fmac_f32_e32 v87, 0x32a5705f, v117
	v_cvt_i32_f32_e32 v80, v80
	v_sub_f32_e32 v108, v108, v99
	v_fmac_f32_e32 v127, 0x32a5705f, v119
	v_add_f32_e32 v79, v89, v79
	v_sub_f32_e32 v121, v121, v128
	v_fma_f32 v131, 0x3fb8aa3b, v118, -v123
	v_add_f32_e32 v87, v108, v87
	v_rndne_f32_e32 v132, v123
	v_exp_f32_e32 v79, v79
	v_cvt_i32_f32_e32 v99, v99
	v_fmac_f32_e32 v129, 0x32a5705f, v104
	v_exp_f32_e32 v87, v87
	v_add_f32_e32 v108, v121, v127
	v_cmp_ngt_f32_e32 vcc_lo, 0xc2ce8ed0, v116
	v_cvt_i32_f32_e32 v126, v126
	s_waitcnt lgkmcnt(0)
	v_max_f32_e32 v88, v88, v88
	v_fmac_f32_e32 v131, 0x32a5705f, v118
	v_exp_f32_e32 v108, v108
	v_ldexp_f32 v79, v79, v80
	v_cvt_i32_f32_e32 v121, v128
	v_max_f32_e32 v85, v85, v88
	v_sub_f32_e32 v88, v122, v130
	v_sub_f32_e32 v122, v123, v132
	v_ldexp_f32 v80, v87, v99
	v_cndmask_b32_e32 v79, 0, v79, vcc_lo
	ds_bpermute_b32 v89, v98, v85
	v_add_f32_e32 v98, v120, v125
	v_add_f32_e32 v88, v88, v129
	v_cmp_ngt_f32_e32 vcc_lo, 0xc2ce8ed0, v117
	v_add_f32_e32 v120, v122, v131
	v_cvt_i32_f32_e32 v122, v130
	v_exp_f32_e32 v98, v98
	v_exp_f32_e32 v88, v88
	v_cndmask_b32_e32 v80, 0, v80, vcc_lo
	v_cmp_ngt_f32_e32 vcc_lo, 0xc2ce8ed0, v115
	v_exp_f32_e32 v120, v120
	v_cvt_i32_f32_e32 v123, v132
	v_sub_f32_e32 v95, v95, v3
	v_sub_f32_e32 v96, v96, v3
	v_sub_f32_e32 v77, v77, v3
	v_sub_f32_e32 v92, v92, v4
	v_ldexp_f32 v87, v98, v126
	v_ldexp_f32 v98, v108, v121
	v_ldexp_f32 v88, v88, v122
	v_mul_f32_e32 v124, 0x3fb8aa3b, v95
	s_waitcnt lgkmcnt(0)
	v_max_f32_e32 v89, v89, v89
	v_ldexp_f32 v99, v120, v123
	v_sub_f32_e32 v75, v75, v4
	v_sub_f32_e32 v90, v90, v5
	v_fma_f32 v133, 0x3fb8aa3b, v95, -v124
	v_max_f32_e32 v89, v85, v89
	v_cndmask_b32_e32 v85, 0, v87, vcc_lo
	v_cmp_ngt_f32_e32 vcc_lo, 0xc2ce8ed0, v119
	v_rndne_f32_e32 v134, v124
	v_fmac_f32_e32 v133, 0x32a5705f, v95
	ds_bpermute_b32 v87, v97, v89
	v_sub_f32_e32 v70, v70, v7
	v_cndmask_b32_e32 v97, 0, v98, vcc_lo
	v_cmp_ngt_f32_e32 vcc_lo, 0xc2ce8ed0, v104
	s_or_b32 s19, s6, 32
	s_mul_hi_i32 s25, s19, s8
	s_mul_i32 s24, s19, s8
	v_cndmask_b32_e32 v88, 0, v88, vcc_lo
	v_cmp_ngt_f32_e32 vcc_lo, 0xc2ce8ed0, v118
	s_lshl_b64 s[24:25], s[24:25], 2
	s_add_u32 s19, s12, s24
	s_addc_u32 s24, s13, s25
	v_cndmask_b32_e32 v98, 0, v99, vcc_lo
	v_cmp_nlt_f32_e32 vcc_lo, 0x42b17218, v115
	v_cndmask_b32_e32 v99, 0x7f800000, v85, vcc_lo
	v_cmp_nlt_f32_e32 vcc_lo, 0x42b17218, v116
	s_waitcnt lgkmcnt(0)
	v_max_f32_e32 v87, v87, v87
	v_cvt_f16_f32_e32 v108, v99
	v_cndmask_b32_e32 v79, 0x7f800000, v79, vcc_lo
	v_cmp_nlt_f32_e32 vcc_lo, 0x42b17218, v117
	v_cvt_f16_f32_e32 v115, v79
	v_cndmask_b32_e32 v80, 0x7f800000, v80, vcc_lo
	v_cmp_nlt_f32_e32 vcc_lo, 0x42b17218, v119
	v_add_f32_e32 v85, v79, v80
	v_cndmask_b32_e32 v97, 0x7f800000, v97, vcc_lo
	v_mul_u32_u24_sdwa v79, v108, v49 dst_sel:DWORD dst_unused:UNUSED_PAD src0_sel:WORD_0 src1_sel:DWORD
	v_cmp_nlt_f32_e32 vcc_lo, 0x42b17218, v104
	v_cvt_f16_f32_e32 v80, v80
	v_fmac_f32_e32 v85, v8, v99
	v_max_f32_e32 v8, v89, v87
	v_pk_mul_f16 v99, v64, v79
	v_pk_mul_f16 v79, v65, v79
	v_sub_f32_e32 v64, v124, v134
	v_mul_f32_e32 v65, 0x3fb8aa3b, v96
	v_cndmask_b32_e32 v88, 0x7f800000, v88, vcc_lo
	v_cmp_nlt_f32_e32 vcc_lo, 0x42b17218, v118
	v_cvt_f16_f32_e32 v108, v97
	v_add_f32_e32 v64, v64, v133
	v_rndne_f32_e32 v104, v65
	v_add_f32_e32 v87, v97, v88
	v_cndmask_b32_e32 v89, 0x7f800000, v98, vcc_lo
	v_fma_f32 v98, 0x3fb8aa3b, v96, -v65
	v_exp_f32_e32 v64, v64
	v_sub_f32_e32 v65, v65, v104
	v_cvt_f16_f32_e32 v116, v88
	v_cvt_f16_f32_e32 v97, v89
	v_fmac_f32_e32 v98, 0x32a5705f, v96
	v_fmac_f32_e32 v87, v78, v89
	v_cmp_ngt_f32_e32 vcc_lo, 0xc2ce8ed0, v95
	v_sub_f32_e32 v69, v69, v8
	v_mul_u32_u24_sdwa v88, v97, v49 dst_sel:DWORD dst_unused:UNUSED_PAD src0_sel:WORD_0 src1_sel:DWORD
	v_cvt_i32_f32_e32 v97, v134
	v_add_f32_e32 v65, v65, v98
	v_mul_f32_e32 v98, 0x3fb8aa3b, v77
	v_pk_mul_f16 v78, v63, v88
	v_ldexp_f32 v63, v64, v97
	v_exp_f32_e32 v64, v65
	v_fma_f32 v65, 0x3fb8aa3b, v77, -v98
	v_rndne_f32_e32 v89, v98
	v_cvt_i32_f32_e32 v97, v104
	v_cndmask_b32_e32 v63, 0, v63, vcc_lo
	v_cmp_nlt_f32_e32 vcc_lo, 0x42b17218, v95
	v_fmac_f32_e32 v65, 0x32a5705f, v77
	v_sub_f32_e32 v98, v98, v89
	v_pk_mul_f16 v95, v62, v88
	v_cvt_i32_f32_e32 v89, v89
	v_cndmask_b32_e32 v63, 0x7f800000, v63, vcc_lo
	v_ldexp_f32 v62, v64, v97
	v_add_f32_e32 v64, v98, v65
	v_sub_f32_e32 v65, v94, v4
	v_cmp_ngt_f32_e32 vcc_lo, 0xc2ce8ed0, v96
	v_mul_f32_e32 v104, 0x3fb8aa3b, v92
	v_cvt_f16_f32_e32 v94, v63
	v_exp_f32_e32 v64, v64
	v_mul_f32_e32 v97, 0x3fb8aa3b, v65
	v_cndmask_b32_e32 v62, 0, v62, vcc_lo
	v_cmp_nlt_f32_e32 vcc_lo, 0x42b17218, v96
	v_fma_f32 v96, 0x3fb8aa3b, v65, -v97
	v_rndne_f32_e32 v98, v97
	v_cndmask_b32_e32 v62, 0x7f800000, v62, vcc_lo
	v_cmp_ngt_f32_e32 vcc_lo, 0xc2ce8ed0, v77
	v_fmac_f32_e32 v96, 0x32a5705f, v65
	v_add_f32_e32 v88, v63, v62
	v_ldexp_f32 v63, v64, v89
	v_sub_f32_e32 v64, v97, v98
	v_fma_f32 v89, 0x3fb8aa3b, v92, -v104
	v_rndne_f32_e32 v97, v104
	v_cndmask_b32_e32 v63, 0, v63, vcc_lo
	v_add_f32_e32 v64, v64, v96
	v_fmac_f32_e32 v89, 0x32a5705f, v92
	v_sub_f32_e32 v104, v104, v97
	v_cmp_nlt_f32_e32 vcc_lo, 0x42b17218, v77
	v_cvt_f16_f32_e32 v77, v62
	v_exp_f32_e32 v64, v64
	v_cvt_i32_f32_e32 v97, v97
	v_add_f32_e32 v62, v104, v89
	v_cndmask_b32_e32 v63, 0x7f800000, v63, vcc_lo
	v_mul_f32_e32 v89, 0x3fb8aa3b, v75
	v_cmp_ngt_f32_e32 vcc_lo, 0xc2ce8ed0, v65
	v_exp_f32_e32 v62, v62
	v_fmac_f32_e32 v88, v76, v63
	v_cvt_f16_f32_e32 v63, v63
	v_cvt_i32_f32_e32 v76, v98
	v_fma_f32 v96, 0x3fb8aa3b, v75, -v89
	v_rndne_f32_e32 v98, v89
	v_mul_u32_u24_sdwa v63, v63, v49 dst_sel:DWORD dst_unused:UNUSED_PAD src0_sel:WORD_0 src1_sel:DWORD
	v_ldexp_f32 v64, v64, v76
	v_fmac_f32_e32 v96, 0x32a5705f, v75
	v_sub_f32_e32 v76, v89, v98
	v_pk_mul_f16 v104, v61, v63
	v_ldexp_f32 v61, v62, v97
	v_cndmask_b32_e32 v62, 0, v64, vcc_lo
	v_cmp_ngt_f32_e32 vcc_lo, 0xc2ce8ed0, v92
	v_add_f32_e32 v64, v76, v96
	v_pk_mul_f16 v76, v60, v63
	v_cvt_i32_f32_e32 v60, v98
	v_mul_f32_e32 v96, 0x3fb8aa3b, v90
	v_cndmask_b32_e32 v61, 0, v61, vcc_lo
	v_cmp_nlt_f32_e32 vcc_lo, 0x42b17218, v65
	v_exp_f32_e32 v64, v64
	v_sub_f32_e32 v65, v91, v5
	v_rndne_f32_e32 v98, v96
	v_cndmask_b32_e32 v62, 0x7f800000, v62, vcc_lo
	v_cmp_nlt_f32_e32 vcc_lo, 0x42b17218, v92
	v_mul_f32_e32 v91, 0x3fb8aa3b, v65
	v_cvt_f16_f32_e32 v63, v62
	v_cndmask_b32_e32 v61, 0x7f800000, v61, vcc_lo
	v_ldexp_f32 v60, v64, v60
	v_fma_f32 v64, 0x3fb8aa3b, v65, -v91
	v_cmp_ngt_f32_e32 vcc_lo, 0xc2ce8ed0, v75
	v_add_f32_e32 v89, v62, v61
	v_sub_f32_e32 v62, v74, v5
	v_rndne_f32_e32 v74, v91
	v_cndmask_b32_e32 v60, 0, v60, vcc_lo
	v_fmac_f32_e32 v64, 0x32a5705f, v65
	v_cmp_nlt_f32_e32 vcc_lo, 0x42b17218, v75
	v_mul_f32_e32 v92, 0x3fb8aa3b, v62
	v_sub_f32_e32 v91, v91, v74
	v_cvt_f16_f32_e32 v61, v61
	v_cndmask_b32_e32 v60, 0x7f800000, v60, vcc_lo
	v_fma_f32 v75, 0x3fb8aa3b, v62, -v92
	v_rndne_f32_e32 v97, v92
	v_add_f32_e32 v64, v91, v64
	v_fma_f32 v91, 0x3fb8aa3b, v90, -v96
	v_cvt_f16_f32_e32 v117, v60
	v_fmac_f32_e32 v75, 0x32a5705f, v62
	v_sub_f32_e32 v92, v92, v97
	v_exp_f32_e32 v64, v64
	v_fmac_f32_e32 v91, 0x32a5705f, v90
	v_sub_f32_e32 v96, v96, v98
	v_fmac_f32_e32 v89, v73, v60
	v_add_f32_e32 v75, v92, v75
	v_mul_u32_u24_sdwa v92, v117, v49 dst_sel:DWORD dst_unused:UNUSED_PAD src0_sel:WORD_0 src1_sel:DWORD
	v_cvt_i32_f32_e32 v60, v74
	v_add_f32_e32 v73, v96, v91
	v_cmp_ngt_f32_e32 vcc_lo, 0xc2ce8ed0, v65
	v_exp_f32_e32 v74, v75
	v_pk_mul_f16 v75, v58, v92
	v_ldexp_f32 v58, v64, v60
	v_pk_mul_f16 v96, v59, v92
	v_exp_f32_e32 v59, v73
	v_cvt_i32_f32_e32 v60, v97
	v_sub_f32_e32 v64, v105, v6
	v_cndmask_b32_e32 v58, 0, v58, vcc_lo
	v_cmp_nlt_f32_e32 vcc_lo, 0x42b17218, v65
	v_cvt_i32_f32_e32 v73, v98
	v_ldexp_f32 v60, v74, v60
	v_mul_f32_e32 v74, 0x3fb8aa3b, v64
	v_pack_b32_f16 v61, v77, v61
	v_cndmask_b32_e32 v58, 0x7f800000, v58, vcc_lo
	v_cmp_ngt_f32_e32 vcc_lo, 0xc2ce8ed0, v62
	v_ldexp_f32 v59, v59, v73
	v_fma_f32 v65, 0x3fb8aa3b, v64, -v74
	v_rndne_f32_e32 v73, v74
	v_cndmask_b32_e32 v60, 0, v60, vcc_lo
	v_cmp_ngt_f32_e32 vcc_lo, 0xc2ce8ed0, v90
	v_fmac_f32_e32 v65, 0x32a5705f, v64
	v_cndmask_b32_e32 v59, 0, v59, vcc_lo
	v_cmp_nlt_f32_e32 vcc_lo, 0x42b17218, v62
	v_sub_f32_e32 v62, v74, v73
	v_cvt_f16_f32_e32 v74, v58
	v_cndmask_b32_e32 v60, 0x7f800000, v60, vcc_lo
	v_cmp_nlt_f32_e32 vcc_lo, 0x42b17218, v90
	v_add_f32_e32 v62, v62, v65
	v_sub_f32_e32 v65, v93, v6
	v_sub_f32_e32 v93, v106, v7
	v_cvt_f16_f32_e32 v91, v60
	v_cndmask_b32_e32 v59, 0x7f800000, v59, vcc_lo
	v_cmp_ngt_f32_e32 vcc_lo, 0xc2ce8ed0, v64
	v_mul_f32_e32 v98, 0x3fb8aa3b, v93
	v_add_f32_e32 v90, v58, v59
	v_cvt_f16_f32_e32 v92, v59
	v_mul_u32_u24_sdwa v58, v91, v49 dst_sel:DWORD dst_unused:UNUSED_PAD src0_sel:WORD_0 src1_sel:DWORD
	v_exp_f32_e32 v59, v62
	v_mul_f32_e32 v62, 0x3fb8aa3b, v65
	v_fmac_f32_e32 v90, v72, v60
	v_sub_f32_e32 v60, v71, v6
	v_pk_mul_f16 v72, v57, v58
	v_cvt_i32_f32_e32 v57, v73
	v_fma_f32 v71, 0x3fb8aa3b, v65, -v62
	v_rndne_f32_e32 v73, v62
	v_mul_f32_e32 v91, 0x3fb8aa3b, v60
	v_pk_mul_f16 v97, v56, v58
	v_ldexp_f32 v56, v59, v57
	v_fmac_f32_e32 v71, 0x32a5705f, v65
	v_sub_f32_e32 v57, v62, v73
	v_fma_f32 v58, 0x3fb8aa3b, v60, -v91
	v_rndne_f32_e32 v59, v91
	v_sub_f32_e32 v62, v107, v7
	v_cndmask_b32_e32 v56, 0, v56, vcc_lo
	v_add_f32_e32 v57, v57, v71
	v_fmac_f32_e32 v58, 0x32a5705f, v60
	v_sub_f32_e32 v71, v91, v59
	v_mul_f32_e32 v91, 0x3fb8aa3b, v62
	v_cmp_nlt_f32_e32 vcc_lo, 0x42b17218, v64
	v_exp_f32_e32 v57, v57
	v_cvt_i32_f32_e32 v73, v73
	v_add_f32_e32 v58, v71, v58
	v_fma_f32 v64, 0x3fb8aa3b, v62, -v91
	v_rndne_f32_e32 v71, v91
	v_cndmask_b32_e32 v56, 0x7f800000, v56, vcc_lo
	v_cmp_ngt_f32_e32 vcc_lo, 0xc2ce8ed0, v65
	v_exp_f32_e32 v58, v58
	v_fmac_f32_e32 v64, 0x32a5705f, v62
	v_sub_f32_e32 v91, v91, v71
	v_ldexp_f32 v57, v57, v73
	v_cvt_i32_f32_e32 v59, v59
	v_fma_f32 v73, 0x3fb8aa3b, v93, -v98
	v_rndne_f32_e32 v106, v98
	v_add_f32_e32 v64, v91, v64
	v_cndmask_b32_e32 v57, 0, v57, vcc_lo
	v_cmp_nlt_f32_e32 vcc_lo, 0x42b17218, v65
	v_ldexp_f32 v58, v58, v59
	v_fmac_f32_e32 v73, 0x32a5705f, v93
	v_exp_f32_e32 v59, v64
	v_sub_f32_e32 v64, v98, v106
	v_cndmask_b32_e32 v57, 0x7f800000, v57, vcc_lo
	v_cmp_ngt_f32_e32 vcc_lo, 0xc2ce8ed0, v60
	v_cvt_i32_f32_e32 v65, v71
	v_cvt_f16_f32_e32 v105, v56
	v_add_f32_e32 v64, v64, v73
	v_add_f32_e32 v91, v56, v57
	v_cndmask_b32_e32 v58, 0, v58, vcc_lo
	v_cmp_nlt_f32_e32 vcc_lo, 0x42b17218, v60
	v_ldexp_f32 v56, v59, v65
	v_cvt_f16_f32_e32 v60, v57
	v_cvt_i32_f32_e32 v59, v106
	v_mul_f32_e32 v73, 0x3fb8aa3b, v70
	v_cndmask_b32_e32 v65, 0x7f800000, v58, vcc_lo
	v_exp_f32_e32 v58, v64
	v_cmp_ngt_f32_e32 vcc_lo, 0xc2ce8ed0, v62
	v_fma_f32 v107, 0x3fb8aa3b, v70, -v73
	v_cvt_f16_f32_e32 v57, v65
	v_rndne_f32_e32 v117, v73
	v_cndmask_b32_e32 v56, 0, v56, vcc_lo
	v_cmp_nlt_f32_e32 vcc_lo, 0x42b17218, v62
	v_sub_f32_e32 v62, v109, v8
	v_mul_u32_u24_sdwa v71, v57, v49 dst_sel:DWORD dst_unused:UNUSED_PAD src0_sel:WORD_0 src1_sel:DWORD
	v_ldexp_f32 v57, v58, v59
	v_fmac_f32_e32 v107, 0x32a5705f, v70
	v_cndmask_b32_e32 v64, 0x7f800000, v56, vcc_lo
	v_sub_f32_e32 v56, v110, v8
	v_cmp_ngt_f32_e32 vcc_lo, 0xc2ce8ed0, v93
	v_mul_f32_e32 v106, 0x3fb8aa3b, v62
	v_sub_f32_e32 v73, v73, v117
	v_cvt_f16_f32_e32 v58, v64
	v_mul_f32_e32 v59, 0x3fb8aa3b, v56
	v_cndmask_b32_e32 v57, 0, v57, vcc_lo
	v_cmp_nlt_f32_e32 vcc_lo, 0x42b17218, v93
	v_fma_f32 v109, 0x3fb8aa3b, v62, -v106
	v_rndne_f32_e32 v110, v106
	v_fma_f32 v98, 0x3fb8aa3b, v56, -v59
	v_add_f32_e32 v73, v73, v107
	v_cndmask_b32_e32 v93, 0x7f800000, v57, vcc_lo
	v_rndne_f32_e32 v57, v59
	v_fmac_f32_e32 v109, 0x32a5705f, v62
	v_fmac_f32_e32 v98, 0x32a5705f, v56
	v_sub_f32_e32 v106, v106, v110
	v_cvt_i32_f32_e32 v110, v110
	v_sub_f32_e32 v59, v59, v57
	v_cvt_i32_f32_e32 v57, v57
	v_cmp_ngt_f32_e32 vcc_lo, 0xc2ce8ed0, v56
	v_add_f32_e32 v106, v106, v109
	v_exp_f32_e32 v73, v73
	v_add_f32_e32 v59, v59, v98
	v_mul_f32_e32 v98, 0x3fb8aa3b, v69
	v_cvt_f16_f32_e32 v107, v93
	v_exp_f32_e32 v106, v106
	v_fmac_f32_e32 v91, v68, v65
	v_exp_f32_e32 v59, v59
	v_fma_f32 v109, 0x3fb8aa3b, v69, -v98
	v_rndne_f32_e32 v118, v98
	v_add_f32_e32 v93, v64, v93
	v_pk_mul_f16 v54, v54, v71
	v_pk_mul_f16 v55, v55, v71
	v_fmac_f32_e32 v109, 0x32a5705f, v69
	v_sub_f32_e32 v98, v98, v118
	v_ldexp_f32 v106, v106, v110
	v_ldexp_f32 v57, v59, v57
	v_add_f32_e32 v59, v98, v109
	v_cvt_i32_f32_e32 v98, v117
	v_cndmask_b32_e32 v57, 0, v57, vcc_lo
	v_cmp_ngt_f32_e32 vcc_lo, 0xc2ce8ed0, v62
	v_exp_f32_e32 v59, v59
	v_cndmask_b32_e32 v106, 0, v106, vcc_lo
	v_cmp_nlt_f32_e32 vcc_lo, 0x42b17218, v56
	v_cvt_i32_f32_e32 v56, v118
	v_cndmask_b32_e32 v109, 0x7f800000, v57, vcc_lo
	v_cmp_nlt_f32_e32 vcc_lo, 0x42b17218, v62
	v_ldexp_f32 v57, v73, v98
	v_ldexp_f32 v56, v59, v56
	v_cvt_f16_f32_e32 v62, v109
	v_cndmask_b32_e32 v73, 0x7f800000, v106, vcc_lo
	v_cmp_ngt_f32_e32 vcc_lo, 0xc2ce8ed0, v70
	v_pack_b32_f16 v59, v58, v62
	v_cvt_f16_f32_e32 v106, v73
	v_cndmask_b32_e32 v98, 0, v57, vcc_lo
	v_cmp_ngt_f32_e32 vcc_lo, 0xc2ce8ed0, v69
	v_pack_b32_f16 v58, v74, v105
	v_pack_b32_f16 v57, v94, v63
	;; [unrolled: 1-line block ×4, first 2 shown]
	v_cndmask_b32_e32 v110, 0, v56, vcc_lo
	v_cmp_nlt_f32_e32 vcc_lo, 0x42b17218, v70
	v_pack_b32_f16 v56, v115, v108
	v_pack_b32_f16 v60, v80, v116
	ds_write_b128 v47, v[56:59]
	ds_write_b128 v47, v[60:63] offset:512
	s_waitcnt vmcnt(1)
	ds_write_b128 v43, v[100:103]
	s_waitcnt vmcnt(0)
	ds_write_b128 v44, v[111:114]
	v_cndmask_b32_e32 v70, 0x7f800000, v98, vcc_lo
	v_cmp_nlt_f32_e32 vcc_lo, 0x42b17218, v69
	s_waitcnt lgkmcnt(0)
	s_barrier
	buffer_gl0_inv
	v_cvt_f16_f32_e32 v60, v70
	v_cndmask_b32_e32 v69, 0x7f800000, v110, vcc_lo
	ds_read_b128 v[56:59], v42
	v_add_f32_e32 v92, v109, v73
	v_fmac_f32_e32 v93, v67, v70
	v_mul_u32_u24_sdwa v64, v60, v49 dst_sel:DWORD dst_unused:UNUSED_PAD src0_sel:WORD_0 src1_sel:DWORD
	v_cvt_f16_f32_e32 v65, v69
	ds_read2_b64 v[60:63], v45 offset1:32
	v_fmac_f32_e32 v92, v66, v69
	v_add_co_u32 v150, vcc_lo, s19, v13
	v_mul_u32_u24_sdwa v65, v65, v49 dst_sel:DWORD dst_unused:UNUSED_PAD src0_sel:WORD_0 src1_sel:DWORD
	v_pk_mul_f16 v73, v52, v64
	v_pk_mul_f16 v74, v53, v64
	v_add_co_ci_u32_e64 v151, null, s24, v14, vcc_lo
	v_pk_mul_f16 v77, v51, v65
	v_pk_mul_f16 v80, v50, v65
	ds_read_b128 v[50:53], v42 offset:16
	ds_read_b128 v[64:67], v42 offset:32
	;; [unrolled: 1-line block ×3, first 2 shown]
	v_add_co_u32 v152, vcc_lo, s19, v15
	v_add_co_ci_u32_e64 v153, null, s24, v16, vcc_lo
	s_waitcnt lgkmcnt(4)
	v_mul_u32_u24_sdwa v94, v56, v49 dst_sel:DWORD dst_unused:UNUSED_PAD src0_sel:WORD_0 src1_sel:DWORD
	v_mul_u32_u24_sdwa v56, v56, v49 dst_sel:DWORD dst_unused:UNUSED_PAD src0_sel:WORD_1 src1_sel:DWORD
	v_mul_u32_u24_sdwa v98, v57, v49 dst_sel:DWORD dst_unused:UNUSED_PAD src0_sel:WORD_0 src1_sel:DWORD
	v_mul_u32_u24_sdwa v57, v57, v49 dst_sel:DWORD dst_unused:UNUSED_PAD src0_sel:WORD_1 src1_sel:DWORD
	;; [unrolled: 2-line block ×4, first 2 shown]
	s_waitcnt lgkmcnt(3)
	v_pk_fma_f16 v99, v60, v94, v99
	v_pk_fma_f16 v78, v60, v56, v78
	;; [unrolled: 1-line block ×16, first 2 shown]
	s_waitcnt lgkmcnt(2)
	v_mul_u32_u24_sdwa v61, v50, v49 dst_sel:DWORD dst_unused:UNUSED_PAD src0_sel:WORD_0 src1_sel:DWORD
	v_mul_u32_u24_sdwa v74, v50, v49 dst_sel:DWORD dst_unused:UNUSED_PAD src0_sel:WORD_1 src1_sel:DWORD
	v_mul_u32_u24_sdwa v80, v51, v49 dst_sel:DWORD dst_unused:UNUSED_PAD src0_sel:WORD_0 src1_sel:DWORD
	v_mul_u32_u24_sdwa v94, v51, v49 dst_sel:DWORD dst_unused:UNUSED_PAD src0_sel:WORD_1 src1_sel:DWORD
	;; [unrolled: 2-line block ×4, first 2 shown]
	ds_read2_b64 v[50:53], v45 offset0:64 offset1:96
	v_pk_fma_f16 v99, v62, v61, v99
	v_pk_fma_f16 v78, v62, v74, v78
	;; [unrolled: 1-line block ×16, first 2 shown]
	s_waitcnt lgkmcnt(2)
	v_mul_u32_u24_sdwa v63, v64, v49 dst_sel:DWORD dst_unused:UNUSED_PAD src0_sel:WORD_0 src1_sel:DWORD
	v_mul_u32_u24_sdwa v64, v64, v49 dst_sel:DWORD dst_unused:UNUSED_PAD src0_sel:WORD_1 src1_sel:DWORD
	v_mul_u32_u24_sdwa v76, v65, v49 dst_sel:DWORD dst_unused:UNUSED_PAD src0_sel:WORD_0 src1_sel:DWORD
	v_mul_u32_u24_sdwa v65, v65, v49 dst_sel:DWORD dst_unused:UNUSED_PAD src0_sel:WORD_1 src1_sel:DWORD
	;; [unrolled: 2-line block ×4, first 2 shown]
	s_waitcnt lgkmcnt(0)
	v_pk_fma_f16 v80, v50, v63, v99
	v_pk_fma_f16 v78, v50, v64, v78
	;; [unrolled: 1-line block ×16, first 2 shown]
	v_mul_u32_u24_sdwa v67, v68, v49 dst_sel:DWORD dst_unused:UNUSED_PAD src0_sel:WORD_0 src1_sel:DWORD
	v_mul_u32_u24_sdwa v68, v68, v49 dst_sel:DWORD dst_unused:UNUSED_PAD src0_sel:WORD_1 src1_sel:DWORD
	v_mul_u32_u24_sdwa v77, v69, v49 dst_sel:DWORD dst_unused:UNUSED_PAD src0_sel:WORD_0 src1_sel:DWORD
	v_mul_u32_u24_sdwa v69, v69, v49 dst_sel:DWORD dst_unused:UNUSED_PAD src0_sel:WORD_1 src1_sel:DWORD
	;; [unrolled: 2-line block ×3, first 2 shown]
	v_mul_u32_u24_sdwa v96, v71, v49 dst_sel:DWORD dst_unused:UNUSED_PAD src0_sel:WORD_0 src1_sel:DWORD
	ds_read_b128 v[54:57], v42 offset:64
	v_mul_u32_u24_sdwa v71, v71, v49 dst_sel:DWORD dst_unused:UNUSED_PAD src0_sel:WORD_1 src1_sel:DWORD
	v_pk_fma_f16 v80, v52, v67, v80
	v_pk_fma_f16 v78, v52, v68, v78
	v_pk_fma_f16 v94, v52, v77, v94
	v_pk_fma_f16 v75, v52, v69, v75
	v_pk_fma_f16 v72, v52, v79, v72
	v_pk_fma_f16 v95, v52, v70, v95
	ds_read2_b64 v[58:61], v45 offset0:128 offset1:160
	v_pk_fma_f16 v73, v52, v96, v73
	v_pk_fma_f16 v97, v52, v71, v50
	v_pk_fma_f16 v63, v53, v67, v63
	v_pk_fma_f16 v64, v53, v68, v64
	v_pk_fma_f16 v62, v53, v77, v62
	v_pk_fma_f16 v65, v53, v69, v65
	v_pk_fma_f16 v67, v53, v79, v74
	v_pk_fma_f16 v66, v53, v70, v66
	v_pk_fma_f16 v68, v53, v96, v76
	v_pk_fma_f16 v69, v53, v71, v51
	ds_read_b128 v[50:53], v42 offset:80
	s_waitcnt lgkmcnt(2)
	v_mul_u32_u24_sdwa v70, v54, v49 dst_sel:DWORD dst_unused:UNUSED_PAD src0_sel:WORD_0 src1_sel:DWORD
	v_mul_u32_u24_sdwa v54, v54, v49 dst_sel:DWORD dst_unused:UNUSED_PAD src0_sel:WORD_1 src1_sel:DWORD
	v_mul_u32_u24_sdwa v71, v55, v49 dst_sel:DWORD dst_unused:UNUSED_PAD src0_sel:WORD_0 src1_sel:DWORD
	v_mul_u32_u24_sdwa v55, v55, v49 dst_sel:DWORD dst_unused:UNUSED_PAD src0_sel:WORD_1 src1_sel:DWORD
	;; [unrolled: 2-line block ×4, first 2 shown]
	s_waitcnt lgkmcnt(1)
	v_pk_fma_f16 v77, v58, v70, v80
	v_pk_fma_f16 v78, v58, v54, v78
	;; [unrolled: 1-line block ×16, first 2 shown]
	s_waitcnt lgkmcnt(0)
	v_mul_u32_u24_sdwa v69, v50, v49 dst_sel:DWORD dst_unused:UNUSED_PAD src0_sel:WORD_0 src1_sel:DWORD
	v_mul_u32_u24_sdwa v70, v50, v49 dst_sel:DWORD dst_unused:UNUSED_PAD src0_sel:WORD_1 src1_sel:DWORD
	v_mul_u32_u24_sdwa v71, v51, v49 dst_sel:DWORD dst_unused:UNUSED_PAD src0_sel:WORD_0 src1_sel:DWORD
	v_mul_u32_u24_sdwa v74, v51, v49 dst_sel:DWORD dst_unused:UNUSED_PAD src0_sel:WORD_1 src1_sel:DWORD
	;; [unrolled: 2-line block ×3, first 2 shown]
	v_mul_u32_u24_sdwa v95, v53, v49 dst_sel:DWORD dst_unused:UNUSED_PAD src0_sel:WORD_0 src1_sel:DWORD
	ds_read_b128 v[54:57], v42 offset:96
	v_mul_u32_u24_sdwa v96, v53, v49 dst_sel:DWORD dst_unused:UNUSED_PAD src0_sel:WORD_1 src1_sel:DWORD
	v_pk_fma_f16 v77, v60, v69, v77
	v_pk_fma_f16 v78, v60, v70, v78
	;; [unrolled: 1-line block ×6, first 2 shown]
	ds_read2_b64 v[50:53], v45 offset0:192 offset1:224
	v_pk_fma_f16 v73, v60, v95, v73
	v_pk_fma_f16 v97, v60, v96, v58
	;; [unrolled: 1-line block ×10, first 2 shown]
	ds_read_b128 v[58:61], v42 offset:112
	s_waitcnt lgkmcnt(2)
	v_mul_u32_u24_sdwa v70, v54, v49 dst_sel:DWORD dst_unused:UNUSED_PAD src0_sel:WORD_0 src1_sel:DWORD
	v_mul_u32_u24_sdwa v54, v54, v49 dst_sel:DWORD dst_unused:UNUSED_PAD src0_sel:WORD_1 src1_sel:DWORD
	v_mul_u32_u24_sdwa v71, v55, v49 dst_sel:DWORD dst_unused:UNUSED_PAD src0_sel:WORD_0 src1_sel:DWORD
	v_mul_u32_u24_sdwa v55, v55, v49 dst_sel:DWORD dst_unused:UNUSED_PAD src0_sel:WORD_1 src1_sel:DWORD
	;; [unrolled: 2-line block ×4, first 2 shown]
	s_waitcnt lgkmcnt(1)
	v_pk_fma_f16 v77, v50, v70, v77
	v_pk_fma_f16 v78, v50, v54, v78
	;; [unrolled: 1-line block ×16, first 2 shown]
	s_waitcnt lgkmcnt(0)
	v_mul_u32_u24_sdwa v70, v58, v49 dst_sel:DWORD dst_unused:UNUSED_PAD src0_sel:WORD_0 src1_sel:DWORD
	v_mul_u32_u24_sdwa v71, v58, v49 dst_sel:DWORD dst_unused:UNUSED_PAD src0_sel:WORD_1 src1_sel:DWORD
	v_mul_u32_u24_sdwa v74, v59, v49 dst_sel:DWORD dst_unused:UNUSED_PAD src0_sel:WORD_0 src1_sel:DWORD
	v_mul_u32_u24_sdwa v76, v59, v49 dst_sel:DWORD dst_unused:UNUSED_PAD src0_sel:WORD_1 src1_sel:DWORD
	;; [unrolled: 2-line block ×4, first 2 shown]
	ds_read_b128 v[54:57], v42 offset:128
	v_add_nc_u32_e32 v51, 0x800, v45
	v_pk_fma_f16 v77, v52, v70, v77
	v_pk_fma_f16 v78, v52, v71, v78
	;; [unrolled: 1-line block ×6, first 2 shown]
	ds_read2_b64 v[58:61], v51 offset1:32
	v_pk_fma_f16 v73, v52, v96, v73
	v_pk_fma_f16 v50, v52, v97, v50
	;; [unrolled: 1-line block ×6, first 2 shown]
	ds_read_b128 v[62:65], v42 offset:144
	v_pk_fma_f16 v67, v53, v94, v67
	v_pk_fma_f16 v66, v53, v95, v66
	;; [unrolled: 1-line block ×4, first 2 shown]
	s_waitcnt lgkmcnt(2)
	v_mul_u32_u24_sdwa v69, v54, v49 dst_sel:DWORD dst_unused:UNUSED_PAD src0_sel:WORD_0 src1_sel:DWORD
	v_mul_u32_u24_sdwa v54, v54, v49 dst_sel:DWORD dst_unused:UNUSED_PAD src0_sel:WORD_1 src1_sel:DWORD
	v_mul_u32_u24_sdwa v76, v55, v49 dst_sel:DWORD dst_unused:UNUSED_PAD src0_sel:WORD_0 src1_sel:DWORD
	v_mul_u32_u24_sdwa v55, v55, v49 dst_sel:DWORD dst_unused:UNUSED_PAD src0_sel:WORD_1 src1_sel:DWORD
	v_mul_u32_u24_sdwa v94, v56, v49 dst_sel:DWORD dst_unused:UNUSED_PAD src0_sel:WORD_0 src1_sel:DWORD
	v_mul_u32_u24_sdwa v56, v56, v49 dst_sel:DWORD dst_unused:UNUSED_PAD src0_sel:WORD_1 src1_sel:DWORD
	v_mul_u32_u24_sdwa v95, v57, v49 dst_sel:DWORD dst_unused:UNUSED_PAD src0_sel:WORD_0 src1_sel:DWORD
	v_mul_u32_u24_sdwa v57, v57, v49 dst_sel:DWORD dst_unused:UNUSED_PAD src0_sel:WORD_1 src1_sel:DWORD
	s_waitcnt lgkmcnt(1)
	v_pk_fma_f16 v77, v58, v69, v77
	v_pk_fma_f16 v78, v58, v54, v78
	v_pk_fma_f16 v79, v58, v76, v79
	v_pk_fma_f16 v75, v58, v55, v75
	v_pk_fma_f16 v72, v58, v94, v72
	v_pk_fma_f16 v80, v58, v56, v80
	v_pk_fma_f16 v73, v58, v95, v73
	v_pk_fma_f16 v50, v58, v57, v50
	v_pk_fma_f16 v69, v59, v69, v52
	v_pk_fma_f16 v70, v59, v54, v70
	v_pk_fma_f16 v71, v59, v76, v71
	v_pk_fma_f16 v74, v59, v55, v74
	v_pk_fma_f16 v67, v59, v94, v67
	v_pk_fma_f16 v66, v59, v56, v66
	v_pk_fma_f16 v68, v59, v95, v68
	v_pk_fma_f16 v76, v59, v57, v53
	s_waitcnt lgkmcnt(0)
	v_mul_u32_u24_sdwa v94, v62, v49 dst_sel:DWORD dst_unused:UNUSED_PAD src0_sel:WORD_0 src1_sel:DWORD
	v_mul_u32_u24_sdwa v62, v62, v49 dst_sel:DWORD dst_unused:UNUSED_PAD src0_sel:WORD_1 src1_sel:DWORD
	v_mul_u32_u24_sdwa v95, v63, v49 dst_sel:DWORD dst_unused:UNUSED_PAD src0_sel:WORD_0 src1_sel:DWORD
	v_mul_u32_u24_sdwa v63, v63, v49 dst_sel:DWORD dst_unused:UNUSED_PAD src0_sel:WORD_1 src1_sel:DWORD
	v_mul_u32_u24_sdwa v96, v64, v49 dst_sel:DWORD dst_unused:UNUSED_PAD src0_sel:WORD_0 src1_sel:DWORD
	v_mul_u32_u24_sdwa v64, v64, v49 dst_sel:DWORD dst_unused:UNUSED_PAD src0_sel:WORD_1 src1_sel:DWORD
	v_mul_u32_u24_sdwa v97, v65, v49 dst_sel:DWORD dst_unused:UNUSED_PAD src0_sel:WORD_0 src1_sel:DWORD
	ds_read_b128 v[52:55], v42 offset:160
	v_mul_u32_u24_sdwa v65, v65, v49 dst_sel:DWORD dst_unused:UNUSED_PAD src0_sel:WORD_1 src1_sel:DWORD
	v_pk_fma_f16 v77, v60, v94, v77
	v_pk_fma_f16 v78, v60, v62, v78
	v_pk_fma_f16 v79, v60, v95, v79
	v_pk_fma_f16 v75, v60, v63, v75
	v_pk_fma_f16 v72, v60, v96, v72
	v_pk_fma_f16 v80, v60, v64, v80
	ds_read2_b64 v[56:59], v51 offset0:64 offset1:96
	v_pk_fma_f16 v73, v60, v97, v73
	v_pk_fma_f16 v50, v60, v65, v50
	v_pk_fma_f16 v69, v61, v94, v69
	v_pk_fma_f16 v70, v61, v62, v70
	v_pk_fma_f16 v71, v61, v95, v71
	v_pk_fma_f16 v74, v61, v63, v74
	v_pk_fma_f16 v67, v61, v96, v67
	v_pk_fma_f16 v64, v61, v64, v66
	v_pk_fma_f16 v66, v61, v97, v68
	v_pk_fma_f16 v65, v61, v65, v76
	ds_read_b128 v[60:63], v42 offset:176
	s_waitcnt lgkmcnt(2)
	v_mul_u32_u24_sdwa v68, v52, v49 dst_sel:DWORD dst_unused:UNUSED_PAD src0_sel:WORD_0 src1_sel:DWORD
	v_mul_u32_u24_sdwa v52, v52, v49 dst_sel:DWORD dst_unused:UNUSED_PAD src0_sel:WORD_1 src1_sel:DWORD
	v_mul_u32_u24_sdwa v76, v53, v49 dst_sel:DWORD dst_unused:UNUSED_PAD src0_sel:WORD_0 src1_sel:DWORD
	v_mul_u32_u24_sdwa v53, v53, v49 dst_sel:DWORD dst_unused:UNUSED_PAD src0_sel:WORD_1 src1_sel:DWORD
	v_mul_u32_u24_sdwa v94, v54, v49 dst_sel:DWORD dst_unused:UNUSED_PAD src0_sel:WORD_0 src1_sel:DWORD
	v_mul_u32_u24_sdwa v54, v54, v49 dst_sel:DWORD dst_unused:UNUSED_PAD src0_sel:WORD_1 src1_sel:DWORD
	v_mul_u32_u24_sdwa v95, v55, v49 dst_sel:DWORD dst_unused:UNUSED_PAD src0_sel:WORD_0 src1_sel:DWORD
	v_mul_u32_u24_sdwa v55, v55, v49 dst_sel:DWORD dst_unused:UNUSED_PAD src0_sel:WORD_1 src1_sel:DWORD
	s_waitcnt lgkmcnt(1)
	v_pk_fma_f16 v77, v56, v68, v77
	v_pk_fma_f16 v78, v56, v52, v78
	v_pk_fma_f16 v79, v56, v76, v79
	v_pk_fma_f16 v75, v56, v53, v75
	v_pk_fma_f16 v72, v56, v94, v72
	v_pk_fma_f16 v80, v56, v54, v80
	v_pk_fma_f16 v73, v56, v95, v73
	v_pk_fma_f16 v50, v56, v55, v50
	v_pk_fma_f16 v56, v57, v68, v69
	v_pk_fma_f16 v68, v57, v52, v70
	v_pk_fma_f16 v69, v57, v76, v71
	v_pk_fma_f16 v70, v57, v53, v74
	v_pk_fma_f16 v67, v57, v94, v67
	v_pk_fma_f16 v64, v57, v54, v64
	v_pk_fma_f16 v66, v57, v95, v66
	v_pk_fma_f16 v57, v57, v55, v65
	s_waitcnt lgkmcnt(0)
	v_mul_u32_u24_sdwa v65, v60, v49 dst_sel:DWORD dst_unused:UNUSED_PAD src0_sel:WORD_0 src1_sel:DWORD
	v_mul_u32_u24_sdwa v71, v60, v49 dst_sel:DWORD dst_unused:UNUSED_PAD src0_sel:WORD_1 src1_sel:DWORD
	v_mul_u32_u24_sdwa v74, v61, v49 dst_sel:DWORD dst_unused:UNUSED_PAD src0_sel:WORD_0 src1_sel:DWORD
	v_mul_u32_u24_sdwa v76, v61, v49 dst_sel:DWORD dst_unused:UNUSED_PAD src0_sel:WORD_1 src1_sel:DWORD
	v_mul_u32_u24_sdwa v94, v62, v49 dst_sel:DWORD dst_unused:UNUSED_PAD src0_sel:WORD_0 src1_sel:DWORD
	v_mul_u32_u24_sdwa v95, v62, v49 dst_sel:DWORD dst_unused:UNUSED_PAD src0_sel:WORD_1 src1_sel:DWORD
	v_mul_u32_u24_sdwa v96, v63, v49 dst_sel:DWORD dst_unused:UNUSED_PAD src0_sel:WORD_0 src1_sel:DWORD
	ds_read_b128 v[52:55], v42 offset:192
	v_mul_u32_u24_sdwa v97, v63, v49 dst_sel:DWORD dst_unused:UNUSED_PAD src0_sel:WORD_1 src1_sel:DWORD
	v_pk_fma_f16 v77, v58, v65, v77
	v_pk_fma_f16 v78, v58, v71, v78
	v_pk_fma_f16 v79, v58, v74, v79
	v_pk_fma_f16 v75, v58, v76, v75
	v_pk_fma_f16 v72, v58, v94, v72
	v_pk_fma_f16 v80, v58, v95, v80
	ds_read2_b64 v[60:63], v51 offset0:128 offset1:160
	v_pk_fma_f16 v73, v58, v96, v73
	v_pk_fma_f16 v50, v58, v97, v50
	v_pk_fma_f16 v65, v59, v65, v56
	v_pk_fma_f16 v68, v59, v71, v68
	v_pk_fma_f16 v69, v59, v74, v69
	v_pk_fma_f16 v70, v59, v76, v70
	v_pk_fma_f16 v67, v59, v94, v67
	v_pk_fma_f16 v64, v59, v95, v64
	v_pk_fma_f16 v66, v59, v96, v66
	v_pk_fma_f16 v71, v59, v97, v57
	ds_read_b128 v[56:59], v42 offset:208
	;; [unrolled: 54-line block ×3, first 2 shown]
	s_waitcnt lgkmcnt(2)
	v_mul_u32_u24_sdwa v74, v52, v49 dst_sel:DWORD dst_unused:UNUSED_PAD src0_sel:WORD_0 src1_sel:DWORD
	v_mul_u32_u24_sdwa v52, v52, v49 dst_sel:DWORD dst_unused:UNUSED_PAD src0_sel:WORD_1 src1_sel:DWORD
	v_mul_u32_u24_sdwa v76, v53, v49 dst_sel:DWORD dst_unused:UNUSED_PAD src0_sel:WORD_0 src1_sel:DWORD
	v_mul_u32_u24_sdwa v53, v53, v49 dst_sel:DWORD dst_unused:UNUSED_PAD src0_sel:WORD_1 src1_sel:DWORD
	;; [unrolled: 2-line block ×4, first 2 shown]
	s_waitcnt lgkmcnt(1)
	v_pk_fma_f16 v77, v56, v74, v77
	v_pk_fma_f16 v78, v56, v52, v78
	;; [unrolled: 1-line block ×16, first 2 shown]
	s_waitcnt lgkmcnt(0)
	v_mul_u32_u24_sdwa v71, v60, v49 dst_sel:DWORD dst_unused:UNUSED_PAD src0_sel:WORD_0 src1_sel:DWORD
	v_mul_u32_u24_sdwa v74, v60, v49 dst_sel:DWORD dst_unused:UNUSED_PAD src0_sel:WORD_1 src1_sel:DWORD
	v_mul_u32_u24_sdwa v76, v61, v49 dst_sel:DWORD dst_unused:UNUSED_PAD src0_sel:WORD_0 src1_sel:DWORD
	v_mul_u32_u24_sdwa v94, v61, v49 dst_sel:DWORD dst_unused:UNUSED_PAD src0_sel:WORD_1 src1_sel:DWORD
	;; [unrolled: 2-line block ×4, first 2 shown]
	ds_read_b128 v[53:56], v42 offset:256
	v_add_nc_u32_e32 v52, 0x1000, v45
	v_pk_fma_f16 v77, v58, v71, v77
	v_pk_fma_f16 v78, v58, v74, v78
	;; [unrolled: 1-line block ×6, first 2 shown]
	ds_read2_b64 v[60:63], v52 offset1:32
	v_pk_fma_f16 v73, v58, v97, v73
	v_pk_fma_f16 v50, v58, v98, v50
	;; [unrolled: 1-line block ×8, first 2 shown]
	ds_read_b128 v[64:67], v42 offset:272
	v_pk_fma_f16 v69, v59, v94, v69
	v_pk_fma_f16 v57, v59, v98, v57
	s_waitcnt lgkmcnt(2)
	v_mul_u32_u24_sdwa v59, v53, v49 dst_sel:DWORD dst_unused:UNUSED_PAD src0_sel:WORD_0 src1_sel:DWORD
	v_mul_u32_u24_sdwa v53, v53, v49 dst_sel:DWORD dst_unused:UNUSED_PAD src0_sel:WORD_1 src1_sel:DWORD
	v_mul_u32_u24_sdwa v94, v54, v49 dst_sel:DWORD dst_unused:UNUSED_PAD src0_sel:WORD_0 src1_sel:DWORD
	v_mul_u32_u24_sdwa v54, v54, v49 dst_sel:DWORD dst_unused:UNUSED_PAD src0_sel:WORD_1 src1_sel:DWORD
	v_mul_u32_u24_sdwa v95, v55, v49 dst_sel:DWORD dst_unused:UNUSED_PAD src0_sel:WORD_0 src1_sel:DWORD
	v_mul_u32_u24_sdwa v55, v55, v49 dst_sel:DWORD dst_unused:UNUSED_PAD src0_sel:WORD_1 src1_sel:DWORD
	v_mul_u32_u24_sdwa v96, v56, v49 dst_sel:DWORD dst_unused:UNUSED_PAD src0_sel:WORD_0 src1_sel:DWORD
	v_mul_u32_u24_sdwa v56, v56, v49 dst_sel:DWORD dst_unused:UNUSED_PAD src0_sel:WORD_1 src1_sel:DWORD
	s_waitcnt lgkmcnt(1)
	v_pk_fma_f16 v77, v60, v59, v77
	v_pk_fma_f16 v78, v60, v53, v78
	;; [unrolled: 1-line block ×9, first 2 shown]
	s_waitcnt lgkmcnt(0)
	v_mul_u32_u24_sdwa v94, v67, v49 dst_sel:DWORD dst_unused:UNUSED_PAD src0_sel:WORD_0 src1_sel:DWORD
	v_mul_u32_u24_sdwa v67, v67, v49 dst_sel:DWORD dst_unused:UNUSED_PAD src0_sel:WORD_1 src1_sel:DWORD
	v_add_co_u32 v150, vcc_lo, v150, v48
	v_add_co_ci_u32_e64 v151, null, 0, v151, vcc_lo
	v_add_co_u32 v154, vcc_lo, v152, v48
	v_pk_fma_f16 v58, v61, v59, v58
	v_pk_fma_f16 v59, v61, v53, v70
	;; [unrolled: 1-line block ×7, first 2 shown]
	v_mul_u32_u24_sdwa v61, v64, v49 dst_sel:DWORD dst_unused:UNUSED_PAD src0_sel:WORD_0 src1_sel:DWORD
	v_mul_u32_u24_sdwa v64, v64, v49 dst_sel:DWORD dst_unused:UNUSED_PAD src0_sel:WORD_1 src1_sel:DWORD
	v_mul_u32_u24_sdwa v74, v65, v49 dst_sel:DWORD dst_unused:UNUSED_PAD src0_sel:WORD_0 src1_sel:DWORD
	v_mul_u32_u24_sdwa v65, v65, v49 dst_sel:DWORD dst_unused:UNUSED_PAD src0_sel:WORD_1 src1_sel:DWORD
	;; [unrolled: 2-line block ×3, first 2 shown]
	v_pk_fma_f16 v165, v62, v67, v50
	v_add_nc_u32_e32 v50, 0x1800, v45
	v_add_co_ci_u32_e64 v155, null, 0, v153, vcc_lo
	ds_read_b128 v[53:56], v42 offset:288
	v_pk_fma_f16 v158, v62, v61, v77
	v_pk_fma_f16 v159, v62, v64, v78
	;; [unrolled: 1-line block ×15, first 2 shown]
	ds_read2_b64 v[57:60], v52 offset0:64 offset1:96
	ds_read_b128 v[61:64], v42 offset:304
	ds_read2_b64 v[65:68], v52 offset0:128 offset1:160
	ds_read_b128 v[69:72], v42 offset:320
	ds_read_b128 v[73:76], v42 offset:336
	ds_read2_b64 v[77:80], v52 offset0:192 offset1:224
	ds_read_b128 v[94:97], v42 offset:352
	ds_read_b128 v[98:101], v42 offset:368
	ds_read2_b64 v[102:105], v50 offset1:32
	ds_read_b128 v[106:109], v42 offset:384
	ds_read_b128 v[110:113], v42 offset:400
	ds_read2_b64 v[114:117], v50 offset0:64 offset1:96
	ds_read_b128 v[118:121], v42 offset:416
	ds_read_b128 v[122:125], v42 offset:432
	ds_read2_b64 v[126:129], v50 offset0:128 offset1:160
	;; [unrolled: 3-line block ×3, first 2 shown]
	ds_read_b128 v[142:145], v42 offset:480
	ds_read_b128 v[146:149], v42 offset:496
	s_waitcnt lgkmcnt(0)
	s_barrier
	buffer_gl0_inv
	s_clause 0x1
	global_load_dwordx4 v[150:153], v[150:151], off
	global_load_dwordx4 v[154:157], v[154:155], off
	v_mul_u32_u24_sdwa v174, v53, v49 dst_sel:DWORD dst_unused:UNUSED_PAD src0_sel:WORD_0 src1_sel:DWORD
	v_mul_u32_u24_sdwa v53, v53, v49 dst_sel:DWORD dst_unused:UNUSED_PAD src0_sel:WORD_1 src1_sel:DWORD
	v_mul_u32_u24_sdwa v175, v54, v49 dst_sel:DWORD dst_unused:UNUSED_PAD src0_sel:WORD_0 src1_sel:DWORD
	v_mul_u32_u24_sdwa v54, v54, v49 dst_sel:DWORD dst_unused:UNUSED_PAD src0_sel:WORD_1 src1_sel:DWORD
	v_mul_u32_u24_sdwa v176, v55, v49 dst_sel:DWORD dst_unused:UNUSED_PAD src0_sel:WORD_0 src1_sel:DWORD
	v_mul_u32_u24_sdwa v55, v55, v49 dst_sel:DWORD dst_unused:UNUSED_PAD src0_sel:WORD_1 src1_sel:DWORD
	v_mul_u32_u24_sdwa v177, v56, v49 dst_sel:DWORD dst_unused:UNUSED_PAD src0_sel:WORD_0 src1_sel:DWORD
	v_mul_u32_u24_sdwa v56, v56, v49 dst_sel:DWORD dst_unused:UNUSED_PAD src0_sel:WORD_1 src1_sel:DWORD
	s_waitcnt vmcnt(1)
	ds_write_b128 v43, v[150:153]
	s_waitcnt vmcnt(0)
	ds_write_b128 v44, v[154:157]
	v_pk_fma_f16 v158, v57, v174, v158
	v_pk_fma_f16 v159, v57, v53, v159
	v_pk_fma_f16 v160, v57, v175, v160
	v_pk_fma_f16 v161, v57, v54, v161
	v_pk_fma_f16 v162, v57, v176, v162
	v_pk_fma_f16 v163, v57, v55, v163
	v_pk_fma_f16 v164, v57, v177, v164
	v_pk_fma_f16 v57, v57, v56, v165
	v_pk_fma_f16 v165, v58, v174, v166
	v_pk_fma_f16 v53, v58, v53, v167
	v_pk_fma_f16 v166, v58, v175, v168
	v_pk_fma_f16 v54, v58, v54, v169
	v_pk_fma_f16 v167, v58, v176, v170
	v_pk_fma_f16 v55, v58, v55, v171
	v_pk_fma_f16 v168, v58, v177, v172
	v_pk_fma_f16 v56, v58, v56, v173
	v_mul_u32_u24_sdwa v58, v61, v49 dst_sel:DWORD dst_unused:UNUSED_PAD src0_sel:WORD_0 src1_sel:DWORD
	v_mul_u32_u24_sdwa v61, v61, v49 dst_sel:DWORD dst_unused:UNUSED_PAD src0_sel:WORD_1 src1_sel:DWORD
	v_mul_u32_u24_sdwa v169, v62, v49 dst_sel:DWORD dst_unused:UNUSED_PAD src0_sel:WORD_0 src1_sel:DWORD
	v_mul_u32_u24_sdwa v62, v62, v49 dst_sel:DWORD dst_unused:UNUSED_PAD src0_sel:WORD_1 src1_sel:DWORD
	v_mul_u32_u24_sdwa v170, v63, v49 dst_sel:DWORD dst_unused:UNUSED_PAD src0_sel:WORD_0 src1_sel:DWORD
	v_mul_u32_u24_sdwa v63, v63, v49 dst_sel:DWORD dst_unused:UNUSED_PAD src0_sel:WORD_1 src1_sel:DWORD
	v_mul_u32_u24_sdwa v171, v64, v49 dst_sel:DWORD dst_unused:UNUSED_PAD src0_sel:WORD_0 src1_sel:DWORD
	v_mul_u32_u24_sdwa v64, v64, v49 dst_sel:DWORD dst_unused:UNUSED_PAD src0_sel:WORD_1 src1_sel:DWORD
	v_pk_fma_f16 v158, v59, v58, v158
	v_pk_fma_f16 v159, v59, v61, v159
	v_pk_fma_f16 v160, v59, v169, v160
	v_pk_fma_f16 v161, v59, v62, v161
	v_pk_fma_f16 v162, v59, v170, v162
	v_pk_fma_f16 v163, v59, v63, v163
	v_pk_fma_f16 v164, v59, v171, v164
	v_pk_fma_f16 v57, v59, v64, v57
	v_pk_fma_f16 v58, v60, v58, v165
	v_pk_fma_f16 v53, v60, v61, v53
	v_pk_fma_f16 v59, v60, v169, v166
	v_pk_fma_f16 v54, v60, v62, v54
	v_pk_fma_f16 v61, v60, v170, v167
	v_pk_fma_f16 v55, v60, v63, v55
	v_pk_fma_f16 v62, v60, v171, v168
	v_pk_fma_f16 v56, v60, v64, v56
	v_mul_u32_u24_sdwa v60, v69, v49 dst_sel:DWORD dst_unused:UNUSED_PAD src0_sel:WORD_0 src1_sel:DWORD
	v_mul_u32_u24_sdwa v63, v69, v49 dst_sel:DWORD dst_unused:UNUSED_PAD src0_sel:WORD_1 src1_sel:DWORD
	v_mul_u32_u24_sdwa v64, v70, v49 dst_sel:DWORD dst_unused:UNUSED_PAD src0_sel:WORD_0 src1_sel:DWORD
	v_mul_u32_u24_sdwa v69, v70, v49 dst_sel:DWORD dst_unused:UNUSED_PAD src0_sel:WORD_1 src1_sel:DWORD
	v_mul_u32_u24_sdwa v70, v71, v49 dst_sel:DWORD dst_unused:UNUSED_PAD src0_sel:WORD_0 src1_sel:DWORD
	v_mul_u32_u24_sdwa v71, v71, v49 dst_sel:DWORD dst_unused:UNUSED_PAD src0_sel:WORD_1 src1_sel:DWORD
	v_mul_u32_u24_sdwa v165, v72, v49 dst_sel:DWORD dst_unused:UNUSED_PAD src0_sel:WORD_0 src1_sel:DWORD
	v_mul_u32_u24_sdwa v72, v72, v49 dst_sel:DWORD dst_unused:UNUSED_PAD src0_sel:WORD_1 src1_sel:DWORD
	;; [unrolled: 24-line block ×4, first 2 shown]
	v_pk_fma_f16 v70, v77, v62, v72
	v_pk_fma_f16 v71, v77, v63, v73
	;; [unrolled: 1-line block ×13, first 2 shown]
	v_mul_u32_u24_sdwa v63, v98, v49 dst_sel:DWORD dst_unused:UNUSED_PAD src0_sel:WORD_1 src1_sel:DWORD
	v_mul_u32_u24_sdwa v65, v99, v49 dst_sel:DWORD dst_unused:UNUSED_PAD src0_sel:WORD_1 src1_sel:DWORD
	;; [unrolled: 1-line block ×3, first 2 shown]
	v_mul_u32_u24_sdwa v68, v101, v49 dst_sel:DWORD dst_unused:UNUSED_PAD src0_sel:WORD_0 src1_sel:DWORD
	v_mul_u32_u24_sdwa v69, v101, v49 dst_sel:DWORD dst_unused:UNUSED_PAD src0_sel:WORD_1 src1_sel:DWORD
	v_pk_fma_f16 v58, v78, v62, v58
	v_pk_fma_f16 v59, v78, v64, v59
	v_pk_fma_f16 v60, v78, v66, v60
	v_mul_u32_u24_sdwa v62, v98, v49 dst_sel:DWORD dst_unused:UNUSED_PAD src0_sel:WORD_0 src1_sel:DWORD
	v_mul_u32_u24_sdwa v64, v99, v49 dst_sel:DWORD dst_unused:UNUSED_PAD src0_sel:WORD_0 src1_sel:DWORD
	v_mul_u32_u24_sdwa v66, v100, v49 dst_sel:DWORD dst_unused:UNUSED_PAD src0_sel:WORD_0 src1_sel:DWORD
	v_pk_fma_f16 v71, v79, v63, v71
	v_pk_fma_f16 v73, v79, v65, v73
	v_pk_fma_f16 v75, v79, v67, v75
	v_pk_fma_f16 v76, v79, v68, v76
	v_pk_fma_f16 v57, v79, v69, v57
	v_pk_fma_f16 v53, v80, v63, v53
	v_pk_fma_f16 v54, v80, v65, v54
	v_pk_fma_f16 v55, v80, v67, v55
	v_pk_fma_f16 v61, v80, v68, v61
	v_pk_fma_f16 v56, v80, v69, v56
	v_mul_u32_u24_sdwa v63, v106, v49 dst_sel:DWORD dst_unused:UNUSED_PAD src0_sel:WORD_1 src1_sel:DWORD
	v_mul_u32_u24_sdwa v65, v107, v49 dst_sel:DWORD dst_unused:UNUSED_PAD src0_sel:WORD_1 src1_sel:DWORD
	v_mul_u32_u24_sdwa v67, v108, v49 dst_sel:DWORD dst_unused:UNUSED_PAD src0_sel:WORD_1 src1_sel:DWORD
	v_mul_u32_u24_sdwa v68, v109, v49 dst_sel:DWORD dst_unused:UNUSED_PAD src0_sel:WORD_0 src1_sel:DWORD
	v_mul_u32_u24_sdwa v69, v109, v49 dst_sel:DWORD dst_unused:UNUSED_PAD src0_sel:WORD_1 src1_sel:DWORD
	v_pk_fma_f16 v70, v79, v62, v70
	v_pk_fma_f16 v72, v79, v64, v72
	v_pk_fma_f16 v74, v79, v66, v74
	v_pk_fma_f16 v58, v80, v62, v58
	v_pk_fma_f16 v59, v80, v64, v59
	v_pk_fma_f16 v60, v80, v66, v60
	v_mul_u32_u24_sdwa v62, v106, v49 dst_sel:DWORD dst_unused:UNUSED_PAD src0_sel:WORD_0 src1_sel:DWORD
	v_mul_u32_u24_sdwa v64, v107, v49 dst_sel:DWORD dst_unused:UNUSED_PAD src0_sel:WORD_0 src1_sel:DWORD
	v_mul_u32_u24_sdwa v66, v108, v49 dst_sel:DWORD dst_unused:UNUSED_PAD src0_sel:WORD_0 src1_sel:DWORD
	v_pk_fma_f16 v71, v102, v63, v71
	v_pk_fma_f16 v73, v102, v65, v73
	v_pk_fma_f16 v75, v102, v67, v75
	v_pk_fma_f16 v76, v102, v68, v76
	v_pk_fma_f16 v57, v102, v69, v57
	v_pk_fma_f16 v53, v103, v63, v53
	v_pk_fma_f16 v54, v103, v65, v54
	v_pk_fma_f16 v55, v103, v67, v55
	v_pk_fma_f16 v61, v103, v68, v61
	v_pk_fma_f16 v56, v103, v69, v56
	v_mul_u32_u24_sdwa v63, v110, v49 dst_sel:DWORD dst_unused:UNUSED_PAD src0_sel:WORD_1 src1_sel:DWORD
	v_mul_u32_u24_sdwa v65, v111, v49 dst_sel:DWORD dst_unused:UNUSED_PAD src0_sel:WORD_1 src1_sel:DWORD
	v_mul_u32_u24_sdwa v67, v112, v49 dst_sel:DWORD dst_unused:UNUSED_PAD src0_sel:WORD_1 src1_sel:DWORD
	v_mul_u32_u24_sdwa v68, v113, v49 dst_sel:DWORD dst_unused:UNUSED_PAD src0_sel:WORD_0 src1_sel:DWORD
	v_mul_u32_u24_sdwa v69, v113, v49 dst_sel:DWORD dst_unused:UNUSED_PAD src0_sel:WORD_1 src1_sel:DWORD
	v_pk_fma_f16 v70, v102, v62, v70
	v_pk_fma_f16 v72, v102, v64, v72
	v_pk_fma_f16 v74, v102, v66, v74
	;; [unrolled: 24-line block ×7, first 2 shown]
	v_pk_fma_f16 v58, v129, v62, v58
	v_pk_fma_f16 v59, v129, v64, v59
	;; [unrolled: 1-line block ×3, first 2 shown]
	v_mul_u32_u24_sdwa v62, v142, v49 dst_sel:DWORD dst_unused:UNUSED_PAD src0_sel:WORD_0 src1_sel:DWORD
	v_mul_u32_u24_sdwa v64, v143, v49 dst_sel:DWORD dst_unused:UNUSED_PAD src0_sel:WORD_0 src1_sel:DWORD
	;; [unrolled: 1-line block ×3, first 2 shown]
	v_pk_fma_f16 v71, v138, v63, v71
	v_pk_fma_f16 v73, v138, v65, v73
	;; [unrolled: 1-line block ×10, first 2 shown]
	v_mul_u32_u24_sdwa v96, v149, v49 dst_sel:DWORD dst_unused:UNUSED_PAD src0_sel:WORD_1 src1_sel:DWORD
	s_waitcnt lgkmcnt(0)
	s_barrier
	buffer_gl0_inv
	ds_read_b128 v[53:56], v42 offset:512
	v_pk_fma_f16 v70, v138, v62, v70
	v_pk_fma_f16 v72, v138, v64, v72
	;; [unrolled: 1-line block ×7, first 2 shown]
	ds_read2_b64 v[57:60], v45 offset1:32
	v_mul_u32_u24_sdwa v69, v146, v49 dst_sel:DWORD dst_unused:UNUSED_PAD src0_sel:WORD_0 src1_sel:DWORD
	v_mul_u32_u24_sdwa v77, v146, v49 dst_sel:DWORD dst_unused:UNUSED_PAD src0_sel:WORD_1 src1_sel:DWORD
	v_mul_u32_u24_sdwa v78, v147, v49 dst_sel:DWORD dst_unused:UNUSED_PAD src0_sel:WORD_0 src1_sel:DWORD
	v_mul_u32_u24_sdwa v79, v147, v49 dst_sel:DWORD dst_unused:UNUSED_PAD src0_sel:WORD_1 src1_sel:DWORD
	;; [unrolled: 2-line block ×3, first 2 shown]
	v_mul_u32_u24_sdwa v95, v149, v49 dst_sel:DWORD dst_unused:UNUSED_PAD src0_sel:WORD_0 src1_sel:DWORD
	v_pk_fma_f16 v97, v140, v69, v70
	v_pk_fma_f16 v98, v140, v77, v71
	;; [unrolled: 1-line block ×15, first 2 shown]
	ds_read_b128 v[61:64], v42 offset:528
	ds_read_b128 v[65:68], v42 offset:544
	;; [unrolled: 1-line block ×3, first 2 shown]
	s_waitcnt lgkmcnt(4)
	v_mul_u32_u24_sdwa v102, v53, v49 dst_sel:DWORD dst_unused:UNUSED_PAD src0_sel:WORD_0 src1_sel:DWORD
	v_mul_u32_u24_sdwa v53, v53, v49 dst_sel:DWORD dst_unused:UNUSED_PAD src0_sel:WORD_1 src1_sel:DWORD
	v_mul_u32_u24_sdwa v103, v54, v49 dst_sel:DWORD dst_unused:UNUSED_PAD src0_sel:WORD_0 src1_sel:DWORD
	v_mul_u32_u24_sdwa v54, v54, v49 dst_sel:DWORD dst_unused:UNUSED_PAD src0_sel:WORD_1 src1_sel:DWORD
	;; [unrolled: 2-line block ×4, first 2 shown]
	s_waitcnt lgkmcnt(3)
	v_pk_fma_f16 v97, v57, v102, v97
	v_pk_fma_f16 v98, v57, v53, v98
	;; [unrolled: 1-line block ×16, first 2 shown]
	ds_read2_b64 v[53:56], v45 offset0:64 offset1:96
	s_waitcnt lgkmcnt(3)
	v_mul_u32_u24_sdwa v96, v61, v49 dst_sel:DWORD dst_unused:UNUSED_PAD src0_sel:WORD_0 src1_sel:DWORD
	v_mul_u32_u24_sdwa v61, v61, v49 dst_sel:DWORD dst_unused:UNUSED_PAD src0_sel:WORD_1 src1_sel:DWORD
	v_mul_u32_u24_sdwa v101, v62, v49 dst_sel:DWORD dst_unused:UNUSED_PAD src0_sel:WORD_0 src1_sel:DWORD
	v_mul_u32_u24_sdwa v62, v62, v49 dst_sel:DWORD dst_unused:UNUSED_PAD src0_sel:WORD_1 src1_sel:DWORD
	;; [unrolled: 2-line block ×4, first 2 shown]
	v_pk_fma_f16 v97, v59, v96, v97
	v_pk_fma_f16 v98, v59, v61, v98
	;; [unrolled: 1-line block ×16, first 2 shown]
	s_waitcnt lgkmcnt(2)
	v_mul_u32_u24_sdwa v60, v65, v49 dst_sel:DWORD dst_unused:UNUSED_PAD src0_sel:WORD_0 src1_sel:DWORD
	v_mul_u32_u24_sdwa v64, v65, v49 dst_sel:DWORD dst_unused:UNUSED_PAD src0_sel:WORD_1 src1_sel:DWORD
	v_mul_u32_u24_sdwa v65, v66, v49 dst_sel:DWORD dst_unused:UNUSED_PAD src0_sel:WORD_0 src1_sel:DWORD
	v_mul_u32_u24_sdwa v66, v66, v49 dst_sel:DWORD dst_unused:UNUSED_PAD src0_sel:WORD_1 src1_sel:DWORD
	;; [unrolled: 2-line block ×4, first 2 shown]
	s_waitcnt lgkmcnt(0)
	v_pk_fma_f16 v95, v53, v60, v97
	v_pk_fma_f16 v96, v53, v64, v98
	;; [unrolled: 1-line block ×16, first 2 shown]
	v_mul_u32_u24_sdwa v68, v69, v49 dst_sel:DWORD dst_unused:UNUSED_PAD src0_sel:WORD_0 src1_sel:DWORD
	v_mul_u32_u24_sdwa v69, v69, v49 dst_sel:DWORD dst_unused:UNUSED_PAD src0_sel:WORD_1 src1_sel:DWORD
	v_mul_u32_u24_sdwa v79, v70, v49 dst_sel:DWORD dst_unused:UNUSED_PAD src0_sel:WORD_0 src1_sel:DWORD
	v_mul_u32_u24_sdwa v70, v70, v49 dst_sel:DWORD dst_unused:UNUSED_PAD src0_sel:WORD_1 src1_sel:DWORD
	;; [unrolled: 2-line block ×3, first 2 shown]
	v_mul_u32_u24_sdwa v94, v72, v49 dst_sel:DWORD dst_unused:UNUSED_PAD src0_sel:WORD_0 src1_sel:DWORD
	ds_read_b128 v[57:60], v42 offset:576
	v_mul_u32_u24_sdwa v72, v72, v49 dst_sel:DWORD dst_unused:UNUSED_PAD src0_sel:WORD_1 src1_sel:DWORD
	v_pk_fma_f16 v95, v55, v68, v95
	v_pk_fma_f16 v96, v55, v69, v96
	v_pk_fma_f16 v97, v55, v79, v97
	v_pk_fma_f16 v73, v55, v70, v73
	v_pk_fma_f16 v74, v55, v80, v74
	v_pk_fma_f16 v75, v55, v71, v75
	ds_read2_b64 v[61:64], v45 offset0:128 offset1:160
	v_pk_fma_f16 v76, v55, v94, v76
	v_pk_fma_f16 v100, v55, v72, v53
	;; [unrolled: 1-line block ×10, first 2 shown]
	ds_read_b128 v[53:56], v42 offset:592
	s_waitcnt lgkmcnt(2)
	v_mul_u32_u24_sdwa v77, v57, v49 dst_sel:DWORD dst_unused:UNUSED_PAD src0_sel:WORD_0 src1_sel:DWORD
	v_mul_u32_u24_sdwa v57, v57, v49 dst_sel:DWORD dst_unused:UNUSED_PAD src0_sel:WORD_1 src1_sel:DWORD
	v_mul_u32_u24_sdwa v78, v58, v49 dst_sel:DWORD dst_unused:UNUSED_PAD src0_sel:WORD_0 src1_sel:DWORD
	v_mul_u32_u24_sdwa v58, v58, v49 dst_sel:DWORD dst_unused:UNUSED_PAD src0_sel:WORD_1 src1_sel:DWORD
	;; [unrolled: 2-line block ×4, first 2 shown]
	s_waitcnt lgkmcnt(1)
	v_pk_fma_f16 v94, v61, v77, v95
	v_pk_fma_f16 v95, v61, v57, v96
	;; [unrolled: 1-line block ×16, first 2 shown]
	s_waitcnt lgkmcnt(0)
	v_mul_u32_u24_sdwa v72, v53, v49 dst_sel:DWORD dst_unused:UNUSED_PAD src0_sel:WORD_0 src1_sel:DWORD
	v_mul_u32_u24_sdwa v77, v53, v49 dst_sel:DWORD dst_unused:UNUSED_PAD src0_sel:WORD_1 src1_sel:DWORD
	v_mul_u32_u24_sdwa v78, v54, v49 dst_sel:DWORD dst_unused:UNUSED_PAD src0_sel:WORD_0 src1_sel:DWORD
	v_mul_u32_u24_sdwa v79, v54, v49 dst_sel:DWORD dst_unused:UNUSED_PAD src0_sel:WORD_1 src1_sel:DWORD
	;; [unrolled: 2-line block ×3, first 2 shown]
	v_mul_u32_u24_sdwa v98, v56, v49 dst_sel:DWORD dst_unused:UNUSED_PAD src0_sel:WORD_0 src1_sel:DWORD
	ds_read_b128 v[57:60], v42 offset:608
	v_mul_u32_u24_sdwa v99, v56, v49 dst_sel:DWORD dst_unused:UNUSED_PAD src0_sel:WORD_1 src1_sel:DWORD
	v_pk_fma_f16 v94, v63, v72, v94
	v_pk_fma_f16 v95, v63, v77, v95
	;; [unrolled: 1-line block ×6, first 2 shown]
	ds_read2_b64 v[53:56], v45 offset0:192 offset1:224
	v_pk_fma_f16 v76, v63, v98, v76
	v_pk_fma_f16 v100, v63, v99, v61
	;; [unrolled: 1-line block ×10, first 2 shown]
	ds_read_b128 v[61:64], v42 offset:624
	s_waitcnt lgkmcnt(2)
	v_mul_u32_u24_sdwa v77, v57, v49 dst_sel:DWORD dst_unused:UNUSED_PAD src0_sel:WORD_0 src1_sel:DWORD
	v_mul_u32_u24_sdwa v57, v57, v49 dst_sel:DWORD dst_unused:UNUSED_PAD src0_sel:WORD_1 src1_sel:DWORD
	v_mul_u32_u24_sdwa v78, v58, v49 dst_sel:DWORD dst_unused:UNUSED_PAD src0_sel:WORD_0 src1_sel:DWORD
	v_mul_u32_u24_sdwa v58, v58, v49 dst_sel:DWORD dst_unused:UNUSED_PAD src0_sel:WORD_1 src1_sel:DWORD
	;; [unrolled: 2-line block ×4, first 2 shown]
	s_waitcnt lgkmcnt(1)
	v_pk_fma_f16 v94, v53, v77, v94
	v_pk_fma_f16 v95, v53, v57, v95
	v_pk_fma_f16 v96, v53, v78, v96
	v_pk_fma_f16 v73, v53, v58, v73
	v_pk_fma_f16 v74, v53, v79, v74
	v_pk_fma_f16 v75, v53, v59, v75
	v_pk_fma_f16 v76, v53, v80, v76
	v_pk_fma_f16 v53, v53, v60, v100
	v_pk_fma_f16 v68, v54, v77, v68
	v_pk_fma_f16 v69, v54, v57, v69
	v_pk_fma_f16 v65, v54, v78, v65
	v_pk_fma_f16 v66, v54, v58, v66
	v_pk_fma_f16 v70, v54, v79, v70
	v_pk_fma_f16 v67, v54, v59, v67
	v_pk_fma_f16 v71, v54, v80, v71
	v_pk_fma_f16 v54, v54, v60, v72
	s_waitcnt lgkmcnt(0)
	v_mul_u32_u24_sdwa v72, v61, v49 dst_sel:DWORD dst_unused:UNUSED_PAD src0_sel:WORD_0 src1_sel:DWORD
	v_mul_u32_u24_sdwa v77, v61, v49 dst_sel:DWORD dst_unused:UNUSED_PAD src0_sel:WORD_1 src1_sel:DWORD
	v_mul_u32_u24_sdwa v78, v62, v49 dst_sel:DWORD dst_unused:UNUSED_PAD src0_sel:WORD_0 src1_sel:DWORD
	v_mul_u32_u24_sdwa v79, v62, v49 dst_sel:DWORD dst_unused:UNUSED_PAD src0_sel:WORD_1 src1_sel:DWORD
	;; [unrolled: 2-line block ×3, first 2 shown]
	v_mul_u32_u24_sdwa v98, v64, v49 dst_sel:DWORD dst_unused:UNUSED_PAD src0_sel:WORD_0 src1_sel:DWORD
	ds_read_b128 v[57:60], v42 offset:640
	v_mul_u32_u24_sdwa v99, v64, v49 dst_sel:DWORD dst_unused:UNUSED_PAD src0_sel:WORD_1 src1_sel:DWORD
	v_pk_fma_f16 v94, v55, v72, v94
	v_pk_fma_f16 v95, v55, v77, v95
	;; [unrolled: 1-line block ×6, first 2 shown]
	ds_read2_b64 v[61:64], v51 offset1:32
	v_pk_fma_f16 v76, v55, v98, v76
	v_pk_fma_f16 v100, v55, v99, v53
	v_pk_fma_f16 v68, v56, v72, v68
	v_pk_fma_f16 v69, v56, v77, v69
	v_pk_fma_f16 v65, v56, v78, v65
	v_pk_fma_f16 v66, v56, v79, v66
	v_pk_fma_f16 v70, v56, v80, v70
	v_pk_fma_f16 v67, v56, v97, v67
	v_pk_fma_f16 v71, v56, v98, v71
	v_pk_fma_f16 v72, v56, v99, v54
	ds_read_b128 v[53:56], v42 offset:656
	s_waitcnt lgkmcnt(2)
	v_mul_u32_u24_sdwa v77, v57, v49 dst_sel:DWORD dst_unused:UNUSED_PAD src0_sel:WORD_0 src1_sel:DWORD
	v_mul_u32_u24_sdwa v57, v57, v49 dst_sel:DWORD dst_unused:UNUSED_PAD src0_sel:WORD_1 src1_sel:DWORD
	v_mul_u32_u24_sdwa v78, v58, v49 dst_sel:DWORD dst_unused:UNUSED_PAD src0_sel:WORD_0 src1_sel:DWORD
	v_mul_u32_u24_sdwa v58, v58, v49 dst_sel:DWORD dst_unused:UNUSED_PAD src0_sel:WORD_1 src1_sel:DWORD
	v_mul_u32_u24_sdwa v79, v59, v49 dst_sel:DWORD dst_unused:UNUSED_PAD src0_sel:WORD_0 src1_sel:DWORD
	v_mul_u32_u24_sdwa v59, v59, v49 dst_sel:DWORD dst_unused:UNUSED_PAD src0_sel:WORD_1 src1_sel:DWORD
	v_mul_u32_u24_sdwa v80, v60, v49 dst_sel:DWORD dst_unused:UNUSED_PAD src0_sel:WORD_0 src1_sel:DWORD
	v_mul_u32_u24_sdwa v60, v60, v49 dst_sel:DWORD dst_unused:UNUSED_PAD src0_sel:WORD_1 src1_sel:DWORD
	s_waitcnt lgkmcnt(1)
	v_pk_fma_f16 v94, v61, v77, v94
	v_pk_fma_f16 v95, v61, v57, v95
	v_pk_fma_f16 v96, v61, v78, v96
	v_pk_fma_f16 v73, v61, v58, v73
	v_pk_fma_f16 v74, v61, v79, v74
	v_pk_fma_f16 v75, v61, v59, v75
	v_pk_fma_f16 v76, v61, v80, v76
	v_pk_fma_f16 v61, v61, v60, v100
	v_pk_fma_f16 v68, v62, v77, v68
	v_pk_fma_f16 v69, v62, v57, v69
	v_pk_fma_f16 v65, v62, v78, v65
	v_pk_fma_f16 v66, v62, v58, v66
	v_pk_fma_f16 v70, v62, v79, v70
	v_pk_fma_f16 v67, v62, v59, v67
	v_pk_fma_f16 v71, v62, v80, v71
	v_pk_fma_f16 v62, v62, v60, v72
	s_waitcnt lgkmcnt(0)
	v_mul_u32_u24_sdwa v72, v53, v49 dst_sel:DWORD dst_unused:UNUSED_PAD src0_sel:WORD_0 src1_sel:DWORD
	v_mul_u32_u24_sdwa v77, v53, v49 dst_sel:DWORD dst_unused:UNUSED_PAD src0_sel:WORD_1 src1_sel:DWORD
	v_mul_u32_u24_sdwa v78, v54, v49 dst_sel:DWORD dst_unused:UNUSED_PAD src0_sel:WORD_0 src1_sel:DWORD
	v_mul_u32_u24_sdwa v79, v54, v49 dst_sel:DWORD dst_unused:UNUSED_PAD src0_sel:WORD_1 src1_sel:DWORD
	v_mul_u32_u24_sdwa v80, v55, v49 dst_sel:DWORD dst_unused:UNUSED_PAD src0_sel:WORD_0 src1_sel:DWORD
	v_mul_u32_u24_sdwa v97, v55, v49 dst_sel:DWORD dst_unused:UNUSED_PAD src0_sel:WORD_1 src1_sel:DWORD
	v_mul_u32_u24_sdwa v98, v56, v49 dst_sel:DWORD dst_unused:UNUSED_PAD src0_sel:WORD_0 src1_sel:DWORD
	ds_read_b128 v[57:60], v42 offset:672
	v_mul_u32_u24_sdwa v99, v56, v49 dst_sel:DWORD dst_unused:UNUSED_PAD src0_sel:WORD_1 src1_sel:DWORD
	v_pk_fma_f16 v94, v63, v72, v94
	v_pk_fma_f16 v95, v63, v77, v95
	v_pk_fma_f16 v96, v63, v78, v96
	v_pk_fma_f16 v73, v63, v79, v73
	v_pk_fma_f16 v74, v63, v80, v74
	v_pk_fma_f16 v75, v63, v97, v75
	ds_read2_b64 v[53:56], v51 offset0:64 offset1:96
	v_pk_fma_f16 v76, v63, v98, v76
	v_pk_fma_f16 v100, v63, v99, v61
	v_pk_fma_f16 v68, v64, v72, v68
	v_pk_fma_f16 v69, v64, v77, v69
	v_pk_fma_f16 v65, v64, v78, v65
	v_pk_fma_f16 v66, v64, v79, v66
	v_pk_fma_f16 v70, v64, v80, v70
	v_pk_fma_f16 v67, v64, v97, v67
	v_pk_fma_f16 v71, v64, v98, v71
	v_pk_fma_f16 v72, v64, v99, v62
	ds_read_b128 v[61:64], v42 offset:688
	s_waitcnt lgkmcnt(2)
	v_mul_u32_u24_sdwa v77, v57, v49 dst_sel:DWORD dst_unused:UNUSED_PAD src0_sel:WORD_0 src1_sel:DWORD
	v_mul_u32_u24_sdwa v57, v57, v49 dst_sel:DWORD dst_unused:UNUSED_PAD src0_sel:WORD_1 src1_sel:DWORD
	v_mul_u32_u24_sdwa v78, v58, v49 dst_sel:DWORD dst_unused:UNUSED_PAD src0_sel:WORD_0 src1_sel:DWORD
	v_mul_u32_u24_sdwa v58, v58, v49 dst_sel:DWORD dst_unused:UNUSED_PAD src0_sel:WORD_1 src1_sel:DWORD
	v_mul_u32_u24_sdwa v79, v59, v49 dst_sel:DWORD dst_unused:UNUSED_PAD src0_sel:WORD_0 src1_sel:DWORD
	v_mul_u32_u24_sdwa v59, v59, v49 dst_sel:DWORD dst_unused:UNUSED_PAD src0_sel:WORD_1 src1_sel:DWORD
	v_mul_u32_u24_sdwa v80, v60, v49 dst_sel:DWORD dst_unused:UNUSED_PAD src0_sel:WORD_0 src1_sel:DWORD
	v_mul_u32_u24_sdwa v60, v60, v49 dst_sel:DWORD dst_unused:UNUSED_PAD src0_sel:WORD_1 src1_sel:DWORD
	s_waitcnt lgkmcnt(1)
	v_pk_fma_f16 v94, v53, v77, v94
	v_pk_fma_f16 v95, v53, v57, v95
	v_pk_fma_f16 v96, v53, v78, v96
	v_pk_fma_f16 v73, v53, v58, v73
	v_pk_fma_f16 v74, v53, v79, v74
	v_pk_fma_f16 v75, v53, v59, v75
	v_pk_fma_f16 v76, v53, v80, v76
	v_pk_fma_f16 v53, v53, v60, v100
	v_pk_fma_f16 v68, v54, v77, v68
	v_pk_fma_f16 v69, v54, v57, v69
	v_pk_fma_f16 v65, v54, v78, v65
	v_pk_fma_f16 v66, v54, v58, v66
	v_pk_fma_f16 v70, v54, v79, v70
	v_pk_fma_f16 v67, v54, v59, v67
	v_pk_fma_f16 v71, v54, v80, v71
	v_pk_fma_f16 v54, v54, v60, v72
	s_waitcnt lgkmcnt(0)
	v_mul_u32_u24_sdwa v72, v61, v49 dst_sel:DWORD dst_unused:UNUSED_PAD src0_sel:WORD_0 src1_sel:DWORD
	v_mul_u32_u24_sdwa v77, v61, v49 dst_sel:DWORD dst_unused:UNUSED_PAD src0_sel:WORD_1 src1_sel:DWORD
	v_mul_u32_u24_sdwa v78, v62, v49 dst_sel:DWORD dst_unused:UNUSED_PAD src0_sel:WORD_0 src1_sel:DWORD
	v_mul_u32_u24_sdwa v79, v62, v49 dst_sel:DWORD dst_unused:UNUSED_PAD src0_sel:WORD_1 src1_sel:DWORD
	v_mul_u32_u24_sdwa v80, v63, v49 dst_sel:DWORD dst_unused:UNUSED_PAD src0_sel:WORD_0 src1_sel:DWORD
	v_mul_u32_u24_sdwa v97, v63, v49 dst_sel:DWORD dst_unused:UNUSED_PAD src0_sel:WORD_1 src1_sel:DWORD
	v_mul_u32_u24_sdwa v98, v64, v49 dst_sel:DWORD dst_unused:UNUSED_PAD src0_sel:WORD_0 src1_sel:DWORD
	ds_read_b128 v[57:60], v42 offset:704
	v_mul_u32_u24_sdwa v99, v64, v49 dst_sel:DWORD dst_unused:UNUSED_PAD src0_sel:WORD_1 src1_sel:DWORD
	v_pk_fma_f16 v94, v55, v72, v94
	v_pk_fma_f16 v95, v55, v77, v95
	v_pk_fma_f16 v96, v55, v78, v96
	v_pk_fma_f16 v73, v55, v79, v73
	v_pk_fma_f16 v74, v55, v80, v74
	v_pk_fma_f16 v75, v55, v97, v75
	ds_read2_b64 v[61:64], v51 offset0:128 offset1:160
	;; [unrolled: 54-line block ×3, first 2 shown]
	v_pk_fma_f16 v51, v63, v98, v76
	v_pk_fma_f16 v76, v63, v99, v61
	;; [unrolled: 1-line block ×10, first 2 shown]
	ds_read_b128 v[61:64], v42 offset:752
	s_waitcnt lgkmcnt(2)
	v_mul_u32_u24_sdwa v77, v57, v49 dst_sel:DWORD dst_unused:UNUSED_PAD src0_sel:WORD_0 src1_sel:DWORD
	v_mul_u32_u24_sdwa v57, v57, v49 dst_sel:DWORD dst_unused:UNUSED_PAD src0_sel:WORD_1 src1_sel:DWORD
	v_mul_u32_u24_sdwa v78, v58, v49 dst_sel:DWORD dst_unused:UNUSED_PAD src0_sel:WORD_0 src1_sel:DWORD
	v_mul_u32_u24_sdwa v58, v58, v49 dst_sel:DWORD dst_unused:UNUSED_PAD src0_sel:WORD_1 src1_sel:DWORD
	;; [unrolled: 2-line block ×4, first 2 shown]
	s_waitcnt lgkmcnt(1)
	v_pk_fma_f16 v94, v53, v77, v94
	v_pk_fma_f16 v95, v53, v57, v95
	;; [unrolled: 1-line block ×16, first 2 shown]
	s_waitcnt lgkmcnt(0)
	v_mul_u32_u24_sdwa v72, v61, v49 dst_sel:DWORD dst_unused:UNUSED_PAD src0_sel:WORD_0 src1_sel:DWORD
	v_mul_u32_u24_sdwa v76, v61, v49 dst_sel:DWORD dst_unused:UNUSED_PAD src0_sel:WORD_1 src1_sel:DWORD
	v_mul_u32_u24_sdwa v77, v62, v49 dst_sel:DWORD dst_unused:UNUSED_PAD src0_sel:WORD_0 src1_sel:DWORD
	v_mul_u32_u24_sdwa v78, v62, v49 dst_sel:DWORD dst_unused:UNUSED_PAD src0_sel:WORD_1 src1_sel:DWORD
	;; [unrolled: 2-line block ×3, first 2 shown]
	v_mul_u32_u24_sdwa v97, v64, v49 dst_sel:DWORD dst_unused:UNUSED_PAD src0_sel:WORD_0 src1_sel:DWORD
	ds_read_b128 v[57:60], v42 offset:768
	v_mul_u32_u24_sdwa v98, v64, v49 dst_sel:DWORD dst_unused:UNUSED_PAD src0_sel:WORD_1 src1_sel:DWORD
	v_pk_fma_f16 v94, v55, v72, v94
	v_pk_fma_f16 v95, v55, v76, v95
	;; [unrolled: 1-line block ×6, first 2 shown]
	ds_read2_b64 v[61:64], v52 offset1:32
	v_pk_fma_f16 v51, v55, v97, v51
	v_pk_fma_f16 v99, v55, v98, v53
	v_pk_fma_f16 v68, v56, v72, v68
	v_pk_fma_f16 v69, v56, v76, v69
	v_pk_fma_f16 v65, v56, v77, v65
	v_pk_fma_f16 v66, v56, v78, v66
	v_pk_fma_f16 v70, v56, v79, v70
	v_pk_fma_f16 v67, v56, v80, v67
	v_pk_fma_f16 v71, v56, v97, v71
	v_pk_fma_f16 v72, v56, v98, v54
	ds_read_b128 v[53:56], v42 offset:784
	s_waitcnt lgkmcnt(2)
	v_mul_u32_u24_sdwa v76, v57, v49 dst_sel:DWORD dst_unused:UNUSED_PAD src0_sel:WORD_0 src1_sel:DWORD
	v_mul_u32_u24_sdwa v57, v57, v49 dst_sel:DWORD dst_unused:UNUSED_PAD src0_sel:WORD_1 src1_sel:DWORD
	v_mul_u32_u24_sdwa v77, v58, v49 dst_sel:DWORD dst_unused:UNUSED_PAD src0_sel:WORD_0 src1_sel:DWORD
	v_mul_u32_u24_sdwa v58, v58, v49 dst_sel:DWORD dst_unused:UNUSED_PAD src0_sel:WORD_1 src1_sel:DWORD
	v_mul_u32_u24_sdwa v78, v59, v49 dst_sel:DWORD dst_unused:UNUSED_PAD src0_sel:WORD_0 src1_sel:DWORD
	v_mul_u32_u24_sdwa v59, v59, v49 dst_sel:DWORD dst_unused:UNUSED_PAD src0_sel:WORD_1 src1_sel:DWORD
	v_mul_u32_u24_sdwa v79, v60, v49 dst_sel:DWORD dst_unused:UNUSED_PAD src0_sel:WORD_0 src1_sel:DWORD
	v_mul_u32_u24_sdwa v60, v60, v49 dst_sel:DWORD dst_unused:UNUSED_PAD src0_sel:WORD_1 src1_sel:DWORD
	s_waitcnt lgkmcnt(1)
	v_pk_fma_f16 v80, v61, v76, v94
	v_pk_fma_f16 v94, v61, v57, v95
	v_pk_fma_f16 v95, v61, v77, v96
	v_pk_fma_f16 v73, v61, v58, v73
	v_pk_fma_f16 v74, v61, v78, v74
	v_pk_fma_f16 v75, v61, v59, v75
	v_pk_fma_f16 v51, v61, v79, v51
	v_pk_fma_f16 v61, v61, v60, v99
	v_pk_fma_f16 v68, v62, v76, v68
	v_pk_fma_f16 v69, v62, v57, v69
	v_pk_fma_f16 v65, v62, v77, v65
	v_pk_fma_f16 v66, v62, v58, v66
	v_pk_fma_f16 v70, v62, v78, v70
	v_pk_fma_f16 v67, v62, v59, v67
	v_pk_fma_f16 v71, v62, v79, v71
	v_pk_fma_f16 v62, v62, v60, v72
	s_waitcnt lgkmcnt(0)
	v_mul_u32_u24_sdwa v72, v53, v49 dst_sel:DWORD dst_unused:UNUSED_PAD src0_sel:WORD_0 src1_sel:DWORD
	v_mul_u32_u24_sdwa v76, v53, v49 dst_sel:DWORD dst_unused:UNUSED_PAD src0_sel:WORD_1 src1_sel:DWORD
	v_mul_u32_u24_sdwa v77, v54, v49 dst_sel:DWORD dst_unused:UNUSED_PAD src0_sel:WORD_0 src1_sel:DWORD
	v_mul_u32_u24_sdwa v78, v54, v49 dst_sel:DWORD dst_unused:UNUSED_PAD src0_sel:WORD_1 src1_sel:DWORD
	v_mul_u32_u24_sdwa v79, v55, v49 dst_sel:DWORD dst_unused:UNUSED_PAD src0_sel:WORD_0 src1_sel:DWORD
	v_mul_u32_u24_sdwa v96, v55, v49 dst_sel:DWORD dst_unused:UNUSED_PAD src0_sel:WORD_1 src1_sel:DWORD
	v_mul_u32_u24_sdwa v97, v56, v49 dst_sel:DWORD dst_unused:UNUSED_PAD src0_sel:WORD_0 src1_sel:DWORD
	ds_read_b128 v[57:60], v42 offset:800
	v_mul_u32_u24_sdwa v98, v56, v49 dst_sel:DWORD dst_unused:UNUSED_PAD src0_sel:WORD_1 src1_sel:DWORD
	v_pk_fma_f16 v80, v63, v72, v80
	v_pk_fma_f16 v94, v63, v76, v94
	v_pk_fma_f16 v95, v63, v77, v95
	v_pk_fma_f16 v73, v63, v78, v73
	v_pk_fma_f16 v74, v63, v79, v74
	v_pk_fma_f16 v75, v63, v96, v75
	ds_read2_b64 v[53:56], v52 offset0:64 offset1:96
	v_pk_fma_f16 v51, v63, v97, v51
	v_pk_fma_f16 v99, v63, v98, v61
	v_pk_fma_f16 v68, v64, v72, v68
	v_pk_fma_f16 v69, v64, v76, v69
	v_pk_fma_f16 v65, v64, v77, v65
	v_pk_fma_f16 v66, v64, v78, v66
	v_pk_fma_f16 v70, v64, v79, v70
	v_pk_fma_f16 v67, v64, v96, v67
	v_pk_fma_f16 v71, v64, v97, v71
	v_pk_fma_f16 v72, v64, v98, v62
	ds_read_b128 v[61:64], v42 offset:816
	s_waitcnt lgkmcnt(2)
	v_mul_u32_u24_sdwa v76, v57, v49 dst_sel:DWORD dst_unused:UNUSED_PAD src0_sel:WORD_0 src1_sel:DWORD
	v_mul_u32_u24_sdwa v57, v57, v49 dst_sel:DWORD dst_unused:UNUSED_PAD src0_sel:WORD_1 src1_sel:DWORD
	v_mul_u32_u24_sdwa v77, v58, v49 dst_sel:DWORD dst_unused:UNUSED_PAD src0_sel:WORD_0 src1_sel:DWORD
	v_mul_u32_u24_sdwa v58, v58, v49 dst_sel:DWORD dst_unused:UNUSED_PAD src0_sel:WORD_1 src1_sel:DWORD
	v_mul_u32_u24_sdwa v78, v59, v49 dst_sel:DWORD dst_unused:UNUSED_PAD src0_sel:WORD_0 src1_sel:DWORD
	v_mul_u32_u24_sdwa v59, v59, v49 dst_sel:DWORD dst_unused:UNUSED_PAD src0_sel:WORD_1 src1_sel:DWORD
	v_mul_u32_u24_sdwa v79, v60, v49 dst_sel:DWORD dst_unused:UNUSED_PAD src0_sel:WORD_0 src1_sel:DWORD
	v_mul_u32_u24_sdwa v60, v60, v49 dst_sel:DWORD dst_unused:UNUSED_PAD src0_sel:WORD_1 src1_sel:DWORD
	s_waitcnt lgkmcnt(1)
	v_pk_fma_f16 v80, v53, v76, v80
	v_pk_fma_f16 v94, v53, v57, v94
	v_pk_fma_f16 v95, v53, v77, v95
	v_pk_fma_f16 v73, v53, v58, v73
	v_pk_fma_f16 v74, v53, v78, v74
	v_pk_fma_f16 v75, v53, v59, v75
	v_pk_fma_f16 v51, v53, v79, v51
	v_pk_fma_f16 v53, v53, v60, v99
	v_pk_fma_f16 v68, v54, v76, v68
	v_pk_fma_f16 v69, v54, v57, v69
	v_pk_fma_f16 v65, v54, v77, v65
	v_pk_fma_f16 v66, v54, v58, v66
	v_pk_fma_f16 v70, v54, v78, v70
	v_pk_fma_f16 v67, v54, v59, v67
	v_pk_fma_f16 v71, v54, v79, v71
	v_pk_fma_f16 v54, v54, v60, v72
	s_waitcnt lgkmcnt(0)
	v_mul_u32_u24_sdwa v72, v61, v49 dst_sel:DWORD dst_unused:UNUSED_PAD src0_sel:WORD_0 src1_sel:DWORD
	v_mul_u32_u24_sdwa v76, v61, v49 dst_sel:DWORD dst_unused:UNUSED_PAD src0_sel:WORD_1 src1_sel:DWORD
	v_mul_u32_u24_sdwa v77, v62, v49 dst_sel:DWORD dst_unused:UNUSED_PAD src0_sel:WORD_0 src1_sel:DWORD
	v_mul_u32_u24_sdwa v78, v62, v49 dst_sel:DWORD dst_unused:UNUSED_PAD src0_sel:WORD_1 src1_sel:DWORD
	v_mul_u32_u24_sdwa v79, v63, v49 dst_sel:DWORD dst_unused:UNUSED_PAD src0_sel:WORD_0 src1_sel:DWORD
	v_mul_u32_u24_sdwa v96, v63, v49 dst_sel:DWORD dst_unused:UNUSED_PAD src0_sel:WORD_1 src1_sel:DWORD
	v_mul_u32_u24_sdwa v97, v64, v49 dst_sel:DWORD dst_unused:UNUSED_PAD src0_sel:WORD_0 src1_sel:DWORD
	ds_read_b128 v[57:60], v42 offset:832
	v_mul_u32_u24_sdwa v98, v64, v49 dst_sel:DWORD dst_unused:UNUSED_PAD src0_sel:WORD_1 src1_sel:DWORD
	v_pk_fma_f16 v80, v55, v72, v80
	v_pk_fma_f16 v94, v55, v76, v94
	v_pk_fma_f16 v95, v55, v77, v95
	v_pk_fma_f16 v73, v55, v78, v73
	v_pk_fma_f16 v74, v55, v79, v74
	v_pk_fma_f16 v75, v55, v96, v75
	ds_read2_b64 v[61:64], v52 offset0:128 offset1:160
	v_pk_fma_f16 v51, v55, v97, v51
	v_pk_fma_f16 v99, v55, v98, v53
	v_pk_fma_f16 v68, v56, v72, v68
	v_pk_fma_f16 v69, v56, v76, v69
	v_pk_fma_f16 v65, v56, v77, v65
	v_pk_fma_f16 v66, v56, v78, v66
	v_pk_fma_f16 v70, v56, v79, v70
	v_pk_fma_f16 v67, v56, v96, v67
	v_pk_fma_f16 v71, v56, v97, v71
	v_pk_fma_f16 v72, v56, v98, v54
	ds_read_b128 v[53:56], v42 offset:848
	s_waitcnt lgkmcnt(2)
	v_mul_u32_u24_sdwa v76, v57, v49 dst_sel:DWORD dst_unused:UNUSED_PAD src0_sel:WORD_0 src1_sel:DWORD
	v_mul_u32_u24_sdwa v57, v57, v49 dst_sel:DWORD dst_unused:UNUSED_PAD src0_sel:WORD_1 src1_sel:DWORD
	v_mul_u32_u24_sdwa v77, v58, v49 dst_sel:DWORD dst_unused:UNUSED_PAD src0_sel:WORD_0 src1_sel:DWORD
	v_mul_u32_u24_sdwa v58, v58, v49 dst_sel:DWORD dst_unused:UNUSED_PAD src0_sel:WORD_1 src1_sel:DWORD
	v_mul_u32_u24_sdwa v78, v59, v49 dst_sel:DWORD dst_unused:UNUSED_PAD src0_sel:WORD_0 src1_sel:DWORD
	v_mul_u32_u24_sdwa v59, v59, v49 dst_sel:DWORD dst_unused:UNUSED_PAD src0_sel:WORD_1 src1_sel:DWORD
	v_mul_u32_u24_sdwa v79, v60, v49 dst_sel:DWORD dst_unused:UNUSED_PAD src0_sel:WORD_0 src1_sel:DWORD
	v_mul_u32_u24_sdwa v60, v60, v49 dst_sel:DWORD dst_unused:UNUSED_PAD src0_sel:WORD_1 src1_sel:DWORD
	s_waitcnt lgkmcnt(1)
	v_pk_fma_f16 v80, v61, v76, v80
	v_pk_fma_f16 v94, v61, v57, v94
	v_pk_fma_f16 v95, v61, v77, v95
	v_pk_fma_f16 v73, v61, v58, v73
	v_pk_fma_f16 v74, v61, v78, v74
	v_pk_fma_f16 v75, v61, v59, v75
	v_pk_fma_f16 v96, v61, v79, v51
	v_pk_fma_f16 v61, v61, v60, v99
	v_pk_fma_f16 v68, v62, v76, v68
	v_pk_fma_f16 v69, v62, v57, v69
	v_pk_fma_f16 v65, v62, v77, v65
	v_pk_fma_f16 v66, v62, v58, v66
	v_pk_fma_f16 v70, v62, v78, v70
	v_pk_fma_f16 v67, v62, v59, v67
	v_pk_fma_f16 v71, v62, v79, v71
	v_pk_fma_f16 v62, v62, v60, v72
	s_waitcnt lgkmcnt(0)
	v_mul_u32_u24_sdwa v72, v53, v49 dst_sel:DWORD dst_unused:UNUSED_PAD src0_sel:WORD_0 src1_sel:DWORD
	v_mul_u32_u24_sdwa v76, v53, v49 dst_sel:DWORD dst_unused:UNUSED_PAD src0_sel:WORD_1 src1_sel:DWORD
	v_mul_u32_u24_sdwa v77, v54, v49 dst_sel:DWORD dst_unused:UNUSED_PAD src0_sel:WORD_0 src1_sel:DWORD
	v_mul_u32_u24_sdwa v78, v54, v49 dst_sel:DWORD dst_unused:UNUSED_PAD src0_sel:WORD_1 src1_sel:DWORD
	v_mul_u32_u24_sdwa v79, v55, v49 dst_sel:DWORD dst_unused:UNUSED_PAD src0_sel:WORD_0 src1_sel:DWORD
	v_mul_u32_u24_sdwa v55, v55, v49 dst_sel:DWORD dst_unused:UNUSED_PAD src0_sel:WORD_1 src1_sel:DWORD
	v_mul_u32_u24_sdwa v97, v56, v49 dst_sel:DWORD dst_unused:UNUSED_PAD src0_sel:WORD_0 src1_sel:DWORD
	ds_read_b128 v[57:60], v42 offset:864
	v_mul_u32_u24_sdwa v56, v56, v49 dst_sel:DWORD dst_unused:UNUSED_PAD src0_sel:WORD_1 src1_sel:DWORD
	v_pk_fma_f16 v80, v63, v72, v80
	v_pk_fma_f16 v94, v63, v76, v94
	v_pk_fma_f16 v95, v63, v77, v95
	v_pk_fma_f16 v73, v63, v78, v73
	v_pk_fma_f16 v74, v63, v79, v74
	v_pk_fma_f16 v75, v63, v55, v75
	ds_read2_b64 v[51:54], v52 offset0:192 offset1:224
	v_pk_fma_f16 v96, v63, v97, v96
	v_pk_fma_f16 v98, v63, v56, v61
	;; [unrolled: 1-line block ×10, first 2 shown]
	ds_read_b128 v[61:64], v42 offset:880
	s_waitcnt lgkmcnt(2)
	v_mul_u32_u24_sdwa v71, v57, v49 dst_sel:DWORD dst_unused:UNUSED_PAD src0_sel:WORD_0 src1_sel:DWORD
	v_mul_u32_u24_sdwa v57, v57, v49 dst_sel:DWORD dst_unused:UNUSED_PAD src0_sel:WORD_1 src1_sel:DWORD
	v_mul_u32_u24_sdwa v72, v58, v49 dst_sel:DWORD dst_unused:UNUSED_PAD src0_sel:WORD_0 src1_sel:DWORD
	v_mul_u32_u24_sdwa v58, v58, v49 dst_sel:DWORD dst_unused:UNUSED_PAD src0_sel:WORD_1 src1_sel:DWORD
	;; [unrolled: 2-line block ×4, first 2 shown]
	s_waitcnt lgkmcnt(1)
	v_pk_fma_f16 v78, v51, v71, v80
	v_pk_fma_f16 v79, v51, v57, v94
	;; [unrolled: 1-line block ×16, first 2 shown]
	s_waitcnt lgkmcnt(0)
	v_mul_u32_u24_sdwa v72, v61, v49 dst_sel:DWORD dst_unused:UNUSED_PAD src0_sel:WORD_0 src1_sel:DWORD
	v_mul_u32_u24_sdwa v76, v61, v49 dst_sel:DWORD dst_unused:UNUSED_PAD src0_sel:WORD_1 src1_sel:DWORD
	v_mul_u32_u24_sdwa v77, v62, v49 dst_sel:DWORD dst_unused:UNUSED_PAD src0_sel:WORD_0 src1_sel:DWORD
	v_mul_u32_u24_sdwa v95, v62, v49 dst_sel:DWORD dst_unused:UNUSED_PAD src0_sel:WORD_1 src1_sel:DWORD
	;; [unrolled: 2-line block ×3, first 2 shown]
	v_mul_u32_u24_sdwa v97, v64, v49 dst_sel:DWORD dst_unused:UNUSED_PAD src0_sel:WORD_0 src1_sel:DWORD
	ds_read_b128 v[55:58], v42 offset:896
	v_mul_u32_u24_sdwa v64, v64, v49 dst_sel:DWORD dst_unused:UNUSED_PAD src0_sel:WORD_1 src1_sel:DWORD
	v_pk_fma_f16 v78, v53, v72, v78
	v_pk_fma_f16 v79, v53, v76, v79
	;; [unrolled: 1-line block ×6, first 2 shown]
	ds_read2_b64 v[59:62], v50 offset1:32
	v_pk_fma_f16 v94, v53, v97, v94
	v_pk_fma_f16 v98, v53, v64, v51
	v_pk_fma_f16 v68, v54, v72, v68
	v_pk_fma_f16 v69, v54, v76, v69
	v_pk_fma_f16 v65, v54, v77, v65
	v_pk_fma_f16 v66, v54, v95, v66
	v_pk_fma_f16 v70, v54, v96, v70
	v_pk_fma_f16 v63, v54, v63, v71
	v_pk_fma_f16 v67, v54, v97, v67
	v_pk_fma_f16 v64, v54, v64, v52
	ds_read_b128 v[51:54], v42 offset:912
	s_waitcnt lgkmcnt(2)
	v_mul_u32_u24_sdwa v71, v55, v49 dst_sel:DWORD dst_unused:UNUSED_PAD src0_sel:WORD_0 src1_sel:DWORD
	v_mul_u32_u24_sdwa v55, v55, v49 dst_sel:DWORD dst_unused:UNUSED_PAD src0_sel:WORD_1 src1_sel:DWORD
	v_mul_u32_u24_sdwa v72, v56, v49 dst_sel:DWORD dst_unused:UNUSED_PAD src0_sel:WORD_0 src1_sel:DWORD
	v_mul_u32_u24_sdwa v56, v56, v49 dst_sel:DWORD dst_unused:UNUSED_PAD src0_sel:WORD_1 src1_sel:DWORD
	v_mul_u32_u24_sdwa v76, v57, v49 dst_sel:DWORD dst_unused:UNUSED_PAD src0_sel:WORD_0 src1_sel:DWORD
	v_mul_u32_u24_sdwa v57, v57, v49 dst_sel:DWORD dst_unused:UNUSED_PAD src0_sel:WORD_1 src1_sel:DWORD
	v_mul_u32_u24_sdwa v77, v58, v49 dst_sel:DWORD dst_unused:UNUSED_PAD src0_sel:WORD_0 src1_sel:DWORD
	v_mul_u32_u24_sdwa v58, v58, v49 dst_sel:DWORD dst_unused:UNUSED_PAD src0_sel:WORD_1 src1_sel:DWORD
	s_waitcnt lgkmcnt(1)
	v_pk_fma_f16 v78, v59, v71, v78
	v_pk_fma_f16 v79, v59, v55, v79
	v_pk_fma_f16 v80, v59, v72, v80
	v_pk_fma_f16 v73, v59, v56, v73
	v_pk_fma_f16 v74, v59, v76, v74
	v_pk_fma_f16 v75, v59, v57, v75
	v_pk_fma_f16 v94, v59, v77, v94
	v_pk_fma_f16 v59, v59, v58, v98
	v_pk_fma_f16 v68, v60, v71, v68
	v_pk_fma_f16 v69, v60, v55, v69
	v_pk_fma_f16 v65, v60, v72, v65
	v_pk_fma_f16 v66, v60, v56, v66
	v_pk_fma_f16 v70, v60, v76, v70
	v_pk_fma_f16 v63, v60, v57, v63
	v_pk_fma_f16 v67, v60, v77, v67
	v_pk_fma_f16 v60, v60, v58, v64
	s_waitcnt lgkmcnt(0)
	v_mul_u32_u24_sdwa v64, v51, v49 dst_sel:DWORD dst_unused:UNUSED_PAD src0_sel:WORD_0 src1_sel:DWORD
	v_mul_u32_u24_sdwa v71, v51, v49 dst_sel:DWORD dst_unused:UNUSED_PAD src0_sel:WORD_1 src1_sel:DWORD
	v_mul_u32_u24_sdwa v72, v52, v49 dst_sel:DWORD dst_unused:UNUSED_PAD src0_sel:WORD_0 src1_sel:DWORD
	v_mul_u32_u24_sdwa v76, v52, v49 dst_sel:DWORD dst_unused:UNUSED_PAD src0_sel:WORD_1 src1_sel:DWORD
	v_mul_u32_u24_sdwa v77, v53, v49 dst_sel:DWORD dst_unused:UNUSED_PAD src0_sel:WORD_0 src1_sel:DWORD
	v_mul_u32_u24_sdwa v95, v53, v49 dst_sel:DWORD dst_unused:UNUSED_PAD src0_sel:WORD_1 src1_sel:DWORD
	v_mul_u32_u24_sdwa v96, v54, v49 dst_sel:DWORD dst_unused:UNUSED_PAD src0_sel:WORD_0 src1_sel:DWORD
	ds_read_b128 v[55:58], v42 offset:928
	v_mul_u32_u24_sdwa v97, v54, v49 dst_sel:DWORD dst_unused:UNUSED_PAD src0_sel:WORD_1 src1_sel:DWORD
	v_pk_fma_f16 v78, v61, v64, v78
	v_pk_fma_f16 v79, v61, v71, v79
	v_pk_fma_f16 v80, v61, v72, v80
	v_pk_fma_f16 v73, v61, v76, v73
	v_pk_fma_f16 v74, v61, v77, v74
	v_pk_fma_f16 v75, v61, v95, v75
	ds_read2_b64 v[51:54], v50 offset0:64 offset1:96
	v_pk_fma_f16 v94, v61, v96, v94
	v_pk_fma_f16 v98, v61, v97, v59
	v_pk_fma_f16 v64, v62, v64, v68
	v_pk_fma_f16 v68, v62, v71, v69
	v_pk_fma_f16 v65, v62, v72, v65
	v_pk_fma_f16 v66, v62, v76, v66
	v_pk_fma_f16 v69, v62, v77, v70
	v_pk_fma_f16 v63, v62, v95, v63
	v_pk_fma_f16 v67, v62, v96, v67
	v_pk_fma_f16 v70, v62, v97, v60
	ds_read_b128 v[59:62], v42 offset:944
	s_waitcnt lgkmcnt(2)
	v_mul_u32_u24_sdwa v71, v55, v49 dst_sel:DWORD dst_unused:UNUSED_PAD src0_sel:WORD_0 src1_sel:DWORD
	v_mul_u32_u24_sdwa v55, v55, v49 dst_sel:DWORD dst_unused:UNUSED_PAD src0_sel:WORD_1 src1_sel:DWORD
	v_mul_u32_u24_sdwa v72, v56, v49 dst_sel:DWORD dst_unused:UNUSED_PAD src0_sel:WORD_0 src1_sel:DWORD
	v_mul_u32_u24_sdwa v56, v56, v49 dst_sel:DWORD dst_unused:UNUSED_PAD src0_sel:WORD_1 src1_sel:DWORD
	v_mul_u32_u24_sdwa v76, v57, v49 dst_sel:DWORD dst_unused:UNUSED_PAD src0_sel:WORD_0 src1_sel:DWORD
	v_mul_u32_u24_sdwa v57, v57, v49 dst_sel:DWORD dst_unused:UNUSED_PAD src0_sel:WORD_1 src1_sel:DWORD
	v_mul_u32_u24_sdwa v77, v58, v49 dst_sel:DWORD dst_unused:UNUSED_PAD src0_sel:WORD_0 src1_sel:DWORD
	v_mul_u32_u24_sdwa v58, v58, v49 dst_sel:DWORD dst_unused:UNUSED_PAD src0_sel:WORD_1 src1_sel:DWORD
	s_waitcnt lgkmcnt(1)
	v_pk_fma_f16 v78, v51, v71, v78
	v_pk_fma_f16 v79, v51, v55, v79
	v_pk_fma_f16 v80, v51, v72, v80
	v_pk_fma_f16 v73, v51, v56, v73
	v_pk_fma_f16 v74, v51, v76, v74
	v_pk_fma_f16 v75, v51, v57, v75
	v_pk_fma_f16 v94, v51, v77, v94
	v_pk_fma_f16 v51, v51, v58, v98
	v_pk_fma_f16 v64, v52, v71, v64
	v_pk_fma_f16 v68, v52, v55, v68
	v_pk_fma_f16 v65, v52, v72, v65
	v_pk_fma_f16 v66, v52, v56, v66
	v_pk_fma_f16 v69, v52, v76, v69
	v_pk_fma_f16 v63, v52, v57, v63
	v_pk_fma_f16 v67, v52, v77, v67
	v_pk_fma_f16 v52, v52, v58, v70
	s_waitcnt lgkmcnt(0)
	v_mul_u32_u24_sdwa v70, v59, v49 dst_sel:DWORD dst_unused:UNUSED_PAD src0_sel:WORD_0 src1_sel:DWORD
	v_mul_u32_u24_sdwa v71, v59, v49 dst_sel:DWORD dst_unused:UNUSED_PAD src0_sel:WORD_1 src1_sel:DWORD
	v_mul_u32_u24_sdwa v72, v60, v49 dst_sel:DWORD dst_unused:UNUSED_PAD src0_sel:WORD_0 src1_sel:DWORD
	v_mul_u32_u24_sdwa v76, v60, v49 dst_sel:DWORD dst_unused:UNUSED_PAD src0_sel:WORD_1 src1_sel:DWORD
	v_mul_u32_u24_sdwa v77, v61, v49 dst_sel:DWORD dst_unused:UNUSED_PAD src0_sel:WORD_0 src1_sel:DWORD
	v_mul_u32_u24_sdwa v95, v61, v49 dst_sel:DWORD dst_unused:UNUSED_PAD src0_sel:WORD_1 src1_sel:DWORD
	v_mul_u32_u24_sdwa v96, v62, v49 dst_sel:DWORD dst_unused:UNUSED_PAD src0_sel:WORD_0 src1_sel:DWORD
	ds_read_b128 v[55:58], v42 offset:960
	v_mul_u32_u24_sdwa v97, v62, v49 dst_sel:DWORD dst_unused:UNUSED_PAD src0_sel:WORD_1 src1_sel:DWORD
	v_pk_fma_f16 v78, v53, v70, v78
	v_pk_fma_f16 v79, v53, v71, v79
	v_pk_fma_f16 v80, v53, v72, v80
	v_pk_fma_f16 v73, v53, v76, v73
	v_pk_fma_f16 v74, v53, v77, v74
	v_pk_fma_f16 v75, v53, v95, v75
	ds_read2_b64 v[59:62], v50 offset0:128 offset1:160
	;; [unrolled: 54-line block ×3, first 2 shown]
	v_pk_fma_f16 v94, v61, v97, v94
	v_pk_fma_f16 v59, v61, v54, v59
	;; [unrolled: 1-line block ×7, first 2 shown]
	ds_read_b128 v[50:53], v42 offset:1008
	s_waitcnt lgkmcnt(0)
	s_barrier
	buffer_gl0_inv
	s_load_dword s19, s[0:1], 0x4
	v_pk_fma_f16 v69, v62, v96, v69
	v_pk_fma_f16 v67, v62, v97, v67
	;; [unrolled: 1-line block ×3, first 2 shown]
	v_mul_u32_u24_sdwa v60, v55, v49 dst_sel:DWORD dst_unused:UNUSED_PAD src0_sel:WORD_0 src1_sel:DWORD
	v_mul_u32_u24_sdwa v55, v55, v49 dst_sel:DWORD dst_unused:UNUSED_PAD src0_sel:WORD_1 src1_sel:DWORD
	v_mul_u32_u24_sdwa v62, v56, v49 dst_sel:DWORD dst_unused:UNUSED_PAD src0_sel:WORD_0 src1_sel:DWORD
	v_mul_u32_u24_sdwa v56, v56, v49 dst_sel:DWORD dst_unused:UNUSED_PAD src0_sel:WORD_1 src1_sel:DWORD
	;; [unrolled: 2-line block ×4, first 2 shown]
	v_pk_fma_f16 v78, v63, v60, v78
	v_pk_fma_f16 v79, v63, v55, v79
	;; [unrolled: 1-line block ×16, first 2 shown]
	v_mul_u32_u24_sdwa v62, v50, v49 dst_sel:DWORD dst_unused:UNUSED_PAD src0_sel:WORD_0 src1_sel:DWORD
	v_mul_u32_u24_sdwa v50, v50, v49 dst_sel:DWORD dst_unused:UNUSED_PAD src0_sel:WORD_1 src1_sel:DWORD
	v_mul_u32_u24_sdwa v72, v51, v49 dst_sel:DWORD dst_unused:UNUSED_PAD src0_sel:WORD_0 src1_sel:DWORD
	v_mul_u32_u24_sdwa v76, v51, v49 dst_sel:DWORD dst_unused:UNUSED_PAD src0_sel:WORD_1 src1_sel:DWORD
	;; [unrolled: 2-line block ×4, first 2 shown]
	s_waitcnt lgkmcnt(0)
	s_lshl_b32 s19, s19, 6
	v_pk_fma_f16 v64, v65, v62, v78
	v_pk_fma_f16 v63, v65, v50, v79
	;; [unrolled: 1-line block ×16, first 2 shown]
	s_add_i32 s6, s19, s6
	s_cmp_ge_i32 s6, s34
	s_cbranch_scc1 .LBB80_75
; %bb.74:                               ;   in Loop: Header=BB80_9 Depth=1
	v_mov_b32_e32 v79, v1
	v_mov_b32_e32 v80, v2
	;; [unrolled: 1-line block ×16, first 2 shown]
	s_branch .LBB80_9
.LBB80_75:
	v_mov_b32_e32 v9, v19
.LBB80_76:
	v_cmp_lt_i32_e32 vcc_lo, v86, v18
	s_cmp_lg_u64 s[16:17], 0
	s_cselect_b32 s0, -1, 0
	s_cmp_eq_u32 s28, 0
	v_cndmask_b32_e32 v10, v9, v86, vcc_lo
	v_cmp_lt_i32_e32 vcc_lo, v84, v18
	s_cselect_b32 s1, -1, 0
	s_and_b32 s0, s1, s0
	v_lshlrev_b32_e32 v10, 2, v10
	v_cndmask_b32_e32 v19, v9, v84, vcc_lo
	v_cmp_lt_i32_e32 vcc_lo, v83, v18
	ds_bpermute_b32 v11, v10, v85
	ds_bpermute_b32 v12, v10, v87
	;; [unrolled: 1-line block ×8, first 2 shown]
	v_lshlrev_b32_e32 v19, 2, v19
	v_cndmask_b32_e32 v42, v9, v83, vcc_lo
	v_cmp_lt_i32_e32 vcc_lo, v82, v18
	v_lshlrev_b32_e32 v42, 2, v42
	s_waitcnt lgkmcnt(7)
	v_add_f32_e32 v11, v85, v11
	s_waitcnt lgkmcnt(6)
	v_add_f32_e32 v12, v87, v12
	;; [unrolled: 2-line block ×8, first 2 shown]
	ds_bpermute_b32 v20, v19, v11
	ds_bpermute_b32 v21, v19, v12
	;; [unrolled: 1-line block ×8, first 2 shown]
	s_waitcnt lgkmcnt(7)
	v_add_f32_e32 v11, v11, v20
	s_waitcnt lgkmcnt(6)
	v_add_f32_e32 v12, v12, v21
	;; [unrolled: 2-line block ×8, first 2 shown]
	ds_bpermute_b32 v19, v42, v11
	ds_bpermute_b32 v20, v42, v12
	;; [unrolled: 1-line block ×8, first 2 shown]
	v_cndmask_b32_e32 v42, v9, v82, vcc_lo
	v_cmp_lt_i32_e32 vcc_lo, v81, v18
	v_lshlrev_b32_e32 v42, 2, v42
	v_cndmask_b32_e32 v9, v9, v81, vcc_lo
	s_and_b32 vcc_lo, exec_lo, s0
	v_lshlrev_b32_e32 v9, 2, v9
	s_waitcnt lgkmcnt(7)
	v_add_f32_e32 v11, v11, v19
	s_waitcnt lgkmcnt(6)
	v_add_f32_e32 v12, v12, v20
	s_waitcnt lgkmcnt(5)
	v_add_f32_e32 v13, v13, v21
	s_waitcnt lgkmcnt(4)
	v_add_f32_e32 v14, v14, v22
	s_waitcnt lgkmcnt(3)
	v_add_f32_e32 v15, v15, v23
	s_waitcnt lgkmcnt(2)
	v_add_f32_e32 v16, v16, v24
	s_waitcnt lgkmcnt(1)
	v_add_f32_e32 v17, v17, v40
	s_waitcnt lgkmcnt(0)
	v_add_f32_e32 v10, v10, v41
	ds_bpermute_b32 v19, v42, v11
	ds_bpermute_b32 v20, v42, v12
	;; [unrolled: 1-line block ×8, first 2 shown]
	s_waitcnt lgkmcnt(7)
	v_add_f32_e32 v11, v11, v19
	s_waitcnt lgkmcnt(6)
	v_add_f32_e32 v12, v12, v20
	;; [unrolled: 2-line block ×8, first 2 shown]
	ds_bpermute_b32 v10, v9, v11
	ds_bpermute_b32 v19, v9, v12
	ds_bpermute_b32 v20, v9, v13
	ds_bpermute_b32 v21, v9, v14
	ds_bpermute_b32 v22, v9, v15
	ds_bpermute_b32 v23, v9, v16
	ds_bpermute_b32 v24, v9, v17
	ds_bpermute_b32 v40, v9, v18
	s_waitcnt lgkmcnt(7)
	v_add_f32_e32 v9, v11, v10
	s_waitcnt lgkmcnt(6)
	v_add_f32_e32 v10, v12, v19
	;; [unrolled: 2-line block ×8, first 2 shown]
	s_cbranch_vccz .LBB80_79
; %bb.77:
	s_ashr_i32 s31, s30, 31
	v_mov_b32_e32 v17, 0
	s_lshl_b64 s[0:1], s[30:31], 2
	v_max_f32_e32 v18, v2, v2
	s_add_u32 s0, s16, s0
	s_addc_u32 s1, s17, s1
	v_max_f32_e32 v19, v3, v3
	global_load_dwordx2 v[41:42], v17, s[0:1]
	v_max_f32_e32 v17, v1, v1
	v_max_f32_e32 v20, v4, v4
	;; [unrolled: 1-line block ×6, first 2 shown]
	v_mov_b32_e32 v40, 0x10001
	s_waitcnt vmcnt(0)
	v_max_f32_e32 v23, v41, v41
	v_max_f32_e32 v24, v42, v42
	;; [unrolled: 1-line block ×10, first 2 shown]
	v_sub_f32_e32 v43, v1, v17
	v_sub_f32_e32 v45, v2, v18
	;; [unrolled: 1-line block ×8, first 2 shown]
	v_mov_b32_e32 v1, v17
	v_sub_f32_e32 v44, v41, v17
	v_mov_b32_e32 v2, v18
	v_mov_b32_e32 v3, v19
	;; [unrolled: 1-line block ×7, first 2 shown]
	v_mul_f32_e32 v17, 0x3fb8aa3b, v43
	v_sub_f32_e32 v46, v42, v18
	v_mul_f32_e32 v18, 0x3fb8aa3b, v44
	v_sub_f32_e32 v48, v41, v19
	v_mul_f32_e32 v19, 0x3fb8aa3b, v45
	v_fma_f32 v81, 0x3fb8aa3b, v43, -v17
	v_rndne_f32_e32 v82, v17
	v_fma_f32 v83, 0x3fb8aa3b, v44, -v18
	v_rndne_f32_e32 v84, v18
	v_sub_f32_e32 v66, v42, v20
	v_fmac_f32_e32 v81, 0x32a5705f, v43
	v_sub_f32_e32 v17, v17, v82
	v_mul_f32_e32 v20, 0x3fb8aa3b, v46
	v_fma_f32 v85, 0x3fb8aa3b, v45, -v19
	v_rndne_f32_e32 v86, v19
	v_fmac_f32_e32 v83, 0x32a5705f, v44
	v_sub_f32_e32 v18, v18, v84
	v_add_f32_e32 v17, v17, v81
	v_sub_f32_e32 v68, v41, v21
	v_mul_f32_e32 v21, 0x3fb8aa3b, v47
	v_fma_f32 v87, 0x3fb8aa3b, v46, -v20
	v_rndne_f32_e32 v88, v20
	v_fmac_f32_e32 v85, 0x32a5705f, v45
	v_sub_f32_e32 v19, v19, v86
	v_add_f32_e32 v18, v18, v83
	v_exp_f32_e32 v17, v17
	v_sub_f32_e32 v70, v42, v22
	v_mul_f32_e32 v22, 0x3fb8aa3b, v48
	v_fma_f32 v89, 0x3fb8aa3b, v47, -v21
	v_rndne_f32_e32 v90, v21
	v_cvt_i32_f32_e32 v82, v82
	v_fmac_f32_e32 v87, 0x32a5705f, v46
	v_sub_f32_e32 v20, v20, v88
	v_add_f32_e32 v19, v19, v85
	v_exp_f32_e32 v18, v18
	v_sub_f32_e32 v41, v41, v23
	v_mul_f32_e32 v23, 0x3fb8aa3b, v49
	v_fma_f32 v91, 0x3fb8aa3b, v48, -v22
	v_rndne_f32_e32 v92, v22
	v_cvt_i32_f32_e32 v84, v84
	v_fmac_f32_e32 v89, 0x32a5705f, v47
	v_sub_f32_e32 v21, v21, v90
	v_add_f32_e32 v20, v20, v87
	v_exp_f32_e32 v19, v19
	v_ldexp_f32 v17, v17, v82
	v_cmp_ngt_f32_e32 vcc_lo, 0xc2ce8ed0, v43
	v_sub_f32_e32 v42, v42, v24
	v_mul_f32_e32 v24, 0x3fb8aa3b, v66
	v_fma_f32 v93, 0x3fb8aa3b, v49, -v23
	v_rndne_f32_e32 v94, v23
	v_cvt_i32_f32_e32 v86, v86
	v_fmac_f32_e32 v91, 0x32a5705f, v48
	v_sub_f32_e32 v22, v22, v92
	v_add_f32_e32 v21, v21, v89
	v_exp_f32_e32 v20, v20
	v_ldexp_f32 v18, v18, v84
	v_cndmask_b32_e32 v17, 0, v17, vcc_lo
	v_cmp_ngt_f32_e32 vcc_lo, 0xc2ce8ed0, v44
	v_mul_f32_e32 v73, 0x3fb8aa3b, v67
	v_fma_f32 v95, 0x3fb8aa3b, v66, -v24
	v_rndne_f32_e32 v96, v24
	v_cvt_i32_f32_e32 v88, v88
	v_fmac_f32_e32 v93, 0x32a5705f, v49
	v_sub_f32_e32 v23, v23, v94
	v_add_f32_e32 v22, v22, v91
	v_exp_f32_e32 v21, v21
	v_ldexp_f32 v19, v19, v86
	v_cndmask_b32_e32 v18, 0, v18, vcc_lo
	v_cmp_ngt_f32_e32 vcc_lo, 0xc2ce8ed0, v45
	;; [unrolled: 11-line block ×9, first 2 shown]
	v_fma_f32 v111, 0x3fb8aa3b, v42, -v80
	v_rndne_f32_e32 v112, v80
	v_cvt_i32_f32_e32 v104, v104
	v_fmac_f32_e32 v109, 0x32a5705f, v72
	v_sub_f32_e32 v79, v79, v110
	v_add_f32_e32 v78, v78, v107
	v_exp_f32_e32 v77, v77
	v_ldexp_f32 v75, v75, v102
	v_cndmask_b32_e32 v74, 0, v74, vcc_lo
	v_cmp_ngt_f32_e32 vcc_lo, 0xc2ce8ed0, v69
	v_cvt_i32_f32_e32 v106, v106
	v_fmac_f32_e32 v111, 0x32a5705f, v42
	v_sub_f32_e32 v80, v80, v112
	v_add_f32_e32 v79, v79, v109
	v_exp_f32_e32 v78, v78
	v_ldexp_f32 v76, v76, v104
	v_cndmask_b32_e32 v75, 0, v75, vcc_lo
	v_cmp_ngt_f32_e32 vcc_lo, 0xc2ce8ed0, v70
	v_cvt_i32_f32_e32 v108, v108
	v_add_f32_e32 v80, v80, v111
	v_exp_f32_e32 v79, v79
	v_ldexp_f32 v77, v77, v106
	v_cndmask_b32_e32 v76, 0, v76, vcc_lo
	v_cmp_ngt_f32_e32 vcc_lo, 0xc2ce8ed0, v71
	v_cvt_i32_f32_e32 v110, v110
	v_exp_f32_e32 v80, v80
	v_ldexp_f32 v78, v78, v108
	v_cvt_i32_f32_e32 v112, v112
	v_cndmask_b32_e32 v77, 0, v77, vcc_lo
	v_cmp_ngt_f32_e32 vcc_lo, 0xc2ce8ed0, v41
	v_ldexp_f32 v79, v79, v110
	v_cndmask_b32_e32 v78, 0, v78, vcc_lo
	v_cmp_ngt_f32_e32 vcc_lo, 0xc2ce8ed0, v72
	v_ldexp_f32 v80, v80, v112
	v_cndmask_b32_e32 v79, 0, v79, vcc_lo
	v_cmp_ngt_f32_e32 vcc_lo, 0xc2ce8ed0, v42
	v_cndmask_b32_e32 v80, 0, v80, vcc_lo
	v_cmp_nlt_f32_e32 vcc_lo, 0x42b17218, v43
	v_cndmask_b32_e32 v43, 0x7f800000, v17, vcc_lo
	v_cmp_nlt_f32_e32 vcc_lo, 0x42b17218, v44
	v_cndmask_b32_e32 v17, 0x7f800000, v18, vcc_lo
	v_cmp_nlt_f32_e32 vcc_lo, 0x42b17218, v45
	v_fmac_f32_e32 v17, v9, v43
	v_cndmask_b32_e32 v44, 0x7f800000, v19, vcc_lo
	v_cmp_nlt_f32_e32 vcc_lo, 0x42b17218, v46
	v_cvt_f16_f32_e32 v9, v43
	v_cndmask_b32_e32 v18, 0x7f800000, v20, vcc_lo
	v_cmp_nlt_f32_e32 vcc_lo, 0x42b17218, v47
	v_fmac_f32_e32 v18, v10, v44
	v_cndmask_b32_e32 v45, 0x7f800000, v21, vcc_lo
	v_cmp_nlt_f32_e32 vcc_lo, 0x42b17218, v48
	v_cvt_f16_f32_e32 v10, v44
	v_cndmask_b32_e32 v19, 0x7f800000, v22, vcc_lo
	v_cmp_nlt_f32_e32 vcc_lo, 0x42b17218, v49
	;; [unrolled: 6-line block ×3, first 2 shown]
	v_mul_u32_u24_sdwa v43, v11, v40 dst_sel:DWORD dst_unused:UNUSED_PAD src0_sel:WORD_0 src1_sel:DWORD
	v_mov_b32_e32 v11, v19
	v_fmac_f32_e32 v20, v12, v46
	v_cndmask_b32_e32 v47, 0x7f800000, v73, vcc_lo
	v_cmp_nlt_f32_e32 vcc_lo, 0x42b17218, v68
	v_cvt_f16_f32_e32 v12, v46
	v_pk_mul_f16 v61, v61, v43
	v_pk_mul_f16 v60, v60, v43
	v_cndmask_b32_e32 v21, 0x7f800000, v74, vcc_lo
	v_cmp_nlt_f32_e32 vcc_lo, 0x42b17218, v69
	v_mul_u32_u24_sdwa v44, v12, v40 dst_sel:DWORD dst_unused:UNUSED_PAD src0_sel:WORD_0 src1_sel:DWORD
	v_mov_b32_e32 v12, v20
	v_fmac_f32_e32 v21, v13, v47
	v_cndmask_b32_e32 v48, 0x7f800000, v75, vcc_lo
	v_cmp_nlt_f32_e32 vcc_lo, 0x42b17218, v70
	v_cvt_f16_f32_e32 v13, v47
	v_pk_mul_f16 v58, v58, v44
	v_pk_mul_f16 v59, v59, v44
	v_cndmask_b32_e32 v22, 0x7f800000, v76, vcc_lo
	v_cmp_nlt_f32_e32 vcc_lo, 0x42b17218, v71
	;; [unrolled: 10-line block ×3, first 2 shown]
	v_mul_u32_u24_sdwa v46, v14, v40 dst_sel:DWORD dst_unused:UNUSED_PAD src0_sel:WORD_0 src1_sel:DWORD
	v_mov_b32_e32 v14, v22
	v_fmac_f32_e32 v23, v15, v49
	v_cndmask_b32_e32 v41, 0x7f800000, v79, vcc_lo
	v_cmp_nlt_f32_e32 vcc_lo, 0x42b17218, v42
	v_cvt_f16_f32_e32 v15, v49
	v_mul_u32_u24_sdwa v42, v10, v40 dst_sel:DWORD dst_unused:UNUSED_PAD src0_sel:WORD_0 src1_sel:DWORD
	v_mov_b32_e32 v10, v18
	v_pk_mul_f16 v54, v54, v46
	v_cndmask_b32_e32 v24, 0x7f800000, v80, vcc_lo
	v_mul_u32_u24_sdwa v47, v15, v40 dst_sel:DWORD dst_unused:UNUSED_PAD src0_sel:WORD_0 src1_sel:DWORD
	v_mov_b32_e32 v15, v23
	v_pk_mul_f16 v63, v63, v42
	v_pk_mul_f16 v62, v62, v42
	v_fmac_f32_e32 v24, v16, v41
	v_cvt_f16_f32_e32 v16, v41
	v_mul_u32_u24_sdwa v41, v9, v40 dst_sel:DWORD dst_unused:UNUSED_PAD src0_sel:WORD_0 src1_sel:DWORD
	v_mov_b32_e32 v9, v17
	v_pk_mul_f16 v55, v55, v46
	v_pk_mul_f16 v52, v52, v47
	v_mul_u32_u24_sdwa v16, v16, v40 dst_sel:DWORD dst_unused:UNUSED_PAD src0_sel:WORD_0 src1_sel:DWORD
	v_pk_mul_f16 v64, v64, v41
	v_pk_mul_f16 v65, v65, v41
	;; [unrolled: 1-line block ×5, first 2 shown]
	v_mov_b32_e32 v16, v24
	s_mov_b32 s0, exec_lo
	v_cmpx_gt_i32_e64 s2, v26
	s_cbranch_execnz .LBB80_80
.LBB80_78:
	s_endpgm
.LBB80_79:
	v_mov_b32_e32 v24, v16
	v_mov_b32_e32 v23, v15
	;; [unrolled: 1-line block ×8, first 2 shown]
	s_mov_b32 s0, exec_lo
	v_cmpx_gt_i32_e64 s2, v26
	s_cbranch_execz .LBB80_78
.LBB80_80:
	s_load_dword s1, s[4:5], 0xd4
	v_mov_b32_e32 v41, 1.0
	s_waitcnt lgkmcnt(0)
	s_cmp_lg_u32 s1, 1
	s_cselect_b32 s5, -1, 0
	s_cmp_eq_u32 s1, 1
	s_cselect_b32 s6, -1, 0
	s_and_b32 vcc_lo, exec_lo, s5
	s_cbranch_vccnz .LBB80_82
; %bb.81:
	v_div_scale_f32 v26, null, v9, v9, 1.0
	v_rcp_f32_e32 v40, v26
	v_fma_f32 v41, -v26, v40, 1.0
	v_fmac_f32_e32 v40, v41, v40
	v_div_scale_f32 v41, vcc_lo, 1.0, v9, 1.0
	v_mul_f32_e32 v42, v41, v40
	v_fma_f32 v43, -v26, v42, v41
	v_fmac_f32_e32 v42, v43, v40
	v_fma_f32 v26, -v26, v42, v41
	v_div_fmas_f32 v26, v26, v40, v42
	v_div_fixup_f32 v41, v26, v9, 1.0
.LBB80_82:
	s_mul_i32 s4, s7, s2
	v_mov_b32_e32 v43, 0
	s_add_i32 s4, s4, s14
	v_cmp_eq_u32_e32 vcc_lo, 0, v0
	v_add_nc_u32_e32 v9, s4, v25
	v_cvt_f32_f16_e32 v0, v64
	v_cvt_f32_f16_sdwa v45, v65 dst_sel:DWORD dst_unused:UNUSED_PAD src0_sel:WORD_1
	s_and_b32 s5, vcc_lo, s5
	v_mul_lo_u32 v40, v9, s3
	v_mul_f32_e32 v45, v41, v45
	v_add_nc_u32_e32 v9, s30, v40
	v_mad_u64_u32 v[25:26], null, s1, v9, s[28:29]
	v_cvt_f32_f16_sdwa v9, v64 dst_sel:DWORD dst_unused:UNUSED_PAD src0_sel:WORD_1
	v_cvt_f32_f16_e32 v26, v65
	v_mul_f32_e32 v44, v41, v26
	v_lshl_add_u32 v42, v25, 7, v38
	v_lshlrev_b64 v[46:47], 2, v[42:43]
	v_mul_f32_e32 v42, v41, v0
	v_mul_f32_e32 v43, v41, v9
	v_add_co_u32 v46, s0, s20, v46
	v_add_co_ci_u32_e64 v47, null, s21, v47, s0
	global_store_dwordx4 v[46:47], v[42:45], off
	s_and_saveexec_b32 s0, s5
	s_cbranch_execz .LBB80_84
; %bb.83:
	v_ashrrev_i32_e32 v26, 31, v25
	v_mov_b32_e32 v0, v1
	v_mov_b32_e32 v1, v17
	v_lshlrev_b64 v[25:26], 3, v[25:26]
	v_add_co_u32 v25, vcc_lo, s22, v25
	v_add_co_ci_u32_e64 v26, null, s23, v26, vcc_lo
	global_store_dwordx2 v[25:26], v[0:1], off
.LBB80_84:
	s_or_b32 exec_lo, exec_lo, s0
	v_cndmask_b32_e64 v9, 0, 1, s6
	v_mov_b32_e32 v17, 1.0
	s_andn2_b32 vcc_lo, exec_lo, s6
	s_cbranch_vccnz .LBB80_86
; %bb.85:
	v_div_scale_f32 v0, null, v10, v10, 1.0
	v_rcp_f32_e32 v1, v0
	v_fma_f32 v17, -v0, v1, 1.0
	v_fmac_f32_e32 v1, v17, v1
	v_div_scale_f32 v17, vcc_lo, 1.0, v10, 1.0
	v_mul_f32_e32 v25, v17, v1
	v_fma_f32 v26, -v0, v25, v17
	v_fmac_f32_e32 v25, v26, v1
	v_fma_f32 v0, -v0, v25, v17
	v_div_fmas_f32 v0, v0, v1, v25
	v_div_fixup_f32 v17, v0, v10, 1.0
.LBB80_86:
	s_add_i32 s0, s30, 1
	v_mov_b32_e32 v26, 0
	v_add_nc_u32_e32 v0, s0, v40
	v_cvt_f32_f16_sdwa v10, v63 dst_sel:DWORD dst_unused:UNUSED_PAD src0_sel:WORD_1
	v_cvt_f32_f16_e32 v42, v62
	v_cvt_f32_f16_sdwa v43, v62 dst_sel:DWORD dst_unused:UNUSED_PAD src0_sel:WORD_1
	v_mad_u64_u32 v[0:1], null, s1, v0, s[28:29]
	v_cvt_f32_f16_e32 v1, v63
	v_mul_f32_e32 v41, v17, v10
	v_mul_f32_e32 v42, v17, v42
	;; [unrolled: 1-line block ×4, first 2 shown]
	v_lshl_add_u32 v25, v0, 7, v38
	v_lshlrev_b64 v[25:26], 2, v[25:26]
	v_add_co_u32 v25, vcc_lo, s20, v25
	v_add_co_ci_u32_e64 v26, null, s21, v26, vcc_lo
	global_store_dwordx4 v[25:26], v[40:43], off
	s_and_saveexec_b32 s6, s5
	s_cbranch_execz .LBB80_88
; %bb.87:
	v_ashrrev_i32_e32 v1, 31, v0
	v_mov_b32_e32 v17, v2
	v_lshlrev_b64 v[0:1], 3, v[0:1]
	v_add_co_u32 v0, vcc_lo, s22, v0
	v_add_co_ci_u32_e64 v1, null, s23, v1, vcc_lo
	global_store_dwordx2 v[0:1], v[17:18], off
.LBB80_88:
	s_or_b32 exec_lo, exec_lo, s6
	v_cmp_gt_i32_e32 vcc_lo, s2, v39
	s_and_b32 exec_lo, exec_lo, vcc_lo
	s_cbranch_execz .LBB80_78
; %bb.89:
	v_cmp_ne_u32_e32 vcc_lo, 1, v9
	v_mov_b32_e32 v2, 1.0
	s_cbranch_vccnz .LBB80_91
; %bb.90:
	v_div_scale_f32 v0, null, v11, v11, 1.0
	v_rcp_f32_e32 v1, v0
	v_fma_f32 v2, -v0, v1, 1.0
	v_fmac_f32_e32 v1, v2, v1
	v_div_scale_f32 v2, vcc_lo, 1.0, v11, 1.0
	v_mul_f32_e32 v10, v2, v1
	v_fma_f32 v17, -v0, v10, v2
	v_fmac_f32_e32 v10, v17, v1
	v_fma_f32 v0, -v0, v10, v2
	v_div_fmas_f32 v0, v0, v1, v10
	v_div_fixup_f32 v2, v0, v11, 1.0
.LBB80_91:
	v_add_nc_u32_e32 v0, s4, v37
	v_mov_b32_e32 v11, 0
	v_cvt_f32_f16_sdwa v17, v61 dst_sel:DWORD dst_unused:UNUSED_PAD src0_sel:WORD_1
	v_cvt_f32_f16_e32 v18, v60
	v_cvt_f32_f16_sdwa v25, v60 dst_sel:DWORD dst_unused:UNUSED_PAD src0_sel:WORD_1
	v_mad_u64_u32 v[0:1], null, v0, s3, s[30:31]
	v_mul_f32_e32 v40, v2, v17
	v_mul_f32_e32 v41, v2, v18
	v_mul_f32_e32 v42, v2, v25
	v_mad_u64_u32 v[0:1], null, s1, v0, s[28:29]
	v_cvt_f32_f16_e32 v1, v61
	v_mul_f32_e32 v39, v2, v1
	v_lshl_add_u32 v10, v0, 7, v38
	v_lshlrev_b64 v[10:11], 2, v[10:11]
	v_add_co_u32 v1, vcc_lo, s20, v10
	v_add_co_ci_u32_e64 v2, null, s21, v11, vcc_lo
	global_store_dwordx4 v[1:2], v[39:42], off
	s_and_saveexec_b32 s6, s5
	s_cbranch_execz .LBB80_93
; %bb.92:
	v_ashrrev_i32_e32 v1, 31, v0
	v_mov_b32_e32 v18, v3
	v_lshlrev_b64 v[0:1], 3, v[0:1]
	v_add_co_u32 v0, vcc_lo, s22, v0
	v_add_co_ci_u32_e64 v1, null, s23, v1, vcc_lo
	global_store_dwordx2 v[0:1], v[18:19], off
.LBB80_93:
	s_or_b32 exec_lo, exec_lo, s6
	v_cmp_gt_i32_e32 vcc_lo, s2, v36
	s_and_b32 exec_lo, exec_lo, vcc_lo
	s_cbranch_execz .LBB80_78
; %bb.94:
	v_cmp_ne_u32_e32 vcc_lo, 1, v9
	v_mov_b32_e32 v2, 1.0
	s_cbranch_vccnz .LBB80_96
; %bb.95:
	v_div_scale_f32 v0, null, v12, v12, 1.0
	v_rcp_f32_e32 v1, v0
	v_fma_f32 v2, -v0, v1, 1.0
	v_fmac_f32_e32 v1, v2, v1
	v_div_scale_f32 v2, vcc_lo, 1.0, v12, 1.0
	v_mul_f32_e32 v3, v2, v1
	v_fma_f32 v10, -v0, v3, v2
	v_fmac_f32_e32 v3, v10, v1
	v_fma_f32 v0, -v0, v3, v2
	v_div_fmas_f32 v0, v0, v1, v3
	v_div_fixup_f32 v2, v0, v12, 1.0
.LBB80_96:
	v_add_nc_u32_e32 v0, s4, v34
	v_mov_b32_e32 v11, 0
	v_cvt_f32_f16_sdwa v3, v58 dst_sel:DWORD dst_unused:UNUSED_PAD src0_sel:WORD_1
	v_cvt_f32_f16_e32 v12, v59
	v_cvt_f32_f16_sdwa v17, v59 dst_sel:DWORD dst_unused:UNUSED_PAD src0_sel:WORD_1
	v_mad_u64_u32 v[0:1], null, v0, s3, s[0:1]
	v_mul_f32_e32 v40, v2, v3
	v_mul_f32_e32 v41, v2, v12
	v_mul_f32_e32 v42, v2, v17
	v_mad_u64_u32 v[0:1], null, s1, v0, s[28:29]
	v_cvt_f32_f16_e32 v1, v58
	v_mul_f32_e32 v39, v2, v1
	v_lshl_add_u32 v10, v0, 7, v38
	v_lshlrev_b64 v[10:11], 2, v[10:11]
	v_add_co_u32 v1, vcc_lo, s20, v10
	v_add_co_ci_u32_e64 v2, null, s21, v11, vcc_lo
	global_store_dwordx4 v[1:2], v[39:42], off
	s_and_saveexec_b32 s6, s5
	s_cbranch_execz .LBB80_98
; %bb.97:
	v_ashrrev_i32_e32 v1, 31, v0
	v_mov_b32_e32 v19, v4
	v_lshlrev_b64 v[0:1], 3, v[0:1]
	v_add_co_u32 v0, vcc_lo, s22, v0
	v_add_co_ci_u32_e64 v1, null, s23, v1, vcc_lo
	global_store_dwordx2 v[0:1], v[19:20], off
.LBB80_98:
	s_or_b32 exec_lo, exec_lo, s6
	v_cmp_gt_i32_e32 vcc_lo, s2, v35
	s_and_b32 exec_lo, exec_lo, vcc_lo
	s_cbranch_execz .LBB80_78
; %bb.99:
	v_cmp_ne_u32_e32 vcc_lo, 1, v9
	v_mov_b32_e32 v2, 1.0
	s_cbranch_vccnz .LBB80_101
; %bb.100:
	v_div_scale_f32 v0, null, v13, v13, 1.0
	v_rcp_f32_e32 v1, v0
	v_fma_f32 v2, -v0, v1, 1.0
	v_fmac_f32_e32 v1, v2, v1
	v_div_scale_f32 v2, vcc_lo, 1.0, v13, 1.0
	v_mul_f32_e32 v3, v2, v1
	v_fma_f32 v4, -v0, v3, v2
	v_fmac_f32_e32 v3, v4, v1
	v_fma_f32 v0, -v0, v3, v2
	v_div_fmas_f32 v0, v0, v1, v3
	v_div_fixup_f32 v2, v0, v13, 1.0
.LBB80_101:
	v_add_nc_u32_e32 v0, s4, v32
	v_mov_b32_e32 v4, 0
	v_cvt_f32_f16_sdwa v11, v57 dst_sel:DWORD dst_unused:UNUSED_PAD src0_sel:WORD_1
	v_cvt_f32_f16_e32 v12, v56
	v_cvt_f32_f16_sdwa v13, v56 dst_sel:DWORD dst_unused:UNUSED_PAD src0_sel:WORD_1
	v_mad_u64_u32 v[0:1], null, v0, s3, s[30:31]
	v_mul_f32_e32 v11, v2, v11
	v_mul_f32_e32 v12, v2, v12
	v_mul_f32_e32 v13, v2, v13
	v_mad_u64_u32 v[0:1], null, s1, v0, s[28:29]
	v_cvt_f32_f16_e32 v1, v57
	v_mul_f32_e32 v10, v2, v1
	v_lshl_add_u32 v3, v0, 7, v38
	v_lshlrev_b64 v[3:4], 2, v[3:4]
	v_add_co_u32 v1, vcc_lo, s20, v3
	v_add_co_ci_u32_e64 v2, null, s21, v4, vcc_lo
	global_store_dwordx4 v[1:2], v[10:13], off
	s_and_saveexec_b32 s6, s5
	s_cbranch_execz .LBB80_103
; %bb.102:
	v_ashrrev_i32_e32 v1, 31, v0
	v_mov_b32_e32 v20, v5
	v_lshlrev_b64 v[0:1], 3, v[0:1]
	v_add_co_u32 v0, vcc_lo, s22, v0
	v_add_co_ci_u32_e64 v1, null, s23, v1, vcc_lo
	global_store_dwordx2 v[0:1], v[20:21], off
.LBB80_103:
	s_or_b32 exec_lo, exec_lo, s6
	v_cmp_gt_i32_e32 vcc_lo, s2, v33
	s_and_b32 exec_lo, exec_lo, vcc_lo
	s_cbranch_execz .LBB80_78
; %bb.104:
	v_cmp_ne_u32_e32 vcc_lo, 1, v9
	v_mov_b32_e32 v2, 1.0
	s_cbranch_vccnz .LBB80_106
; %bb.105:
	v_div_scale_f32 v0, null, v14, v14, 1.0
	v_rcp_f32_e32 v1, v0
	v_fma_f32 v2, -v0, v1, 1.0
	v_fmac_f32_e32 v1, v2, v1
	v_div_scale_f32 v2, vcc_lo, 1.0, v14, 1.0
	v_mul_f32_e32 v3, v2, v1
	v_fma_f32 v4, -v0, v3, v2
	v_fmac_f32_e32 v3, v4, v1
	v_fma_f32 v0, -v0, v3, v2
	v_div_fmas_f32 v0, v0, v1, v3
	v_div_fixup_f32 v2, v0, v14, 1.0
.LBB80_106:
	v_add_nc_u32_e32 v0, s4, v30
	v_mov_b32_e32 v4, 0
	v_cvt_f32_f16_sdwa v5, v54 dst_sel:DWORD dst_unused:UNUSED_PAD src0_sel:WORD_1
	v_cvt_f32_f16_e32 v12, v55
	v_cvt_f32_f16_sdwa v13, v55 dst_sel:DWORD dst_unused:UNUSED_PAD src0_sel:WORD_1
	v_mad_u64_u32 v[0:1], null, v0, s3, s[0:1]
	v_mul_f32_e32 v11, v2, v5
	v_mul_f32_e32 v12, v2, v12
	v_mul_f32_e32 v13, v2, v13
	v_mad_u64_u32 v[0:1], null, s1, v0, s[28:29]
	v_cvt_f32_f16_e32 v1, v54
	v_mul_f32_e32 v10, v2, v1
	v_lshl_add_u32 v3, v0, 7, v38
	v_lshlrev_b64 v[3:4], 2, v[3:4]
	v_add_co_u32 v1, vcc_lo, s20, v3
	v_add_co_ci_u32_e64 v2, null, s21, v4, vcc_lo
	global_store_dwordx4 v[1:2], v[10:13], off
	s_and_saveexec_b32 s6, s5
	s_cbranch_execz .LBB80_108
; %bb.107:
	v_ashrrev_i32_e32 v1, 31, v0
	v_mov_b32_e32 v21, v6
	v_lshlrev_b64 v[0:1], 3, v[0:1]
	v_add_co_u32 v0, vcc_lo, s22, v0
	v_add_co_ci_u32_e64 v1, null, s23, v1, vcc_lo
	global_store_dwordx2 v[0:1], v[21:22], off
.LBB80_108:
	s_or_b32 exec_lo, exec_lo, s6
	v_cmp_gt_i32_e32 vcc_lo, s2, v31
	s_and_b32 exec_lo, exec_lo, vcc_lo
	s_cbranch_execz .LBB80_78
; %bb.109:
	v_cmp_ne_u32_e32 vcc_lo, 1, v9
	v_mov_b32_e32 v2, 1.0
	s_cbranch_vccnz .LBB80_111
; %bb.110:
	v_div_scale_f32 v0, null, v15, v15, 1.0
	v_rcp_f32_e32 v1, v0
	v_fma_f32 v2, -v0, v1, 1.0
	v_fmac_f32_e32 v1, v2, v1
	v_div_scale_f32 v2, vcc_lo, 1.0, v15, 1.0
	v_mul_f32_e32 v3, v2, v1
	v_fma_f32 v4, -v0, v3, v2
	v_fmac_f32_e32 v3, v4, v1
	v_fma_f32 v0, -v0, v3, v2
	v_div_fmas_f32 v0, v0, v1, v3
	v_div_fixup_f32 v2, v0, v15, 1.0
.LBB80_111:
	v_add_nc_u32_e32 v0, s4, v29
	v_mov_b32_e32 v4, 0
	v_cvt_f32_f16_sdwa v5, v52 dst_sel:DWORD dst_unused:UNUSED_PAD src0_sel:WORD_1
	v_cvt_f32_f16_e32 v6, v53
	v_cvt_f32_f16_sdwa v12, v53 dst_sel:DWORD dst_unused:UNUSED_PAD src0_sel:WORD_1
	v_mad_u64_u32 v[0:1], null, v0, s3, s[30:31]
	v_mad_u64_u32 v[0:1], null, s1, v0, s[28:29]
	v_cvt_f32_f16_e32 v1, v52
	v_lshl_add_u32 v3, v0, 7, v38
	v_lshlrev_b64 v[10:11], 2, v[3:4]
	v_mul_f32_e32 v3, v2, v1
	v_mul_f32_e32 v4, v2, v5
	;; [unrolled: 1-line block ×4, first 2 shown]
	v_add_co_u32 v1, vcc_lo, s20, v10
	v_add_co_ci_u32_e64 v2, null, s21, v11, vcc_lo
	global_store_dwordx4 v[1:2], v[3:6], off
	s_and_saveexec_b32 s6, s5
	s_cbranch_execz .LBB80_113
; %bb.112:
	v_ashrrev_i32_e32 v1, 31, v0
	v_mov_b32_e32 v22, v7
	v_lshlrev_b64 v[0:1], 3, v[0:1]
	v_add_co_u32 v0, vcc_lo, s22, v0
	v_add_co_ci_u32_e64 v1, null, s23, v1, vcc_lo
	global_store_dwordx2 v[0:1], v[22:23], off
.LBB80_113:
	s_or_b32 exec_lo, exec_lo, s6
	v_cmp_gt_i32_e32 vcc_lo, s2, v28
	s_and_b32 exec_lo, exec_lo, vcc_lo
	s_cbranch_execz .LBB80_78
; %bb.114:
	v_cmp_ne_u32_e32 vcc_lo, 1, v9
	v_mov_b32_e32 v2, 1.0
	s_cbranch_vccnz .LBB80_116
; %bb.115:
	v_div_scale_f32 v0, null, v16, v16, 1.0
	v_rcp_f32_e32 v1, v0
	v_fma_f32 v2, -v0, v1, 1.0
	v_fmac_f32_e32 v1, v2, v1
	v_div_scale_f32 v2, vcc_lo, 1.0, v16, 1.0
	v_mul_f32_e32 v3, v2, v1
	v_fma_f32 v4, -v0, v3, v2
	v_fmac_f32_e32 v3, v4, v1
	v_fma_f32 v0, -v0, v3, v2
	v_div_fmas_f32 v0, v0, v1, v3
	v_div_fixup_f32 v2, v0, v16, 1.0
.LBB80_116:
	v_add_nc_u32_e32 v0, s4, v27
	v_mov_b32_e32 v4, 0
	v_cvt_f32_f16_sdwa v5, v51 dst_sel:DWORD dst_unused:UNUSED_PAD src0_sel:WORD_1
	v_cvt_f32_f16_e32 v6, v50
	v_cvt_f32_f16_sdwa v7, v50 dst_sel:DWORD dst_unused:UNUSED_PAD src0_sel:WORD_1
	v_mad_u64_u32 v[0:1], null, v0, s3, s[0:1]
	v_mad_u64_u32 v[0:1], null, s1, v0, s[28:29]
	v_cvt_f32_f16_e32 v1, v51
	v_lshl_add_u32 v3, v0, 7, v38
	v_lshlrev_b64 v[9:10], 2, v[3:4]
	v_mul_f32_e32 v3, v2, v1
	v_mul_f32_e32 v4, v2, v5
	v_mul_f32_e32 v5, v2, v6
	v_mul_f32_e32 v6, v2, v7
	v_add_co_u32 v1, vcc_lo, s20, v9
	v_add_co_ci_u32_e64 v2, null, s21, v10, vcc_lo
	global_store_dwordx4 v[1:2], v[3:6], off
	s_and_b32 exec_lo, exec_lo, s5
	s_cbranch_execz .LBB80_78
; %bb.117:
	v_ashrrev_i32_e32 v1, 31, v0
	v_mov_b32_e32 v23, v8
	v_lshlrev_b64 v[0:1], 3, v[0:1]
	v_add_co_u32 v0, vcc_lo, s22, v0
	v_add_co_ci_u32_e64 v1, null, s23, v1, vcc_lo
	global_store_dwordx2 v[0:1], v[23:24], off
	s_endpgm
	.section	.rodata,"a",@progbits
	.p2align	6, 0x0
	.amdhsa_kernel _ZL15flash_attn_tileILi128ELi128ELi32ELi2ELb1EEvPKcS1_S1_S1_S1_PKiPfP15HIP_vector_typeIfLj2EEffffjfiS5_IjLj3EEiiiiiiiiiiiliiliiiiil
		.amdhsa_group_segment_fixed_size 33792
		.amdhsa_private_segment_fixed_size 0
		.amdhsa_kernarg_size 464
		.amdhsa_user_sgpr_count 6
		.amdhsa_user_sgpr_private_segment_buffer 1
		.amdhsa_user_sgpr_dispatch_ptr 0
		.amdhsa_user_sgpr_queue_ptr 0
		.amdhsa_user_sgpr_kernarg_segment_ptr 1
		.amdhsa_user_sgpr_dispatch_id 0
		.amdhsa_user_sgpr_flat_scratch_init 0
		.amdhsa_user_sgpr_private_segment_size 0
		.amdhsa_wavefront_size32 1
		.amdhsa_uses_dynamic_stack 0
		.amdhsa_system_sgpr_private_segment_wavefront_offset 0
		.amdhsa_system_sgpr_workgroup_id_x 1
		.amdhsa_system_sgpr_workgroup_id_y 1
		.amdhsa_system_sgpr_workgroup_id_z 1
		.amdhsa_system_sgpr_workgroup_info 0
		.amdhsa_system_vgpr_workitem_id 1
		.amdhsa_next_free_vgpr 178
		.amdhsa_next_free_sgpr 43
		.amdhsa_reserve_vcc 1
		.amdhsa_reserve_flat_scratch 0
		.amdhsa_float_round_mode_32 0
		.amdhsa_float_round_mode_16_64 0
		.amdhsa_float_denorm_mode_32 3
		.amdhsa_float_denorm_mode_16_64 3
		.amdhsa_dx10_clamp 1
		.amdhsa_ieee_mode 1
		.amdhsa_fp16_overflow 0
		.amdhsa_workgroup_processor_mode 1
		.amdhsa_memory_ordered 1
		.amdhsa_forward_progress 1
		.amdhsa_shared_vgpr_count 0
		.amdhsa_exception_fp_ieee_invalid_op 0
		.amdhsa_exception_fp_denorm_src 0
		.amdhsa_exception_fp_ieee_div_zero 0
		.amdhsa_exception_fp_ieee_overflow 0
		.amdhsa_exception_fp_ieee_underflow 0
		.amdhsa_exception_fp_ieee_inexact 0
		.amdhsa_exception_int_div_zero 0
	.end_amdhsa_kernel
	.section	.text._ZL15flash_attn_tileILi128ELi128ELi32ELi2ELb1EEvPKcS1_S1_S1_S1_PKiPfP15HIP_vector_typeIfLj2EEffffjfiS5_IjLj3EEiiiiiiiiiiiliiliiiiil,"axG",@progbits,_ZL15flash_attn_tileILi128ELi128ELi32ELi2ELb1EEvPKcS1_S1_S1_S1_PKiPfP15HIP_vector_typeIfLj2EEffffjfiS5_IjLj3EEiiiiiiiiiiiliiliiiiil,comdat
.Lfunc_end80:
	.size	_ZL15flash_attn_tileILi128ELi128ELi32ELi2ELb1EEvPKcS1_S1_S1_S1_PKiPfP15HIP_vector_typeIfLj2EEffffjfiS5_IjLj3EEiiiiiiiiiiiliiliiiiil, .Lfunc_end80-_ZL15flash_attn_tileILi128ELi128ELi32ELi2ELb1EEvPKcS1_S1_S1_S1_PKiPfP15HIP_vector_typeIfLj2EEffffjfiS5_IjLj3EEiiiiiiiiiiiliiliiiiil
                                        ; -- End function
	.set _ZL15flash_attn_tileILi128ELi128ELi32ELi2ELb1EEvPKcS1_S1_S1_S1_PKiPfP15HIP_vector_typeIfLj2EEffffjfiS5_IjLj3EEiiiiiiiiiiiliiliiiiil.num_vgpr, 178
	.set _ZL15flash_attn_tileILi128ELi128ELi32ELi2ELb1EEvPKcS1_S1_S1_S1_PKiPfP15HIP_vector_typeIfLj2EEffffjfiS5_IjLj3EEiiiiiiiiiiiliiliiiiil.num_agpr, 0
	.set _ZL15flash_attn_tileILi128ELi128ELi32ELi2ELb1EEvPKcS1_S1_S1_S1_PKiPfP15HIP_vector_typeIfLj2EEffffjfiS5_IjLj3EEiiiiiiiiiiiliiliiiiil.numbered_sgpr, 43
	.set _ZL15flash_attn_tileILi128ELi128ELi32ELi2ELb1EEvPKcS1_S1_S1_S1_PKiPfP15HIP_vector_typeIfLj2EEffffjfiS5_IjLj3EEiiiiiiiiiiiliiliiiiil.num_named_barrier, 0
	.set _ZL15flash_attn_tileILi128ELi128ELi32ELi2ELb1EEvPKcS1_S1_S1_S1_PKiPfP15HIP_vector_typeIfLj2EEffffjfiS5_IjLj3EEiiiiiiiiiiiliiliiiiil.private_seg_size, 0
	.set _ZL15flash_attn_tileILi128ELi128ELi32ELi2ELb1EEvPKcS1_S1_S1_S1_PKiPfP15HIP_vector_typeIfLj2EEffffjfiS5_IjLj3EEiiiiiiiiiiiliiliiiiil.uses_vcc, 1
	.set _ZL15flash_attn_tileILi128ELi128ELi32ELi2ELb1EEvPKcS1_S1_S1_S1_PKiPfP15HIP_vector_typeIfLj2EEffffjfiS5_IjLj3EEiiiiiiiiiiiliiliiiiil.uses_flat_scratch, 0
	.set _ZL15flash_attn_tileILi128ELi128ELi32ELi2ELb1EEvPKcS1_S1_S1_S1_PKiPfP15HIP_vector_typeIfLj2EEffffjfiS5_IjLj3EEiiiiiiiiiiiliiliiiiil.has_dyn_sized_stack, 0
	.set _ZL15flash_attn_tileILi128ELi128ELi32ELi2ELb1EEvPKcS1_S1_S1_S1_PKiPfP15HIP_vector_typeIfLj2EEffffjfiS5_IjLj3EEiiiiiiiiiiiliiliiiiil.has_recursion, 0
	.set _ZL15flash_attn_tileILi128ELi128ELi32ELi2ELb1EEvPKcS1_S1_S1_S1_PKiPfP15HIP_vector_typeIfLj2EEffffjfiS5_IjLj3EEiiiiiiiiiiiliiliiiiil.has_indirect_call, 0
	.section	.AMDGPU.csdata,"",@progbits
; Kernel info:
; codeLenInByte = 51540
; TotalNumSgprs: 45
; NumVgprs: 178
; ScratchSize: 0
; MemoryBound: 0
; FloatMode: 240
; IeeeMode: 1
; LDSByteSize: 33792 bytes/workgroup (compile time only)
; SGPRBlocks: 0
; VGPRBlocks: 22
; NumSGPRsForWavesPerEU: 45
; NumVGPRsForWavesPerEU: 178
; Occupancy: 5
; WaveLimiterHint : 1
; COMPUTE_PGM_RSRC2:SCRATCH_EN: 0
; COMPUTE_PGM_RSRC2:USER_SGPR: 6
; COMPUTE_PGM_RSRC2:TRAP_HANDLER: 0
; COMPUTE_PGM_RSRC2:TGID_X_EN: 1
; COMPUTE_PGM_RSRC2:TGID_Y_EN: 1
; COMPUTE_PGM_RSRC2:TGID_Z_EN: 1
; COMPUTE_PGM_RSRC2:TIDIG_COMP_CNT: 1
	.section	.text._ZL15flash_attn_tileILi128ELi128ELi16ELi2ELb1EEvPKcS1_S1_S1_S1_PKiPfP15HIP_vector_typeIfLj2EEffffjfiS5_IjLj3EEiiiiiiiiiiiliiliiiiil,"axG",@progbits,_ZL15flash_attn_tileILi128ELi128ELi16ELi2ELb1EEvPKcS1_S1_S1_S1_PKiPfP15HIP_vector_typeIfLj2EEffffjfiS5_IjLj3EEiiiiiiiiiiiliiliiiiil,comdat
	.globl	_ZL15flash_attn_tileILi128ELi128ELi16ELi2ELb1EEvPKcS1_S1_S1_S1_PKiPfP15HIP_vector_typeIfLj2EEffffjfiS5_IjLj3EEiiiiiiiiiiiliiliiiiil ; -- Begin function _ZL15flash_attn_tileILi128ELi128ELi16ELi2ELb1EEvPKcS1_S1_S1_S1_PKiPfP15HIP_vector_typeIfLj2EEffffjfiS5_IjLj3EEiiiiiiiiiiiliiliiiiil
	.p2align	8
	.type	_ZL15flash_attn_tileILi128ELi128ELi16ELi2ELb1EEvPKcS1_S1_S1_S1_PKiPfP15HIP_vector_typeIfLj2EEffffjfiS5_IjLj3EEiiiiiiiiiiiliiliiiiil,@function
_ZL15flash_attn_tileILi128ELi128ELi16ELi2ELb1EEvPKcS1_S1_S1_S1_PKiPfP15HIP_vector_typeIfLj2EEffffjfiS5_IjLj3EEiiiiiiiiiiiliiliiiiil: ; @_ZL15flash_attn_tileILi128ELi128ELi16ELi2ELb1EEvPKcS1_S1_S1_S1_PKiPfP15HIP_vector_typeIfLj2EEffffjfiS5_IjLj3EEiiiiiiiiiiiliiliiiiil
; %bb.0:
	s_clause 0x1
	s_load_dwordx4 s[0:3], s[4:5], 0x5c
	s_load_dwordx2 s[34:35], s[4:5], 0x80
	s_mov_b32 s28, s7
	s_mov_b64 s[36:37], 0
	s_waitcnt lgkmcnt(0)
	s_lshr_b32 s7, s3, 31
	s_add_i32 s7, s3, s7
	s_ashr_i32 s7, s7, 1
	v_cvt_f32_u32_e32 v2, s7
	s_sub_i32 s10, 0, s7
	v_rcp_iflag_f32_e32 v2, v2
	v_mul_f32_e32 v2, 0x4f7ffffe, v2
	v_cvt_u32_f32_e32 v2, v2
	v_readfirstlane_b32 s9, v2
	s_mul_i32 s10, s10, s9
	s_mul_hi_u32 s10, s9, s10
	s_add_i32 s9, s9, s10
	s_mul_hi_u32 s9, s8, s9
	s_mul_i32 s10, s9, s7
	s_add_i32 s11, s9, 1
	s_sub_i32 s10, s8, s10
	s_sub_i32 s12, s10, s7
	s_cmp_ge_u32 s10, s7
	s_cselect_b32 s9, s11, s9
	s_cselect_b32 s10, s12, s10
	s_add_i32 s11, s9, 1
	s_cmp_ge_u32 s10, s7
	s_cselect_b32 s7, s11, s9
	s_abs_i32 s9, s35
	s_lshl_b32 s8, s8, 1
	v_cvt_f32_u32_e32 v2, s9
	s_sub_i32 s11, 0, s9
	s_mul_i32 s12, s7, s3
	s_abs_i32 s13, s3
	s_sub_i32 s30, s8, s12
	v_rcp_iflag_f32_e32 v2, v2
	v_mul_f32_e32 v2, 0x4f7ffffe, v2
	v_cvt_u32_f32_e32 v2, v2
	v_readfirstlane_b32 s10, v2
	s_mul_i32 s11, s11, s10
	s_mul_hi_u32 s11, s10, s11
	s_add_i32 s10, s10, s11
	s_mul_hi_u32 s8, s13, s10
	s_xor_b32 s10, s3, s35
	s_mul_i32 s11, s8, s9
	s_ashr_i32 s10, s10, 31
	s_sub_i32 s11, s13, s11
	s_add_i32 s12, s8, 1
	s_sub_i32 s13, s11, s9
	s_cmp_ge_u32 s11, s9
	s_cselect_b32 s8, s12, s8
	s_cselect_b32 s11, s13, s11
	s_add_i32 s12, s8, 1
	s_cmp_ge_u32 s11, s9
	s_cselect_b32 s8, s12, s8
	s_xor_b32 s8, s8, s10
	s_sub_i32 s31, s8, s10
	s_clause 0x1
	s_load_dwordx16 s[8:23], s[4:5], 0x0
	s_load_dwordx2 s[38:39], s[4:5], 0xb8
	s_abs_i32 s29, s31
	v_cvt_f32_u32_e32 v2, s29
	v_rcp_iflag_f32_e32 v2, v2
	v_mul_f32_e32 v2, 0x4f7ffffe, v2
	s_waitcnt lgkmcnt(0)
	s_cmp_eq_u64 s[14:15], 0
	v_cvt_u32_f32_e32 v2, v2
	v_readfirstlane_b32 s33, v2
	s_cbranch_scc1 .LBB81_2
; %bb.1:
	s_abs_i32 s26, s38
	s_abs_i32 s27, s7
	v_cvt_f32_u32_e32 v2, s26
	s_sub_i32 s25, 0, s26
	v_rcp_iflag_f32_e32 v2, v2
	v_mul_f32_e32 v2, 0x4f7ffffe, v2
	v_cvt_u32_f32_e32 v2, v2
	v_readfirstlane_b32 s24, v2
	s_mul_i32 s25, s25, s24
	s_mul_hi_u32 s25, s24, s25
	s_add_i32 s24, s24, s25
	s_mul_hi_u32 s35, s27, s24
	s_load_dwordx2 s[24:25], s[4:5], 0xc8
	s_mul_i32 s35, s35, s26
	s_sub_i32 s27, s27, s35
	s_ashr_i32 s35, s7, 31
	s_sub_i32 s36, s27, s26
	s_cmp_ge_u32 s27, s26
	s_cselect_b32 s27, s36, s27
	s_sub_i32 s36, s27, s26
	s_cmp_ge_u32 s27, s26
	s_cselect_b32 s26, s36, s27
	s_xor_b32 s26, s26, s35
	s_sub_i32 s26, s26, s35
	s_ashr_i32 s27, s26, 31
	s_waitcnt lgkmcnt(0)
	s_mul_hi_u32 s35, s24, s26
	s_mul_i32 s27, s24, s27
	s_mul_i32 s25, s25, s26
	s_add_i32 s27, s35, s27
	s_mul_i32 s24, s24, s26
	s_add_i32 s27, s27, s25
	s_add_u32 s36, s14, s24
	s_addc_u32 s37, s15, s27
.LBB81_2:
	v_lshlrev_b32_e32 v2, 2, v1
	v_lshlrev_b32_e32 v45, 1, v1
	s_lshl_b32 s14, s6, 4
	s_load_dwordx4 s[24:27], s[4:5], 0x70
	v_lshlrev_b32_e32 v16, 4, v0
	v_or_b32_e32 v20, 2, v2
	v_or_b32_e32 v21, 3, v2
	v_add_nc_u32_e32 v46, s14, v45
	v_lshlrev_b32_e32 v48, 3, v0
	v_lshlrev_b32_e32 v1, 10, v1
	v_lshrrev_b32_e32 v43, 1, v20
	v_lshrrev_b32_e32 v41, 1, v21
	v_mul_hi_u32 v3, v46, s0
	v_or_b32_e32 v22, 0x6800, v48
	v_add_nc_u32_e32 v44, s14, v43
	v_add_nc_u32_e32 v42, s14, v41
	;; [unrolled: 1-line block ×3, first 2 shown]
	v_lshl_add_u32 v20, v20, 8, v22
	v_mul_hi_u32 v4, v44, s0
	v_mul_hi_u32 v5, v42, s0
	v_add_nc_u32_e32 v3, v46, v3
	s_waitcnt lgkmcnt(0)
	s_mul_i32 s15, s7, s26
	s_mul_i32 s27, s30, s25
	s_ashr_i32 s35, s15, 31
	s_add_u32 s8, s8, s15
	v_lshrrev_b32_e32 v3, s1, v3
	v_add_nc_u32_e32 v4, v44, v4
	v_add_nc_u32_e32 v5, v42, v5
	s_addc_u32 s9, s9, s35
	s_ashr_i32 s15, s27, 31
	v_mul_lo_u32 v3, v3, s2
	v_lshrrev_b32_e32 v4, s1, v4
	v_lshrrev_b32_e32 v5, s1, v5
	s_add_u32 s35, s8, s27
	s_mov_b32 s26, s24
	s_addc_u32 s15, s9, s15
	v_mul_lo_u32 v6, v4, s2
	v_mul_lo_u32 v7, v5, s2
	v_sub_nc_u32_e32 v3, v46, v3
	s_ashr_i32 s27, s24, 31
	v_lshl_add_u32 v21, v21, 8, v22
	s_lshr_b64 s[8:9], s[26:27], 2
	s_lshr_b32 s9, s27, 2
	v_mad_u64_u32 v[4:5], null, s8, v3, 0
	v_sub_nc_u32_e32 v12, v44, v6
	v_sub_nc_u32_e32 v13, v42, v7
	v_mad_u64_u32 v[6:7], null, s8, v12, 0
	v_mad_u64_u32 v[8:9], null, s8, v13, 0
	s_ashr_i32 s8, s25, 31
	v_mad_u64_u32 v[10:11], null, s9, v3, v[5:6]
	v_mov_b32_e32 v5, v10
	v_mad_u64_u32 v[10:11], null, s9, v12, v[7:8]
	v_lshlrev_b64 v[4:5], 2, v[4:5]
	v_mad_u64_u32 v[11:12], null, s9, v13, v[9:10]
	s_and_b32 s9, s25, -4
	v_mov_b32_e32 v7, v10
	s_add_u32 s9, s35, s9
	v_add_co_u32 v10, vcc_lo, s35, v4
	s_addc_u32 s8, s15, s8
	v_mov_b32_e32 v9, v11
	v_add_co_ci_u32_e64 v11, null, s15, v5, vcc_lo
	v_add_co_u32 v14, vcc_lo, s9, v4
	v_add_co_ci_u32_e64 v15, null, s8, v5, vcc_lo
	v_add_co_u32 v4, vcc_lo, v10, v16
	v_lshlrev_b64 v[12:13], 2, v[6:7]
	v_add_co_ci_u32_e64 v5, null, 0, v11, vcc_lo
	v_add_co_u32 v10, vcc_lo, v14, v16
	v_add_co_ci_u32_e64 v11, null, 0, v15, vcc_lo
	v_lshlrev_b64 v[14:15], 2, v[8:9]
	v_add_co_u32 v12, vcc_lo, s35, v12
	s_clause 0x1
	global_load_dwordx4 v[4:7], v[4:5], off
	global_load_dwordx4 v[8:11], v[10:11], off
	v_add_co_ci_u32_e64 v13, null, s15, v13, vcc_lo
	v_add_co_u32 v14, vcc_lo, s9, v14
	v_add_co_ci_u32_e64 v15, null, s8, v15, vcc_lo
	v_add_co_u32 v12, vcc_lo, v12, v16
	;; [unrolled: 2-line block ×3, first 2 shown]
	v_add_co_ci_u32_e64 v17, null, 0, v15, vcc_lo
	s_clause 0x1
	global_load_dwordx4 v[12:15], v[12:13], off
	global_load_dwordx4 v[16:19], v[16:17], off
	s_load_dword s8, s[4:5], 0x40
	s_cmp_eq_u64 s[18:19], 0
	s_waitcnt vmcnt(3) lgkmcnt(0)
	v_fma_mixlo_f16 v4, s8, v4, 0
	v_fma_mixlo_f16 v5, s8, v5, 0
	v_fma_mixlo_f16 v6, s8, v6, 0
	v_fma_mixlo_f16 v7, s8, v7, 0
	s_waitcnt vmcnt(2)
	v_fma_mixlo_f16 v8, s8, v8, 0
	v_fma_mixlo_f16 v9, s8, v9, 0
	;; [unrolled: 1-line block ×4, first 2 shown]
	v_lshlrev_b32_e32 v5, 16, v5
	v_and_b32_e32 v4, 0xffff, v4
	v_lshlrev_b32_e32 v7, 16, v7
	v_and_b32_e32 v6, 0xffff, v6
	;; [unrolled: 2-line block ×4, first 2 shown]
	v_or_b32_e32 v4, v5, v4
	v_or3_b32 v5, v7, v6, 0
	v_or_b32_e32 v6, v9, v8
	s_waitcnt vmcnt(1)
	v_fma_mixlo_f16 v8, s8, v12, 0
	v_fma_mixlo_f16 v9, s8, v13, 0
	s_waitcnt vmcnt(0)
	v_fma_mixlo_f16 v12, s8, v16, 0
	v_fma_mixlo_f16 v13, s8, v17, 0
	v_or3_b32 v7, v11, v10, 0
	v_fma_mixlo_f16 v10, s8, v14, 0
	v_fma_mixlo_f16 v11, s8, v15, 0
	v_lshlrev_b32_e32 v9, 16, v9
	v_and_b32_e32 v8, 0xffff, v8
	v_fma_mixlo_f16 v14, s8, v18, 0
	v_fma_mixlo_f16 v15, s8, v19, 0
	v_lshlrev_b32_e32 v13, 16, v13
	v_and_b32_e32 v12, 0xffff, v12
	v_lshlrev_b32_e32 v11, 16, v11
	v_and_b32_e32 v10, 0xffff, v10
	v_or_b32_e32 v8, v9, v8
	v_lshlrev_b32_e32 v15, 16, v15
	v_and_b32_e32 v14, 0xffff, v14
	v_or_b32_e32 v12, v13, v12
	v_or3_b32 v4, 0, 0, v4
	v_or3_b32 v6, 0, 0, v6
	;; [unrolled: 1-line block ×6, first 2 shown]
	ds_write2_b64 v23, v[4:5], v[6:7] offset1:32
	ds_write_b64 v20, v[8:9]
	ds_write_b64 v21, v[10:11]
	s_waitcnt lgkmcnt(0)
	s_barrier
	buffer_gl0_inv
	s_cbranch_scc1 .LBB81_4
; %bb.3:
	s_load_dword s8, s[4:5], 0xd0
	s_mov_b32 s9, 0
	s_waitcnt lgkmcnt(0)
	s_mul_i32 s8, s8, s7
	s_add_i32 s8, s8, s6
	s_lshl_b64 s[8:9], s[8:9], 2
	s_add_u32 s8, s18, s8
	s_addc_u32 s9, s19, s9
	s_load_dword s34, s[8:9], 0x0
.LBB81_4:
	v_mbcnt_lo_u32_b32 v49, -1, 0
	s_lshl_b32 s6, s28, 7
	s_waitcnt lgkmcnt(0)
	s_cmp_lt_i32 s6, s34
	s_cbranch_scc1 .LBB81_7
; %bb.5:
	v_mbcnt_lo_u32_b32 v7, -1, 0
	v_mov_b32_e32 v50, 32
	v_xor_b32_e32 v82, 16, v7
	v_xor_b32_e32 v81, 8, v7
	;; [unrolled: 1-line block ×5, first 2 shown]
	v_lshlrev_b32_e32 v47, 2, v0
	s_cbranch_execz .LBB81_8
; %bb.6:
	v_mov_b32_e32 v71, 0
	v_mov_b32_e32 v5, 0
	v_mov_b32_e32 v4, 0xfeffffff
	v_mov_b32_e32 v3, 0xfeffffff
	v_mov_b32_e32 v2, 0xfeffffff
	v_mov_b32_e32 v1, 0xfeffffff
	v_mov_b32_e32 v6, 0
	v_mov_b32_e32 v84, 0
	v_mov_b32_e32 v83, 0
	v_mov_b32_e32 v72, 0
	v_mov_b32_e32 v69, 0
	v_mov_b32_e32 v70, 0
	v_mov_b32_e32 v23, 0
	v_mov_b32_e32 v24, 0
	v_mov_b32_e32 v22, 0
	v_mov_b32_e32 v21, 0
	s_branch .LBB81_76
.LBB81_7:
                                        ; implicit-def: $vgpr7
                                        ; implicit-def: $vgpr50
                                        ; implicit-def: $vgpr82
                                        ; implicit-def: $vgpr81
                                        ; implicit-def: $vgpr80
                                        ; implicit-def: $vgpr79
                                        ; implicit-def: $vgpr78
	v_lshlrev_b32_e32 v47, 2, v0
.LBB81_8:
	s_clause 0x1
	s_load_dwordx4 s[24:27], s[4:5], 0x98
	s_load_dwordx2 s[18:19], s[4:5], 0x8c
	s_sub_i32 s8, 0, s29
	s_ashr_i32 s41, s7, 31
	s_mul_i32 s8, s8, s33
	s_abs_i32 s15, s30
	s_mul_hi_u32 s8, s33, s8
	s_ashr_i32 s35, s30, 31
	s_add_i32 s33, s33, s8
	s_ashr_i32 s31, s31, 31
	s_mul_hi_u32 s33, s15, s33
	s_ashr_i32 s40, s39, 1
	s_load_dwordx2 s[38:39], s[4:5], 0xa8
	s_mul_i32 s42, s33, s29
	v_lshrrev_b32_e32 v4, 3, v0
	v_and_b32_e32 v8, 28, v47
	v_add3_u32 v9, s14, v45, 1
	v_and_b32_e32 v20, 60, v47
	v_mul_lo_u32 v57, v3, s40
	v_add_nc_u32_e32 v2, v4, v2
	s_waitcnt lgkmcnt(0)
	s_ashr_i32 s8, s26, 2
	s_ashr_i32 s9, s18, 2
	s_mul_hi_u32 s18, s24, s7
	s_mul_i32 s26, s24, s41
	s_mul_i32 s25, s25, s7
	s_add_i32 s18, s18, s26
	s_mul_i32 s24, s24, s7
	s_add_i32 s18, s18, s25
	s_add_u32 s24, s10, s24
	s_addc_u32 s18, s11, s18
	s_sub_i32 s10, s15, s42
	s_xor_b32 s11, s35, s31
	s_add_i32 s15, s33, 1
	s_sub_i32 s25, s10, s29
	s_cmp_ge_u32 s10, s29
	v_lshlrev_b32_e32 v5, 2, v8
	s_cselect_b32 s15, s15, s33
	s_cselect_b32 s10, s25, s10
	s_add_i32 s25, s15, 1
	s_cmp_ge_u32 s10, s29
	s_load_dword s10, s[4:5], 0x54
	s_cselect_b32 s15, s25, s15
	s_mul_hi_u32 s25, s38, s7
	s_xor_b32 s15, s15, s11
	s_mul_i32 s29, s38, s41
	s_sub_i32 s26, s15, s11
	v_mul_hi_u32 v7, s0, v9
	s_mul_i32 s11, s26, s19
	s_mul_i32 s19, s39, s7
	s_ashr_i32 s15, s11, 31
	s_add_u32 s11, s24, s11
	s_addc_u32 s15, s18, s15
	s_add_i32 s18, s25, s29
	v_mul_lo_u32 v4, s9, v2
	s_mul_i32 s24, s38, s7
	s_add_i32 s18, s18, s19
	s_mul_i32 s26, s26, s27
	v_mad_u32_u24 v51, 0x90, v2, v5
	v_lshrrev_b32_e32 v2, 4, v0
	s_add_u32 s12, s12, s24
	s_addc_u32 s13, s13, s18
	s_ashr_i32 s18, s26, 31
	s_add_u32 s12, s12, s26
	s_addc_u32 s13, s13, s18
	s_lshl_b32 s0, s9, 5
	v_add_nc_u32_e32 v11, v9, v7
	v_add_nc_u32_e32 v15, v2, v45
	;; [unrolled: 1-line block ×3, first 2 shown]
	v_lshlrev_b32_e32 v17, 2, v20
	v_ashrrev_i32_e32 v5, 31, v4
	v_lshrrev_b32_e32 v13, s1, v11
	v_mul_lo_u32 v2, s8, v15
	v_add_nc_u32_e32 v10, s0, v6
	v_ashrrev_i32_e32 v7, 31, v6
	v_lshl_or_b32 v58, v15, 8, v17
	v_mul_lo_u32 v16, v13, s2
	v_lshlrev_b64 v[25:26], 2, v[4:5]
	v_add_nc_u32_e32 v12, s0, v10
	s_lshl_b32 s0, s8, 4
	v_ashrrev_i32_e32 v11, 31, v10
	v_add_nc_u32_e32 v14, s0, v2
	v_ashrrev_i32_e32 v3, 31, v2
	v_ashrrev_i32_e32 v13, 31, v12
	v_sub_nc_u32_e32 v9, v9, v16
	v_lshlrev_b64 v[27:28], 2, v[6:7]
	v_add_nc_u32_e32 v16, s0, v14
	v_ashrrev_i32_e32 v15, 31, v14
	v_lshlrev_b64 v[29:30], 2, v[10:11]
	v_mul_lo_u32 v59, v9, s40
	v_lshlrev_b64 v[31:32], 2, v[12:13]
	v_add_nc_u32_e32 v18, s0, v16
	v_ashrrev_i32_e32 v17, 31, v16
	v_lshlrev_b64 v[33:34], 2, v[2:3]
	v_lshlrev_b64 v[35:36], 2, v[14:15]
	v_mov_b32_e32 v21, 0
	v_ashrrev_i32_e32 v19, 31, v18
	v_lshlrev_b64 v[37:38], 2, v[16:17]
	v_add_nc_u32_e32 v52, 0x1200, v51
	v_add_nc_u32_e32 v53, 0x2400, v51
	;; [unrolled: 1-line block ×3, first 2 shown]
	v_lshlrev_b64 v[39:40], 2, v[18:19]
	v_add_nc_u32_e32 v55, 0x6800, v1
	v_mul_u32_u24_e32 v56, 0x90, v0
	v_add_nc_u32_e32 v60, 0x4800, v1
	v_add_nc_u32_e32 v61, 0x1000, v58
	;; [unrolled: 1-line block ×4, first 2 shown]
	v_mov_b32_e32 v9, 0xfeffffff
	v_lshlrev_b32_e32 v64, 2, v8
	v_mov_b32_e32 v50, 32
	v_lshlrev_b32_e32 v65, 2, v20
	v_mov_b32_e32 v66, 0x10001
	v_mov_b32_e32 v22, 0
	;; [unrolled: 1-line block ×15, first 2 shown]
	s_add_u32 s0, s4, 0xd0
	s_addc_u32 s1, s5, 0
	s_mov_b32 s18, 0xbbbac73d
.LBB81_9:                               ; =>This Inner Loop Header: Depth=1
	s_mul_hi_i32 s25, s6, s9
	s_mul_i32 s24, s6, s9
	v_mov_b32_e32 v78, 0
	s_lshl_b64 s[24:25], s[24:25], 2
	v_mov_b32_e32 v18, 0
	s_add_u32 s19, s11, s24
	s_addc_u32 s24, s15, s25
	v_add_co_u32 v1, vcc_lo, s19, v25
	v_add_co_ci_u32_e64 v2, null, s24, v26, vcc_lo
	v_add_co_u32 v3, vcc_lo, s19, v27
	v_add_co_ci_u32_e64 v4, null, s24, v28, vcc_lo
	;; [unrolled: 2-line block ×8, first 2 shown]
	s_clause 0x3
	global_load_dwordx4 v[10:13], v[1:2], off
	global_load_dwordx4 v[79:82], v[3:4], off
	;; [unrolled: 1-line block ×4, first 2 shown]
	v_mov_b32_e32 v14, 0
	v_mov_b32_e32 v19, 0
	v_mov_b32_e32 v15, 0
	v_mov_b32_e32 v20, 0
	v_mov_b32_e32 v16, 0
	v_mov_b32_e32 v17, 0
	s_waitcnt vmcnt(3)
	ds_write_b128 v51, v[10:13]
	s_waitcnt vmcnt(2)
	ds_write_b128 v52, v[79:82]
	;; [unrolled: 2-line block ×4, first 2 shown]
	s_waitcnt lgkmcnt(0)
	s_barrier
	buffer_gl0_inv
	ds_read_b128 v[84:87], v56
	ds_read_b128 v[88:91], v55
	ds_read_b128 v[92:95], v55 offset:256
	ds_read_b128 v[96:99], v55 offset:512
	;; [unrolled: 1-line block ×6, first 2 shown]
	s_waitcnt lgkmcnt(6)
	;;#ASMSTART
	v_dot2_f32_f16 v78, v84, v88, v78
	;;#ASMEND
	;;#ASMSTART
	v_dot2_f32_f16 v78, v85, v89, v78
	;;#ASMEND
	;; [unrolled: 3-line block ×4, first 2 shown]
	s_waitcnt lgkmcnt(5)
	;;#ASMSTART
	v_dot2_f32_f16 v18, v84, v92, v18
	;;#ASMEND
	;;#ASMSTART
	v_dot2_f32_f16 v18, v85, v93, v18
	;;#ASMEND
	;; [unrolled: 3-line block ×4, first 2 shown]
	s_waitcnt lgkmcnt(4)
	;;#ASMSTART
	v_dot2_f32_f16 v14, v84, v96, v14
	;;#ASMEND
	;;#ASMSTART
	v_dot2_f32_f16 v14, v85, v97, v14
	;;#ASMEND
	v_mov_b32_e32 v10, 0
	;;#ASMSTART
	v_dot2_f32_f16 v14, v86, v98, v14
	;;#ASMEND
	;;#ASMSTART
	v_dot2_f32_f16 v14, v87, v99, v14
	;;#ASMEND
	s_waitcnt lgkmcnt(3)
	;;#ASMSTART
	v_dot2_f32_f16 v10, v84, v100, v10
	;;#ASMEND
	;;#ASMSTART
	v_dot2_f32_f16 v10, v85, v101, v10
	;;#ASMEND
	v_mov_b32_e32 v79, 0
	;;#ASMSTART
	v_dot2_f32_f16 v10, v86, v102, v10
	;;#ASMEND
	;;#ASMSTART
	v_dot2_f32_f16 v10, v87, v103, v10
	;;#ASMEND
	s_waitcnt lgkmcnt(2)
	;;#ASMSTART
	v_dot2_f32_f16 v79, v104, v88, v79
	;;#ASMEND
	;;#ASMSTART
	v_dot2_f32_f16 v79, v105, v89, v79
	;;#ASMEND
	;; [unrolled: 3-line block ×10, first 2 shown]
	v_mov_b32_e32 v11, 0
	;;#ASMSTART
	v_dot2_f32_f16 v15, v106, v98, v15
	;;#ASMEND
	;;#ASMSTART
	v_dot2_f32_f16 v15, v107, v99, v15
	;;#ASMEND
	;; [unrolled: 3-line block ×4, first 2 shown]
	v_mov_b32_e32 v80, 0
	;;#ASMSTART
	v_dot2_f32_f16 v11, v106, v102, v11
	;;#ASMEND
	;;#ASMSTART
	v_dot2_f32_f16 v11, v107, v103, v11
	;;#ASMEND
	s_waitcnt lgkmcnt(1)
	;;#ASMSTART
	v_dot2_f32_f16 v80, v108, v88, v80
	;;#ASMEND
	;;#ASMSTART
	v_dot2_f32_f16 v80, v109, v89, v80
	;;#ASMEND
	;; [unrolled: 3-line block ×10, first 2 shown]
	v_mov_b32_e32 v12, 0
	;;#ASMSTART
	v_dot2_f32_f16 v16, v110, v98, v16
	;;#ASMEND
	;;#ASMSTART
	v_dot2_f32_f16 v16, v111, v99, v16
	;;#ASMEND
	;; [unrolled: 3-line block ×4, first 2 shown]
	v_mov_b32_e32 v81, 0
	;;#ASMSTART
	v_dot2_f32_f16 v12, v110, v102, v12
	;;#ASMEND
	;;#ASMSTART
	v_dot2_f32_f16 v12, v111, v103, v12
	;;#ASMEND
	s_waitcnt lgkmcnt(0)
	;;#ASMSTART
	v_dot2_f32_f16 v81, v112, v88, v81
	;;#ASMEND
	;;#ASMSTART
	v_dot2_f32_f16 v81, v113, v89, v81
	;;#ASMEND
	v_mov_b32_e32 v83, 0
	;;#ASMSTART
	v_dot2_f32_f16 v81, v114, v90, v81
	;;#ASMEND
	;;#ASMSTART
	v_dot2_f32_f16 v81, v115, v91, v81
	;;#ASMEND
	;; [unrolled: 3-line block ×8, first 2 shown]
	v_mov_b32_e32 v13, 0
	;;#ASMSTART
	v_dot2_f32_f16 v17, v114, v98, v17
	;;#ASMEND
	;;#ASMSTART
	v_dot2_f32_f16 v17, v115, v99, v17
	;;#ASMEND
	;; [unrolled: 3-line block ×6, first 2 shown]
	ds_read_b128 v[84:87], v56 offset:16
	ds_read_b128 v[88:91], v55 offset:16
	;; [unrolled: 1-line block ×8, first 2 shown]
	s_waitcnt lgkmcnt(6)
	;;#ASMSTART
	v_dot2_f32_f16 v78, v84, v88, v78
	;;#ASMEND
	;;#ASMSTART
	v_dot2_f32_f16 v78, v85, v89, v78
	;;#ASMEND
	;;#ASMSTART
	v_dot2_f32_f16 v78, v86, v90, v78
	;;#ASMEND
	;;#ASMSTART
	v_dot2_f32_f16 v78, v87, v91, v78
	;;#ASMEND
	s_waitcnt lgkmcnt(5)
	;;#ASMSTART
	v_dot2_f32_f16 v18, v84, v92, v18
	;;#ASMEND
	;;#ASMSTART
	v_dot2_f32_f16 v18, v85, v93, v18
	;;#ASMEND
	;;#ASMSTART
	v_dot2_f32_f16 v18, v86, v94, v18
	;;#ASMEND
	;;#ASMSTART
	v_dot2_f32_f16 v18, v87, v95, v18
	;;#ASMEND
	;; [unrolled: 13-line block ×5, first 2 shown]
	;;#ASMSTART
	v_dot2_f32_f16 v19, v104, v92, v19
	;;#ASMEND
	;;#ASMSTART
	v_dot2_f32_f16 v19, v105, v93, v19
	;;#ASMEND
	;; [unrolled: 3-line block ×12, first 2 shown]
	s_waitcnt lgkmcnt(1)
	;;#ASMSTART
	v_dot2_f32_f16 v80, v108, v88, v80
	;;#ASMEND
	;;#ASMSTART
	v_dot2_f32_f16 v80, v109, v89, v80
	;;#ASMEND
	;;#ASMSTART
	v_dot2_f32_f16 v80, v110, v90, v80
	;;#ASMEND
	;;#ASMSTART
	v_dot2_f32_f16 v80, v111, v91, v80
	;;#ASMEND
	;;#ASMSTART
	v_dot2_f32_f16 v20, v108, v92, v20
	;;#ASMEND
	;;#ASMSTART
	v_dot2_f32_f16 v20, v109, v93, v20
	;;#ASMEND
	;;#ASMSTART
	v_dot2_f32_f16 v20, v110, v94, v20
	;;#ASMEND
	;;#ASMSTART
	v_dot2_f32_f16 v20, v111, v95, v20
	;;#ASMEND
	;;#ASMSTART
	v_dot2_f32_f16 v16, v108, v96, v16
	;;#ASMEND
	;;#ASMSTART
	v_dot2_f32_f16 v16, v109, v97, v16
	;;#ASMEND
	;;#ASMSTART
	v_dot2_f32_f16 v16, v110, v98, v16
	;;#ASMEND
	;;#ASMSTART
	v_dot2_f32_f16 v16, v111, v99, v16
	;;#ASMEND
	;;#ASMSTART
	v_dot2_f32_f16 v12, v108, v100, v12
	;;#ASMEND
	;;#ASMSTART
	v_dot2_f32_f16 v12, v109, v101, v12
	;;#ASMEND
	;;#ASMSTART
	v_dot2_f32_f16 v12, v110, v102, v12
	;;#ASMEND
	;;#ASMSTART
	v_dot2_f32_f16 v12, v111, v103, v12
	;;#ASMEND
	s_waitcnt lgkmcnt(0)
	;;#ASMSTART
	v_dot2_f32_f16 v81, v112, v88, v81
	;;#ASMEND
	;;#ASMSTART
	v_dot2_f32_f16 v81, v113, v89, v81
	;;#ASMEND
	;; [unrolled: 3-line block ×16, first 2 shown]
	ds_read_b128 v[84:87], v56 offset:32
	ds_read_b128 v[88:91], v55 offset:32
	;; [unrolled: 1-line block ×8, first 2 shown]
	s_waitcnt lgkmcnt(6)
	;;#ASMSTART
	v_dot2_f32_f16 v78, v84, v88, v78
	;;#ASMEND
	;;#ASMSTART
	v_dot2_f32_f16 v78, v85, v89, v78
	;;#ASMEND
	;;#ASMSTART
	v_dot2_f32_f16 v78, v86, v90, v78
	;;#ASMEND
	;;#ASMSTART
	v_dot2_f32_f16 v78, v87, v91, v78
	;;#ASMEND
	s_waitcnt lgkmcnt(5)
	;;#ASMSTART
	v_dot2_f32_f16 v18, v84, v92, v18
	;;#ASMEND
	;;#ASMSTART
	v_dot2_f32_f16 v18, v85, v93, v18
	;;#ASMEND
	;;#ASMSTART
	v_dot2_f32_f16 v18, v86, v94, v18
	;;#ASMEND
	;;#ASMSTART
	v_dot2_f32_f16 v18, v87, v95, v18
	;;#ASMEND
	;; [unrolled: 13-line block ×5, first 2 shown]
	;;#ASMSTART
	v_dot2_f32_f16 v19, v104, v92, v19
	;;#ASMEND
	;;#ASMSTART
	v_dot2_f32_f16 v19, v105, v93, v19
	;;#ASMEND
	;; [unrolled: 3-line block ×12, first 2 shown]
	s_waitcnt lgkmcnt(1)
	;;#ASMSTART
	v_dot2_f32_f16 v80, v108, v88, v80
	;;#ASMEND
	;;#ASMSTART
	v_dot2_f32_f16 v80, v109, v89, v80
	;;#ASMEND
	;; [unrolled: 3-line block ×16, first 2 shown]
	s_waitcnt lgkmcnt(0)
	;;#ASMSTART
	v_dot2_f32_f16 v81, v112, v88, v81
	;;#ASMEND
	;;#ASMSTART
	v_dot2_f32_f16 v81, v113, v89, v81
	;;#ASMEND
	;; [unrolled: 3-line block ×16, first 2 shown]
	ds_read_b128 v[84:87], v56 offset:48
	ds_read_b128 v[88:91], v55 offset:48
	;; [unrolled: 1-line block ×8, first 2 shown]
	s_waitcnt lgkmcnt(6)
	;;#ASMSTART
	v_dot2_f32_f16 v78, v84, v88, v78
	;;#ASMEND
	;;#ASMSTART
	v_dot2_f32_f16 v78, v85, v89, v78
	;;#ASMEND
	;;#ASMSTART
	v_dot2_f32_f16 v78, v86, v90, v78
	;;#ASMEND
	;;#ASMSTART
	v_dot2_f32_f16 v78, v87, v91, v78
	;;#ASMEND
	s_waitcnt lgkmcnt(5)
	;;#ASMSTART
	v_dot2_f32_f16 v18, v84, v92, v18
	;;#ASMEND
	;;#ASMSTART
	v_dot2_f32_f16 v18, v85, v93, v18
	;;#ASMEND
	;;#ASMSTART
	v_dot2_f32_f16 v18, v86, v94, v18
	;;#ASMEND
	;;#ASMSTART
	v_dot2_f32_f16 v18, v87, v95, v18
	;;#ASMEND
	;; [unrolled: 13-line block ×5, first 2 shown]
	;;#ASMSTART
	v_dot2_f32_f16 v19, v104, v92, v19
	;;#ASMEND
	;;#ASMSTART
	v_dot2_f32_f16 v19, v105, v93, v19
	;;#ASMEND
	;; [unrolled: 3-line block ×12, first 2 shown]
	s_waitcnt lgkmcnt(1)
	;;#ASMSTART
	v_dot2_f32_f16 v80, v108, v88, v80
	;;#ASMEND
	;;#ASMSTART
	v_dot2_f32_f16 v80, v109, v89, v80
	;;#ASMEND
	;; [unrolled: 3-line block ×16, first 2 shown]
	s_waitcnt lgkmcnt(0)
	;;#ASMSTART
	v_dot2_f32_f16 v81, v112, v88, v81
	;;#ASMEND
	;;#ASMSTART
	v_dot2_f32_f16 v81, v113, v89, v81
	;;#ASMEND
	;; [unrolled: 3-line block ×16, first 2 shown]
	ds_read_b128 v[84:87], v56 offset:64
	ds_read_b128 v[88:91], v55 offset:64
	;; [unrolled: 1-line block ×8, first 2 shown]
	s_waitcnt lgkmcnt(6)
	;;#ASMSTART
	v_dot2_f32_f16 v78, v84, v88, v78
	;;#ASMEND
	;;#ASMSTART
	v_dot2_f32_f16 v78, v85, v89, v78
	;;#ASMEND
	;;#ASMSTART
	v_dot2_f32_f16 v78, v86, v90, v78
	;;#ASMEND
	;;#ASMSTART
	v_dot2_f32_f16 v78, v87, v91, v78
	;;#ASMEND
	s_waitcnt lgkmcnt(5)
	;;#ASMSTART
	v_dot2_f32_f16 v18, v84, v92, v18
	;;#ASMEND
	;;#ASMSTART
	v_dot2_f32_f16 v18, v85, v93, v18
	;;#ASMEND
	;;#ASMSTART
	v_dot2_f32_f16 v18, v86, v94, v18
	;;#ASMEND
	;;#ASMSTART
	v_dot2_f32_f16 v18, v87, v95, v18
	;;#ASMEND
	s_waitcnt lgkmcnt(4)
	;;#ASMSTART
	v_dot2_f32_f16 v14, v84, v96, v14
	;;#ASMEND
	;;#ASMSTART
	v_dot2_f32_f16 v14, v85, v97, v14
	;;#ASMEND
	;;#ASMSTART
	v_dot2_f32_f16 v14, v86, v98, v14
	;;#ASMEND
	;;#ASMSTART
	v_dot2_f32_f16 v14, v87, v99, v14
	;;#ASMEND
	s_waitcnt lgkmcnt(3)
	;;#ASMSTART
	v_dot2_f32_f16 v10, v84, v100, v10
	;;#ASMEND
	;;#ASMSTART
	v_dot2_f32_f16 v10, v85, v101, v10
	;;#ASMEND
	;;#ASMSTART
	v_dot2_f32_f16 v10, v86, v102, v10
	;;#ASMEND
	;;#ASMSTART
	v_dot2_f32_f16 v10, v87, v103, v10
	;;#ASMEND
	s_waitcnt lgkmcnt(2)
	;;#ASMSTART
	v_dot2_f32_f16 v79, v104, v88, v79
	;;#ASMEND
	;;#ASMSTART
	v_dot2_f32_f16 v79, v105, v89, v79
	;;#ASMEND
	;;#ASMSTART
	v_dot2_f32_f16 v79, v106, v90, v79
	;;#ASMEND
	;;#ASMSTART
	v_dot2_f32_f16 v79, v107, v91, v79
	;;#ASMEND
	;;#ASMSTART
	v_dot2_f32_f16 v19, v104, v92, v19
	;;#ASMEND
	;;#ASMSTART
	v_dot2_f32_f16 v19, v105, v93, v19
	;;#ASMEND
	;; [unrolled: 3-line block ×12, first 2 shown]
	s_waitcnt lgkmcnt(1)
	;;#ASMSTART
	v_dot2_f32_f16 v80, v108, v88, v80
	;;#ASMEND
	;;#ASMSTART
	v_dot2_f32_f16 v80, v109, v89, v80
	;;#ASMEND
	;; [unrolled: 3-line block ×16, first 2 shown]
	s_waitcnt lgkmcnt(0)
	;;#ASMSTART
	v_dot2_f32_f16 v81, v112, v88, v81
	;;#ASMEND
	;;#ASMSTART
	v_dot2_f32_f16 v81, v113, v89, v81
	;;#ASMEND
	;;#ASMSTART
	v_dot2_f32_f16 v81, v114, v90, v81
	;;#ASMEND
	;;#ASMSTART
	v_dot2_f32_f16 v81, v115, v91, v81
	;;#ASMEND
	;;#ASMSTART
	v_dot2_f32_f16 v83, v112, v92, v83
	;;#ASMEND
	;;#ASMSTART
	v_dot2_f32_f16 v83, v113, v93, v83
	;;#ASMEND
	;;#ASMSTART
	v_dot2_f32_f16 v83, v114, v94, v83
	;;#ASMEND
	;;#ASMSTART
	v_dot2_f32_f16 v83, v115, v95, v83
	;;#ASMEND
	;;#ASMSTART
	v_dot2_f32_f16 v17, v112, v96, v17
	;;#ASMEND
	;;#ASMSTART
	v_dot2_f32_f16 v17, v113, v97, v17
	;;#ASMEND
	;;#ASMSTART
	v_dot2_f32_f16 v17, v114, v98, v17
	;;#ASMEND
	;;#ASMSTART
	v_dot2_f32_f16 v17, v115, v99, v17
	;;#ASMEND
	;;#ASMSTART
	v_dot2_f32_f16 v13, v112, v100, v13
	;;#ASMEND
	;;#ASMSTART
	v_dot2_f32_f16 v13, v113, v101, v13
	;;#ASMEND
	;;#ASMSTART
	v_dot2_f32_f16 v13, v114, v102, v13
	;;#ASMEND
	;;#ASMSTART
	v_dot2_f32_f16 v13, v115, v103, v13
	;;#ASMEND
	ds_read_b128 v[84:87], v56 offset:80
	ds_read_b128 v[88:91], v55 offset:80
	;; [unrolled: 1-line block ×8, first 2 shown]
	s_waitcnt lgkmcnt(6)
	;;#ASMSTART
	v_dot2_f32_f16 v78, v84, v88, v78
	;;#ASMEND
	;;#ASMSTART
	v_dot2_f32_f16 v78, v85, v89, v78
	;;#ASMEND
	;;#ASMSTART
	v_dot2_f32_f16 v78, v86, v90, v78
	;;#ASMEND
	;;#ASMSTART
	v_dot2_f32_f16 v78, v87, v91, v78
	;;#ASMEND
	s_waitcnt lgkmcnt(5)
	;;#ASMSTART
	v_dot2_f32_f16 v18, v84, v92, v18
	;;#ASMEND
	;;#ASMSTART
	v_dot2_f32_f16 v18, v85, v93, v18
	;;#ASMEND
	;;#ASMSTART
	v_dot2_f32_f16 v18, v86, v94, v18
	;;#ASMEND
	;;#ASMSTART
	v_dot2_f32_f16 v18, v87, v95, v18
	;;#ASMEND
	;; [unrolled: 13-line block ×5, first 2 shown]
	;;#ASMSTART
	v_dot2_f32_f16 v19, v104, v92, v19
	;;#ASMEND
	;;#ASMSTART
	v_dot2_f32_f16 v19, v105, v93, v19
	;;#ASMEND
	;; [unrolled: 3-line block ×12, first 2 shown]
	s_waitcnt lgkmcnt(1)
	;;#ASMSTART
	v_dot2_f32_f16 v80, v108, v88, v80
	;;#ASMEND
	;;#ASMSTART
	v_dot2_f32_f16 v80, v109, v89, v80
	;;#ASMEND
	;; [unrolled: 3-line block ×16, first 2 shown]
	s_waitcnt lgkmcnt(0)
	;;#ASMSTART
	v_dot2_f32_f16 v81, v112, v88, v81
	;;#ASMEND
	;;#ASMSTART
	v_dot2_f32_f16 v81, v113, v89, v81
	;;#ASMEND
	;; [unrolled: 3-line block ×16, first 2 shown]
	ds_read_b128 v[84:87], v56 offset:96
	ds_read_b128 v[88:91], v55 offset:96
	;; [unrolled: 1-line block ×8, first 2 shown]
	s_waitcnt lgkmcnt(6)
	;;#ASMSTART
	v_dot2_f32_f16 v78, v84, v88, v78
	;;#ASMEND
	;;#ASMSTART
	v_dot2_f32_f16 v78, v85, v89, v78
	;;#ASMEND
	;;#ASMSTART
	v_dot2_f32_f16 v78, v86, v90, v78
	;;#ASMEND
	;;#ASMSTART
	v_dot2_f32_f16 v78, v87, v91, v78
	;;#ASMEND
	s_waitcnt lgkmcnt(5)
	;;#ASMSTART
	v_dot2_f32_f16 v18, v84, v92, v18
	;;#ASMEND
	;;#ASMSTART
	v_dot2_f32_f16 v18, v85, v93, v18
	;;#ASMEND
	;;#ASMSTART
	v_dot2_f32_f16 v18, v86, v94, v18
	;;#ASMEND
	;;#ASMSTART
	v_dot2_f32_f16 v18, v87, v95, v18
	;;#ASMEND
	;; [unrolled: 13-line block ×5, first 2 shown]
	;;#ASMSTART
	v_dot2_f32_f16 v19, v104, v92, v19
	;;#ASMEND
	;;#ASMSTART
	v_dot2_f32_f16 v19, v105, v93, v19
	;;#ASMEND
	;; [unrolled: 3-line block ×12, first 2 shown]
	s_waitcnt lgkmcnt(1)
	;;#ASMSTART
	v_dot2_f32_f16 v80, v108, v88, v80
	;;#ASMEND
	;;#ASMSTART
	v_dot2_f32_f16 v80, v109, v89, v80
	;;#ASMEND
	;; [unrolled: 3-line block ×16, first 2 shown]
	s_waitcnt lgkmcnt(0)
	;;#ASMSTART
	v_dot2_f32_f16 v81, v112, v88, v81
	;;#ASMEND
	;;#ASMSTART
	v_dot2_f32_f16 v81, v113, v89, v81
	;;#ASMEND
	;; [unrolled: 3-line block ×16, first 2 shown]
	ds_read_b128 v[84:87], v56 offset:112
	ds_read_b128 v[88:91], v55 offset:112
	;; [unrolled: 1-line block ×8, first 2 shown]
	s_waitcnt lgkmcnt(6)
	;;#ASMSTART
	v_dot2_f32_f16 v78, v84, v88, v78
	;;#ASMEND
	;;#ASMSTART
	v_dot2_f32_f16 v78, v85, v89, v78
	;;#ASMEND
	;;#ASMSTART
	v_dot2_f32_f16 v78, v86, v90, v78
	;;#ASMEND
	;;#ASMSTART
	v_dot2_f32_f16 v78, v87, v91, v78
	;;#ASMEND
	s_waitcnt lgkmcnt(5)
	;;#ASMSTART
	v_dot2_f32_f16 v18, v84, v92, v18
	;;#ASMEND
	;;#ASMSTART
	v_dot2_f32_f16 v18, v85, v93, v18
	;;#ASMEND
	;;#ASMSTART
	v_dot2_f32_f16 v18, v86, v94, v18
	;;#ASMEND
	;;#ASMSTART
	v_dot2_f32_f16 v18, v87, v95, v18
	;;#ASMEND
	;; [unrolled: 13-line block ×5, first 2 shown]
	;;#ASMSTART
	v_dot2_f32_f16 v19, v104, v92, v19
	;;#ASMEND
	;;#ASMSTART
	v_dot2_f32_f16 v19, v105, v93, v19
	;;#ASMEND
	;; [unrolled: 3-line block ×12, first 2 shown]
	s_waitcnt lgkmcnt(1)
	;;#ASMSTART
	v_dot2_f32_f16 v80, v108, v88, v80
	;;#ASMEND
	;;#ASMSTART
	v_dot2_f32_f16 v80, v109, v89, v80
	;;#ASMEND
	;; [unrolled: 3-line block ×16, first 2 shown]
	s_waitcnt lgkmcnt(0)
	;;#ASMSTART
	v_dot2_f32_f16 v81, v112, v88, v81
	;;#ASMEND
	;;#ASMSTART
	v_dot2_f32_f16 v81, v113, v89, v81
	;;#ASMEND
	;;#ASMSTART
	v_dot2_f32_f16 v81, v114, v90, v81
	;;#ASMEND
	;;#ASMSTART
	v_dot2_f32_f16 v81, v115, v91, v81
	;;#ASMEND
	;;#ASMSTART
	v_dot2_f32_f16 v83, v112, v92, v83
	;;#ASMEND
	;;#ASMSTART
	v_dot2_f32_f16 v83, v113, v93, v83
	;;#ASMEND
	;;#ASMSTART
	v_dot2_f32_f16 v83, v114, v94, v83
	;;#ASMEND
	;;#ASMSTART
	v_dot2_f32_f16 v83, v115, v95, v83
	;;#ASMEND
	;;#ASMSTART
	v_dot2_f32_f16 v17, v112, v96, v17
	;;#ASMEND
	;;#ASMSTART
	v_dot2_f32_f16 v17, v113, v97, v17
	;;#ASMEND
	;;#ASMSTART
	v_dot2_f32_f16 v17, v114, v98, v17
	;;#ASMEND
	;;#ASMSTART
	v_dot2_f32_f16 v17, v115, v99, v17
	;;#ASMEND
	;;#ASMSTART
	v_dot2_f32_f16 v13, v112, v100, v13
	;;#ASMEND
	;;#ASMSTART
	v_dot2_f32_f16 v13, v113, v101, v13
	;;#ASMEND
	;;#ASMSTART
	v_dot2_f32_f16 v13, v114, v102, v13
	;;#ASMEND
	;;#ASMSTART
	v_dot2_f32_f16 v13, v115, v103, v13
	;;#ASMEND
	s_barrier
	buffer_gl0_inv
	s_clause 0x3
	global_load_dwordx4 v[84:87], v[1:2], off offset:128
	global_load_dwordx4 v[1:4], v[3:4], off offset:128
	;; [unrolled: 1-line block ×4, first 2 shown]
	s_waitcnt vmcnt(3)
	ds_write_b128 v51, v[84:87]
	s_waitcnt vmcnt(2)
	ds_write_b128 v52, v[1:4]
	;; [unrolled: 2-line block ×4, first 2 shown]
	s_waitcnt lgkmcnt(0)
	s_barrier
	buffer_gl0_inv
	ds_read_b128 v[1:4], v56
	ds_read_b128 v[5:8], v55 offset:128
	ds_read_b128 v[84:87], v55 offset:384
	;; [unrolled: 1-line block ×7, first 2 shown]
	s_waitcnt lgkmcnt(6)
	;;#ASMSTART
	v_dot2_f32_f16 v78, v1, v5, v78
	;;#ASMEND
	;;#ASMSTART
	v_dot2_f32_f16 v78, v2, v6, v78
	;;#ASMEND
	;;#ASMSTART
	v_dot2_f32_f16 v78, v3, v7, v78
	;;#ASMEND
	;;#ASMSTART
	v_dot2_f32_f16 v78, v4, v8, v78
	;;#ASMEND
	s_waitcnt lgkmcnt(5)
	;;#ASMSTART
	v_dot2_f32_f16 v18, v1, v84, v18
	;;#ASMEND
	;;#ASMSTART
	v_dot2_f32_f16 v18, v2, v85, v18
	;;#ASMEND
	;;#ASMSTART
	v_dot2_f32_f16 v18, v3, v86, v18
	;;#ASMEND
	;;#ASMSTART
	v_dot2_f32_f16 v18, v4, v87, v18
	;;#ASMEND
	s_waitcnt lgkmcnt(4)
	;;#ASMSTART
	v_dot2_f32_f16 v14, v1, v88, v14
	;;#ASMEND
	;;#ASMSTART
	v_dot2_f32_f16 v14, v2, v89, v14
	;;#ASMEND
	;;#ASMSTART
	v_dot2_f32_f16 v14, v3, v90, v14
	;;#ASMEND
	;;#ASMSTART
	v_dot2_f32_f16 v14, v4, v91, v14
	;;#ASMEND
	s_waitcnt lgkmcnt(3)
	;;#ASMSTART
	v_dot2_f32_f16 v10, v1, v92, v10
	;;#ASMEND
	;;#ASMSTART
	v_dot2_f32_f16 v10, v2, v93, v10
	;;#ASMEND
	;;#ASMSTART
	v_dot2_f32_f16 v10, v3, v94, v10
	;;#ASMEND
	;;#ASMSTART
	v_dot2_f32_f16 v10, v4, v95, v10
	;;#ASMEND
	s_waitcnt lgkmcnt(2)
	;;#ASMSTART
	v_dot2_f32_f16 v79, v96, v5, v79
	;;#ASMEND
	;;#ASMSTART
	v_dot2_f32_f16 v79, v97, v6, v79
	;;#ASMEND
	;;#ASMSTART
	v_dot2_f32_f16 v79, v98, v7, v79
	;;#ASMEND
	;;#ASMSTART
	v_dot2_f32_f16 v79, v99, v8, v79
	;;#ASMEND
	;;#ASMSTART
	v_dot2_f32_f16 v19, v96, v84, v19
	;;#ASMEND
	;;#ASMSTART
	v_dot2_f32_f16 v19, v97, v85, v19
	;;#ASMEND
	;; [unrolled: 3-line block ×12, first 2 shown]
	s_waitcnt lgkmcnt(1)
	;;#ASMSTART
	v_dot2_f32_f16 v80, v100, v5, v80
	;;#ASMEND
	;;#ASMSTART
	v_dot2_f32_f16 v80, v101, v6, v80
	;;#ASMEND
	;; [unrolled: 3-line block ×16, first 2 shown]
	s_waitcnt lgkmcnt(0)
	;;#ASMSTART
	v_dot2_f32_f16 v81, v104, v5, v81
	;;#ASMEND
	;;#ASMSTART
	v_dot2_f32_f16 v81, v105, v6, v81
	;;#ASMEND
	;; [unrolled: 3-line block ×16, first 2 shown]
	ds_read_b128 v[1:4], v56 offset:16
	ds_read_b128 v[5:8], v55 offset:144
	;; [unrolled: 1-line block ×8, first 2 shown]
	s_waitcnt lgkmcnt(6)
	;;#ASMSTART
	v_dot2_f32_f16 v78, v1, v5, v78
	;;#ASMEND
	;;#ASMSTART
	v_dot2_f32_f16 v78, v2, v6, v78
	;;#ASMEND
	;;#ASMSTART
	v_dot2_f32_f16 v78, v3, v7, v78
	;;#ASMEND
	;;#ASMSTART
	v_dot2_f32_f16 v78, v4, v8, v78
	;;#ASMEND
	s_waitcnt lgkmcnt(5)
	;;#ASMSTART
	v_dot2_f32_f16 v18, v1, v84, v18
	;;#ASMEND
	;;#ASMSTART
	v_dot2_f32_f16 v18, v2, v85, v18
	;;#ASMEND
	;;#ASMSTART
	v_dot2_f32_f16 v18, v3, v86, v18
	;;#ASMEND
	;;#ASMSTART
	v_dot2_f32_f16 v18, v4, v87, v18
	;;#ASMEND
	;; [unrolled: 13-line block ×5, first 2 shown]
	;;#ASMSTART
	v_dot2_f32_f16 v19, v96, v84, v19
	;;#ASMEND
	;;#ASMSTART
	v_dot2_f32_f16 v19, v97, v85, v19
	;;#ASMEND
	;; [unrolled: 3-line block ×12, first 2 shown]
	s_waitcnt lgkmcnt(1)
	;;#ASMSTART
	v_dot2_f32_f16 v80, v100, v5, v80
	;;#ASMEND
	;;#ASMSTART
	v_dot2_f32_f16 v80, v101, v6, v80
	;;#ASMEND
	;; [unrolled: 3-line block ×16, first 2 shown]
	s_waitcnt lgkmcnt(0)
	;;#ASMSTART
	v_dot2_f32_f16 v81, v104, v5, v81
	;;#ASMEND
	;;#ASMSTART
	v_dot2_f32_f16 v81, v105, v6, v81
	;;#ASMEND
	;;#ASMSTART
	v_dot2_f32_f16 v81, v106, v7, v81
	;;#ASMEND
	;;#ASMSTART
	v_dot2_f32_f16 v81, v107, v8, v81
	;;#ASMEND
	;;#ASMSTART
	v_dot2_f32_f16 v83, v104, v84, v83
	;;#ASMEND
	;;#ASMSTART
	v_dot2_f32_f16 v83, v105, v85, v83
	;;#ASMEND
	;;#ASMSTART
	v_dot2_f32_f16 v83, v106, v86, v83
	;;#ASMEND
	;;#ASMSTART
	v_dot2_f32_f16 v83, v107, v87, v83
	;;#ASMEND
	;;#ASMSTART
	v_dot2_f32_f16 v17, v104, v88, v17
	;;#ASMEND
	;;#ASMSTART
	v_dot2_f32_f16 v17, v105, v89, v17
	;;#ASMEND
	;;#ASMSTART
	v_dot2_f32_f16 v17, v106, v90, v17
	;;#ASMEND
	;;#ASMSTART
	v_dot2_f32_f16 v17, v107, v91, v17
	;;#ASMEND
	;;#ASMSTART
	v_dot2_f32_f16 v13, v104, v92, v13
	;;#ASMEND
	;;#ASMSTART
	v_dot2_f32_f16 v13, v105, v93, v13
	;;#ASMEND
	;;#ASMSTART
	v_dot2_f32_f16 v13, v106, v94, v13
	;;#ASMEND
	;;#ASMSTART
	v_dot2_f32_f16 v13, v107, v95, v13
	;;#ASMEND
	ds_read_b128 v[1:4], v56 offset:32
	ds_read_b128 v[5:8], v55 offset:160
	;; [unrolled: 1-line block ×8, first 2 shown]
	s_waitcnt lgkmcnt(6)
	;;#ASMSTART
	v_dot2_f32_f16 v78, v1, v5, v78
	;;#ASMEND
	;;#ASMSTART
	v_dot2_f32_f16 v78, v2, v6, v78
	;;#ASMEND
	;;#ASMSTART
	v_dot2_f32_f16 v78, v3, v7, v78
	;;#ASMEND
	;;#ASMSTART
	v_dot2_f32_f16 v78, v4, v8, v78
	;;#ASMEND
	s_waitcnt lgkmcnt(5)
	;;#ASMSTART
	v_dot2_f32_f16 v18, v1, v84, v18
	;;#ASMEND
	;;#ASMSTART
	v_dot2_f32_f16 v18, v2, v85, v18
	;;#ASMEND
	;;#ASMSTART
	v_dot2_f32_f16 v18, v3, v86, v18
	;;#ASMEND
	;;#ASMSTART
	v_dot2_f32_f16 v18, v4, v87, v18
	;;#ASMEND
	s_waitcnt lgkmcnt(4)
	;;#ASMSTART
	v_dot2_f32_f16 v14, v1, v88, v14
	;;#ASMEND
	;;#ASMSTART
	v_dot2_f32_f16 v14, v2, v89, v14
	;;#ASMEND
	;;#ASMSTART
	v_dot2_f32_f16 v14, v3, v90, v14
	;;#ASMEND
	;;#ASMSTART
	v_dot2_f32_f16 v14, v4, v91, v14
	;;#ASMEND
	s_waitcnt lgkmcnt(3)
	;;#ASMSTART
	v_dot2_f32_f16 v10, v1, v92, v10
	;;#ASMEND
	;;#ASMSTART
	v_dot2_f32_f16 v10, v2, v93, v10
	;;#ASMEND
	;;#ASMSTART
	v_dot2_f32_f16 v10, v3, v94, v10
	;;#ASMEND
	;;#ASMSTART
	v_dot2_f32_f16 v10, v4, v95, v10
	;;#ASMEND
	s_waitcnt lgkmcnt(2)
	;;#ASMSTART
	v_dot2_f32_f16 v79, v96, v5, v79
	;;#ASMEND
	;;#ASMSTART
	v_dot2_f32_f16 v79, v97, v6, v79
	;;#ASMEND
	;;#ASMSTART
	v_dot2_f32_f16 v79, v98, v7, v79
	;;#ASMEND
	;;#ASMSTART
	v_dot2_f32_f16 v79, v99, v8, v79
	;;#ASMEND
	;;#ASMSTART
	v_dot2_f32_f16 v19, v96, v84, v19
	;;#ASMEND
	;;#ASMSTART
	v_dot2_f32_f16 v19, v97, v85, v19
	;;#ASMEND
	;; [unrolled: 3-line block ×12, first 2 shown]
	s_waitcnt lgkmcnt(1)
	;;#ASMSTART
	v_dot2_f32_f16 v80, v100, v5, v80
	;;#ASMEND
	;;#ASMSTART
	v_dot2_f32_f16 v80, v101, v6, v80
	;;#ASMEND
	;; [unrolled: 3-line block ×16, first 2 shown]
	s_waitcnt lgkmcnt(0)
	;;#ASMSTART
	v_dot2_f32_f16 v81, v104, v5, v81
	;;#ASMEND
	;;#ASMSTART
	v_dot2_f32_f16 v81, v105, v6, v81
	;;#ASMEND
	;; [unrolled: 3-line block ×16, first 2 shown]
	ds_read_b128 v[1:4], v56 offset:48
	ds_read_b128 v[5:8], v55 offset:176
	;; [unrolled: 1-line block ×8, first 2 shown]
	s_waitcnt lgkmcnt(6)
	;;#ASMSTART
	v_dot2_f32_f16 v78, v1, v5, v78
	;;#ASMEND
	;;#ASMSTART
	v_dot2_f32_f16 v78, v2, v6, v78
	;;#ASMEND
	;;#ASMSTART
	v_dot2_f32_f16 v78, v3, v7, v78
	;;#ASMEND
	;;#ASMSTART
	v_dot2_f32_f16 v78, v4, v8, v78
	;;#ASMEND
	s_waitcnt lgkmcnt(5)
	;;#ASMSTART
	v_dot2_f32_f16 v18, v1, v84, v18
	;;#ASMEND
	;;#ASMSTART
	v_dot2_f32_f16 v18, v2, v85, v18
	;;#ASMEND
	;;#ASMSTART
	v_dot2_f32_f16 v18, v3, v86, v18
	;;#ASMEND
	;;#ASMSTART
	v_dot2_f32_f16 v18, v4, v87, v18
	;;#ASMEND
	;; [unrolled: 13-line block ×5, first 2 shown]
	;;#ASMSTART
	v_dot2_f32_f16 v19, v96, v84, v19
	;;#ASMEND
	;;#ASMSTART
	v_dot2_f32_f16 v19, v97, v85, v19
	;;#ASMEND
	;;#ASMSTART
	v_dot2_f32_f16 v19, v98, v86, v19
	;;#ASMEND
	;;#ASMSTART
	v_dot2_f32_f16 v19, v99, v87, v19
	;;#ASMEND
	;;#ASMSTART
	v_dot2_f32_f16 v15, v96, v88, v15
	;;#ASMEND
	;;#ASMSTART
	v_dot2_f32_f16 v15, v97, v89, v15
	;;#ASMEND
	;;#ASMSTART
	v_dot2_f32_f16 v15, v98, v90, v15
	;;#ASMEND
	;;#ASMSTART
	v_dot2_f32_f16 v15, v99, v91, v15
	;;#ASMEND
	;;#ASMSTART
	v_dot2_f32_f16 v11, v96, v92, v11
	;;#ASMEND
	;;#ASMSTART
	v_dot2_f32_f16 v11, v97, v93, v11
	;;#ASMEND
	;;#ASMSTART
	v_dot2_f32_f16 v11, v98, v94, v11
	;;#ASMEND
	;;#ASMSTART
	v_dot2_f32_f16 v11, v99, v95, v11
	;;#ASMEND
	s_waitcnt lgkmcnt(1)
	;;#ASMSTART
	v_dot2_f32_f16 v80, v100, v5, v80
	;;#ASMEND
	;;#ASMSTART
	v_dot2_f32_f16 v80, v101, v6, v80
	;;#ASMEND
	;; [unrolled: 3-line block ×16, first 2 shown]
	s_waitcnt lgkmcnt(0)
	;;#ASMSTART
	v_dot2_f32_f16 v81, v104, v5, v81
	;;#ASMEND
	;;#ASMSTART
	v_dot2_f32_f16 v81, v105, v6, v81
	;;#ASMEND
	;; [unrolled: 3-line block ×16, first 2 shown]
	ds_read_b128 v[1:4], v56 offset:64
	ds_read_b128 v[5:8], v55 offset:192
	;; [unrolled: 1-line block ×8, first 2 shown]
	s_waitcnt lgkmcnt(6)
	;;#ASMSTART
	v_dot2_f32_f16 v78, v1, v5, v78
	;;#ASMEND
	;;#ASMSTART
	v_dot2_f32_f16 v78, v2, v6, v78
	;;#ASMEND
	;;#ASMSTART
	v_dot2_f32_f16 v78, v3, v7, v78
	;;#ASMEND
	;;#ASMSTART
	v_dot2_f32_f16 v78, v4, v8, v78
	;;#ASMEND
	s_waitcnt lgkmcnt(5)
	;;#ASMSTART
	v_dot2_f32_f16 v18, v1, v84, v18
	;;#ASMEND
	;;#ASMSTART
	v_dot2_f32_f16 v18, v2, v85, v18
	;;#ASMEND
	;;#ASMSTART
	v_dot2_f32_f16 v18, v3, v86, v18
	;;#ASMEND
	;;#ASMSTART
	v_dot2_f32_f16 v18, v4, v87, v18
	;;#ASMEND
	;; [unrolled: 13-line block ×5, first 2 shown]
	;;#ASMSTART
	v_dot2_f32_f16 v19, v96, v84, v19
	;;#ASMEND
	;;#ASMSTART
	v_dot2_f32_f16 v19, v97, v85, v19
	;;#ASMEND
	;;#ASMSTART
	v_dot2_f32_f16 v19, v98, v86, v19
	;;#ASMEND
	;;#ASMSTART
	v_dot2_f32_f16 v19, v99, v87, v19
	;;#ASMEND
	;;#ASMSTART
	v_dot2_f32_f16 v15, v96, v88, v15
	;;#ASMEND
	;;#ASMSTART
	v_dot2_f32_f16 v15, v97, v89, v15
	;;#ASMEND
	;;#ASMSTART
	v_dot2_f32_f16 v15, v98, v90, v15
	;;#ASMEND
	;;#ASMSTART
	v_dot2_f32_f16 v15, v99, v91, v15
	;;#ASMEND
	;;#ASMSTART
	v_dot2_f32_f16 v11, v96, v92, v11
	;;#ASMEND
	;;#ASMSTART
	v_dot2_f32_f16 v11, v97, v93, v11
	;;#ASMEND
	;;#ASMSTART
	v_dot2_f32_f16 v11, v98, v94, v11
	;;#ASMEND
	;;#ASMSTART
	v_dot2_f32_f16 v11, v99, v95, v11
	;;#ASMEND
	s_waitcnt lgkmcnt(1)
	;;#ASMSTART
	v_dot2_f32_f16 v80, v100, v5, v80
	;;#ASMEND
	;;#ASMSTART
	v_dot2_f32_f16 v80, v101, v6, v80
	;;#ASMEND
	;; [unrolled: 3-line block ×16, first 2 shown]
	s_waitcnt lgkmcnt(0)
	;;#ASMSTART
	v_dot2_f32_f16 v81, v104, v5, v81
	;;#ASMEND
	;;#ASMSTART
	v_dot2_f32_f16 v81, v105, v6, v81
	;;#ASMEND
	;; [unrolled: 3-line block ×16, first 2 shown]
	ds_read_b128 v[1:4], v56 offset:80
	ds_read_b128 v[5:8], v55 offset:208
	;; [unrolled: 1-line block ×8, first 2 shown]
	s_waitcnt lgkmcnt(6)
	;;#ASMSTART
	v_dot2_f32_f16 v78, v1, v5, v78
	;;#ASMEND
	;;#ASMSTART
	v_dot2_f32_f16 v78, v2, v6, v78
	;;#ASMEND
	;;#ASMSTART
	v_dot2_f32_f16 v78, v3, v7, v78
	;;#ASMEND
	;;#ASMSTART
	v_dot2_f32_f16 v78, v4, v8, v78
	;;#ASMEND
	s_waitcnt lgkmcnt(5)
	;;#ASMSTART
	v_dot2_f32_f16 v18, v1, v84, v18
	;;#ASMEND
	;;#ASMSTART
	v_dot2_f32_f16 v18, v2, v85, v18
	;;#ASMEND
	;;#ASMSTART
	v_dot2_f32_f16 v18, v3, v86, v18
	;;#ASMEND
	;;#ASMSTART
	v_dot2_f32_f16 v18, v4, v87, v18
	;;#ASMEND
	;; [unrolled: 13-line block ×5, first 2 shown]
	;;#ASMSTART
	v_dot2_f32_f16 v19, v96, v84, v19
	;;#ASMEND
	;;#ASMSTART
	v_dot2_f32_f16 v19, v97, v85, v19
	;;#ASMEND
	;; [unrolled: 3-line block ×12, first 2 shown]
	s_waitcnt lgkmcnt(1)
	;;#ASMSTART
	v_dot2_f32_f16 v80, v100, v5, v80
	;;#ASMEND
	;;#ASMSTART
	v_dot2_f32_f16 v80, v101, v6, v80
	;;#ASMEND
	;; [unrolled: 3-line block ×16, first 2 shown]
	s_waitcnt lgkmcnt(0)
	;;#ASMSTART
	v_dot2_f32_f16 v81, v104, v5, v81
	;;#ASMEND
	;;#ASMSTART
	v_dot2_f32_f16 v81, v105, v6, v81
	;;#ASMEND
	;; [unrolled: 3-line block ×16, first 2 shown]
	ds_read_b128 v[1:4], v56 offset:96
	ds_read_b128 v[5:8], v55 offset:224
	;; [unrolled: 1-line block ×8, first 2 shown]
	s_waitcnt lgkmcnt(6)
	;;#ASMSTART
	v_dot2_f32_f16 v78, v1, v5, v78
	;;#ASMEND
	;;#ASMSTART
	v_dot2_f32_f16 v78, v2, v6, v78
	;;#ASMEND
	;;#ASMSTART
	v_dot2_f32_f16 v78, v3, v7, v78
	;;#ASMEND
	;;#ASMSTART
	v_dot2_f32_f16 v78, v4, v8, v78
	;;#ASMEND
	s_waitcnt lgkmcnt(5)
	;;#ASMSTART
	v_dot2_f32_f16 v18, v1, v84, v18
	;;#ASMEND
	;;#ASMSTART
	v_dot2_f32_f16 v18, v2, v85, v18
	;;#ASMEND
	;;#ASMSTART
	v_dot2_f32_f16 v18, v3, v86, v18
	;;#ASMEND
	;;#ASMSTART
	v_dot2_f32_f16 v18, v4, v87, v18
	;;#ASMEND
	;; [unrolled: 13-line block ×5, first 2 shown]
	;;#ASMSTART
	v_dot2_f32_f16 v19, v96, v84, v19
	;;#ASMEND
	;;#ASMSTART
	v_dot2_f32_f16 v19, v97, v85, v19
	;;#ASMEND
	;; [unrolled: 3-line block ×12, first 2 shown]
	s_waitcnt lgkmcnt(1)
	;;#ASMSTART
	v_dot2_f32_f16 v80, v100, v5, v80
	;;#ASMEND
	;;#ASMSTART
	v_dot2_f32_f16 v80, v101, v6, v80
	;;#ASMEND
	;; [unrolled: 3-line block ×16, first 2 shown]
	s_waitcnt lgkmcnt(0)
	;;#ASMSTART
	v_dot2_f32_f16 v81, v104, v5, v81
	;;#ASMEND
	;;#ASMSTART
	v_dot2_f32_f16 v81, v105, v6, v81
	;;#ASMEND
	;; [unrolled: 3-line block ×16, first 2 shown]
	ds_read_b128 v[1:4], v56 offset:112
	ds_read_b128 v[5:8], v55 offset:240
	;; [unrolled: 1-line block ×8, first 2 shown]
	s_waitcnt lgkmcnt(6)
	;;#ASMSTART
	v_dot2_f32_f16 v78, v1, v5, v78
	;;#ASMEND
	;;#ASMSTART
	v_dot2_f32_f16 v78, v2, v6, v78
	;;#ASMEND
	;;#ASMSTART
	v_dot2_f32_f16 v78, v3, v7, v78
	;;#ASMEND
	;;#ASMSTART
	v_dot2_f32_f16 v78, v4, v8, v78
	;;#ASMEND
	s_waitcnt lgkmcnt(5)
	;;#ASMSTART
	v_dot2_f32_f16 v18, v1, v84, v18
	;;#ASMEND
	;;#ASMSTART
	v_dot2_f32_f16 v18, v2, v85, v18
	;;#ASMEND
	;;#ASMSTART
	v_dot2_f32_f16 v18, v3, v86, v18
	;;#ASMEND
	;;#ASMSTART
	v_dot2_f32_f16 v18, v4, v87, v18
	;;#ASMEND
	;; [unrolled: 13-line block ×5, first 2 shown]
	;;#ASMSTART
	v_dot2_f32_f16 v19, v96, v84, v19
	;;#ASMEND
	;;#ASMSTART
	v_dot2_f32_f16 v19, v97, v85, v19
	;;#ASMEND
	;; [unrolled: 3-line block ×12, first 2 shown]
	s_waitcnt lgkmcnt(1)
	;;#ASMSTART
	v_dot2_f32_f16 v80, v100, v5, v80
	;;#ASMEND
	;;#ASMSTART
	v_dot2_f32_f16 v80, v101, v6, v80
	;;#ASMEND
	;; [unrolled: 3-line block ×16, first 2 shown]
	s_waitcnt lgkmcnt(0)
	;;#ASMSTART
	v_dot2_f32_f16 v81, v104, v5, v81
	;;#ASMEND
	;;#ASMSTART
	v_dot2_f32_f16 v81, v105, v6, v81
	;;#ASMEND
	;;#ASMSTART
	v_dot2_f32_f16 v81, v106, v7, v81
	;;#ASMEND
	;;#ASMSTART
	v_dot2_f32_f16 v81, v107, v8, v81
	;;#ASMEND
	;;#ASMSTART
	v_dot2_f32_f16 v83, v104, v84, v83
	;;#ASMEND
	;;#ASMSTART
	v_dot2_f32_f16 v83, v105, v85, v83
	;;#ASMEND
	;;#ASMSTART
	v_dot2_f32_f16 v83, v106, v86, v83
	;;#ASMEND
	;;#ASMSTART
	v_dot2_f32_f16 v83, v107, v87, v83
	;;#ASMEND
	;;#ASMSTART
	v_dot2_f32_f16 v17, v104, v88, v17
	;;#ASMEND
	v_cmp_ngt_f32_e64 s19, 0x3f200000, |v78|
	;;#ASMSTART
	v_dot2_f32_f16 v17, v105, v89, v17
	;;#ASMEND
	;;#ASMSTART
	v_dot2_f32_f16 v17, v106, v90, v17
	;;#ASMEND
	;; [unrolled: 3-line block ×7, first 2 shown]
                                        ; implicit-def: $vgpr3
	s_and_saveexec_b32 s24, s19
	s_xor_b32 s19, exec_lo, s24
	s_cbranch_execz .LBB81_11
; %bb.10:                               ;   in Loop: Header=BB81_9 Depth=1
	v_add_f32_e64 v1, |v78|, |v78|
	v_mul_f32_e32 v2, 0x3fb8aa3b, v1
	v_cmp_ngt_f32_e32 vcc_lo, 0xc2ce8ed0, v1
	v_rndne_f32_e32 v3, v2
	v_fma_f32 v4, 0x3fb8aa3b, v1, -v2
	v_sub_f32_e32 v2, v2, v3
	v_fmac_f32_e32 v4, 0x32a5705f, v1
	v_cvt_i32_f32_e32 v3, v3
	v_add_f32_e32 v2, v2, v4
	v_exp_f32_e32 v2, v2
	v_ldexp_f32 v2, v2, v3
	v_cndmask_b32_e32 v2, 0, v2, vcc_lo
	v_cmp_nlt_f32_e32 vcc_lo, 0x42b17218, v1
	v_cndmask_b32_e32 v1, 0x7f800000, v2, vcc_lo
	v_add_f32_e32 v1, 1.0, v1
	v_rcp_f32_e32 v1, v1
	v_fma_f32 v3, v1, -2.0, 1.0
.LBB81_11:                              ;   in Loop: Header=BB81_9 Depth=1
	s_andn2_saveexec_b32 s19, s19
	s_cbranch_execz .LBB81_13
; %bb.12:                               ;   in Loop: Header=BB81_9 Depth=1
	v_mul_f32_e32 v1, v78, v78
	v_fmaak_f32 v2, s18, v1, 0x3ca908c9
	v_fmaak_f32 v2, v1, v2, 0xbd5c1c4e
	v_fmaak_f32 v2, v1, v2, 0x3e088382
	v_fmaak_f32 v2, v1, v2, 0xbeaaaa99
	v_mul_f32_e64 v2, |v78|, v2
	v_fma_f32 v3, v1, v2, |v78|
.LBB81_13:                              ;   in Loop: Header=BB81_9 Depth=1
	s_or_b32 exec_lo, exec_lo, s19
	v_add_nc_u32_e32 v89, s6, v0
	v_cmp_ngt_f32_e64 s19, 0x3f200000, |v79|
                                        ; implicit-def: $vgpr4
	v_add_nc_u32_e32 v1, v89, v57
	v_ashrrev_i32_e32 v2, 31, v1
	v_lshlrev_b64 v[1:2], 1, v[1:2]
	v_add_co_u32 v1, vcc_lo, s36, v1
	v_add_co_ci_u32_e64 v2, null, s37, v2, vcc_lo
	global_load_ushort v86, v[1:2], off
	s_and_saveexec_b32 s24, s19
	s_xor_b32 s19, exec_lo, s24
	s_cbranch_execz .LBB81_15
; %bb.14:                               ;   in Loop: Header=BB81_9 Depth=1
	v_add_f32_e64 v4, |v79|, |v79|
	v_mul_f32_e32 v5, 0x3fb8aa3b, v4
	v_cmp_ngt_f32_e32 vcc_lo, 0xc2ce8ed0, v4
	v_rndne_f32_e32 v6, v5
	v_fma_f32 v7, 0x3fb8aa3b, v4, -v5
	v_sub_f32_e32 v5, v5, v6
	v_fmac_f32_e32 v7, 0x32a5705f, v4
	v_cvt_i32_f32_e32 v6, v6
	v_add_f32_e32 v5, v5, v7
	v_exp_f32_e32 v5, v5
	v_ldexp_f32 v5, v5, v6
	v_cndmask_b32_e32 v5, 0, v5, vcc_lo
	v_cmp_nlt_f32_e32 vcc_lo, 0x42b17218, v4
	v_cndmask_b32_e32 v4, 0x7f800000, v5, vcc_lo
	v_add_f32_e32 v4, 1.0, v4
	v_rcp_f32_e32 v4, v4
	v_fma_f32 v4, v4, -2.0, 1.0
.LBB81_15:                              ;   in Loop: Header=BB81_9 Depth=1
	s_andn2_saveexec_b32 s19, s19
	s_cbranch_execz .LBB81_17
; %bb.16:                               ;   in Loop: Header=BB81_9 Depth=1
	v_mul_f32_e32 v4, v79, v79
	v_fmaak_f32 v5, s18, v4, 0x3ca908c9
	v_fmaak_f32 v5, v4, v5, 0xbd5c1c4e
	;; [unrolled: 1-line block ×4, first 2 shown]
	v_mul_f32_e64 v5, |v79|, v5
	v_fma_f32 v4, v4, v5, |v79|
.LBB81_17:                              ;   in Loop: Header=BB81_9 Depth=1
	s_or_b32 exec_lo, exec_lo, s19
	global_load_ushort v88, v[1:2], off offset:64
	v_cmp_ngt_f32_e64 s19, 0x3f200000, |v80|
                                        ; implicit-def: $vgpr7
	s_and_saveexec_b32 s24, s19
	s_xor_b32 s19, exec_lo, s24
	s_cbranch_execz .LBB81_19
; %bb.18:                               ;   in Loop: Header=BB81_9 Depth=1
	v_add_f32_e64 v5, |v80|, |v80|
	v_mul_f32_e32 v6, 0x3fb8aa3b, v5
	v_cmp_ngt_f32_e32 vcc_lo, 0xc2ce8ed0, v5
	v_rndne_f32_e32 v7, v6
	v_fma_f32 v8, 0x3fb8aa3b, v5, -v6
	v_sub_f32_e32 v6, v6, v7
	v_fmac_f32_e32 v8, 0x32a5705f, v5
	v_cvt_i32_f32_e32 v7, v7
	v_add_f32_e32 v6, v6, v8
	v_exp_f32_e32 v6, v6
	v_ldexp_f32 v6, v6, v7
	v_cndmask_b32_e32 v6, 0, v6, vcc_lo
	v_cmp_nlt_f32_e32 vcc_lo, 0x42b17218, v5
	v_cndmask_b32_e32 v5, 0x7f800000, v6, vcc_lo
	v_add_f32_e32 v5, 1.0, v5
	v_rcp_f32_e32 v5, v5
	v_fma_f32 v7, v5, -2.0, 1.0
.LBB81_19:                              ;   in Loop: Header=BB81_9 Depth=1
	s_andn2_saveexec_b32 s19, s19
	s_cbranch_execz .LBB81_21
; %bb.20:                               ;   in Loop: Header=BB81_9 Depth=1
	v_mul_f32_e32 v5, v80, v80
	v_fmaak_f32 v6, s18, v5, 0x3ca908c9
	v_fmaak_f32 v6, v5, v6, 0xbd5c1c4e
	;; [unrolled: 1-line block ×4, first 2 shown]
	v_mul_f32_e64 v6, |v80|, v6
	v_fma_f32 v7, v5, v6, |v80|
.LBB81_21:                              ;   in Loop: Header=BB81_9 Depth=1
	s_or_b32 exec_lo, exec_lo, s19
	global_load_ushort v90, v[1:2], off offset:128
	v_cmp_ngt_f32_e64 s19, 0x3f200000, |v81|
                                        ; implicit-def: $vgpr8
	s_and_saveexec_b32 s24, s19
	s_xor_b32 s19, exec_lo, s24
	s_cbranch_execz .LBB81_23
; %bb.22:                               ;   in Loop: Header=BB81_9 Depth=1
	v_add_f32_e64 v5, |v81|, |v81|
	v_mul_f32_e32 v6, 0x3fb8aa3b, v5
	v_cmp_ngt_f32_e32 vcc_lo, 0xc2ce8ed0, v5
	v_rndne_f32_e32 v8, v6
	v_fma_f32 v82, 0x3fb8aa3b, v5, -v6
	v_sub_f32_e32 v6, v6, v8
	v_fmac_f32_e32 v82, 0x32a5705f, v5
	v_cvt_i32_f32_e32 v8, v8
	v_add_f32_e32 v6, v6, v82
	v_exp_f32_e32 v6, v6
	v_ldexp_f32 v6, v6, v8
	v_cndmask_b32_e32 v6, 0, v6, vcc_lo
	v_cmp_nlt_f32_e32 vcc_lo, 0x42b17218, v5
	v_cndmask_b32_e32 v5, 0x7f800000, v6, vcc_lo
	v_add_f32_e32 v5, 1.0, v5
	v_rcp_f32_e32 v5, v5
	v_fma_f32 v8, v5, -2.0, 1.0
.LBB81_23:                              ;   in Loop: Header=BB81_9 Depth=1
	s_andn2_saveexec_b32 s19, s19
	s_cbranch_execz .LBB81_25
; %bb.24:                               ;   in Loop: Header=BB81_9 Depth=1
	v_mul_f32_e32 v5, v81, v81
	v_fmaak_f32 v6, s18, v5, 0x3ca908c9
	v_fmaak_f32 v6, v5, v6, 0xbd5c1c4e
	v_fmaak_f32 v6, v5, v6, 0x3e088382
	v_fmaak_f32 v6, v5, v6, 0xbeaaaa99
	v_mul_f32_e64 v6, |v81|, v6
	v_fma_f32 v8, v5, v6, |v81|
.LBB81_25:                              ;   in Loop: Header=BB81_9 Depth=1
	s_or_b32 exec_lo, exec_lo, s19
	global_load_ushort v1, v[1:2], off offset:192
	v_bfi_b32 v2, 0x7fffffff, v3, v78
	v_bfi_b32 v3, 0x7fffffff, v4, v79
	;; [unrolled: 1-line block ×3, first 2 shown]
	v_xor_b32_e32 v82, 16, v49
	v_xor_b32_e32 v81, 8, v49
	s_waitcnt vmcnt(3)
	v_fma_mix_f32 v5, s10, v2, v86 op_sel_hi:[0,0,1]
	s_waitcnt vmcnt(2)
	v_fma_mix_f32 v6, s10, v3, v88 op_sel_hi:[0,0,1]
	v_bfi_b32 v2, 0x7fffffff, v7, v80
	v_cmp_gt_i32_e32 vcc_lo, 32, v82
	v_xor_b32_e32 v80, 4, v49
	v_add_f32_e32 v3, 0x40051340, v5
	v_add_f32_e32 v78, 0x40051340, v6
	s_waitcnt vmcnt(1)
	v_fma_mix_f32 v7, s10, v2, v90 op_sel_hi:[0,0,1]
	v_xor_b32_e32 v79, 2, v49
	v_cmp_ngt_f32_e64 s19, 0x3f200000, |v18|
	v_max3_f32 v2, v9, v3, v78
	v_cndmask_b32_e32 v3, v49, v82, vcc_lo
	v_cmp_gt_i32_e32 vcc_lo, 32, v81
	v_lshlrev_b32_e32 v3, 2, v3
	s_waitcnt vmcnt(0)
	v_fma_mix_f32 v8, s10, v4, v1 op_sel_hi:[0,0,1]
	v_add_f32_e32 v4, 0x40051340, v7
	v_add_f32_e32 v78, 0x40051340, v8
	v_max3_f32 v2, v2, v4, v78
	v_cndmask_b32_e32 v78, v49, v81, vcc_lo
	v_cmp_gt_i32_e32 vcc_lo, 32, v80
	ds_bpermute_b32 v4, v3, v2
	v_lshlrev_b32_e32 v87, 2, v78
	v_cndmask_b32_e32 v78, v49, v80, vcc_lo
	v_cmp_gt_i32_e32 vcc_lo, 32, v79
	v_lshlrev_b32_e32 v85, 2, v78
	v_cndmask_b32_e32 v78, v49, v79, vcc_lo
	v_lshlrev_b32_e32 v84, 2, v78
	v_xor_b32_e32 v78, 1, v49
	v_cmp_gt_i32_e32 vcc_lo, 32, v78
	s_waitcnt lgkmcnt(0)
	v_max_f32_e32 v4, v4, v4
	v_cndmask_b32_e32 v91, v49, v78, vcc_lo
	v_max_f32_e32 v2, v2, v4
	ds_bpermute_b32 v4, v87, v2
	s_waitcnt lgkmcnt(0)
	v_max_f32_e32 v4, v4, v4
	v_max_f32_e32 v2, v2, v4
	ds_bpermute_b32 v4, v85, v2
	s_waitcnt lgkmcnt(0)
	v_max_f32_e32 v4, v4, v4
	;; [unrolled: 4-line block ×3, first 2 shown]
	v_lshlrev_b32_e32 v4, 2, v91
	v_max_f32_e32 v99, v2, v92
                                        ; implicit-def: $vgpr2
	ds_bpermute_b32 v100, v4, v99
	s_and_saveexec_b32 s24, s19
	s_xor_b32 s19, exec_lo, s24
	s_cbranch_execz .LBB81_27
; %bb.26:                               ;   in Loop: Header=BB81_9 Depth=1
	v_add_f32_e64 v2, |v18|, |v18|
	v_mul_f32_e32 v91, 0x3fb8aa3b, v2
	v_cmp_ngt_f32_e32 vcc_lo, 0xc2ce8ed0, v2
	v_rndne_f32_e32 v92, v91
	v_fma_f32 v93, 0x3fb8aa3b, v2, -v91
	v_sub_f32_e32 v91, v91, v92
	v_fmac_f32_e32 v93, 0x32a5705f, v2
	v_cvt_i32_f32_e32 v92, v92
	v_add_f32_e32 v91, v91, v93
	v_exp_f32_e32 v91, v91
	v_ldexp_f32 v91, v91, v92
	v_cndmask_b32_e32 v91, 0, v91, vcc_lo
	v_cmp_nlt_f32_e32 vcc_lo, 0x42b17218, v2
	v_cndmask_b32_e32 v2, 0x7f800000, v91, vcc_lo
	v_add_f32_e32 v2, 1.0, v2
	v_rcp_f32_e32 v2, v2
	v_fma_f32 v2, v2, -2.0, 1.0
.LBB81_27:                              ;   in Loop: Header=BB81_9 Depth=1
	s_andn2_saveexec_b32 s19, s19
	s_cbranch_execz .LBB81_29
; %bb.28:                               ;   in Loop: Header=BB81_9 Depth=1
	v_mul_f32_e32 v2, v18, v18
	v_fmaak_f32 v91, s18, v2, 0x3ca908c9
	v_fmaak_f32 v91, v2, v91, 0xbd5c1c4e
	;; [unrolled: 1-line block ×4, first 2 shown]
	v_mul_f32_e64 v91, |v18|, v91
	v_fma_f32 v2, v2, v91, |v18|
.LBB81_29:                              ;   in Loop: Header=BB81_9 Depth=1
	s_or_b32 exec_lo, exec_lo, s19
	v_cmp_ngt_f32_e64 s19, 0x3f200000, |v19|
                                        ; implicit-def: $vgpr91
	s_and_saveexec_b32 s24, s19
	s_xor_b32 s19, exec_lo, s24
	s_cbranch_execz .LBB81_31
; %bb.30:                               ;   in Loop: Header=BB81_9 Depth=1
	v_add_f32_e64 v91, |v19|, |v19|
	v_mul_f32_e32 v92, 0x3fb8aa3b, v91
	v_cmp_ngt_f32_e32 vcc_lo, 0xc2ce8ed0, v91
	v_rndne_f32_e32 v93, v92
	v_fma_f32 v94, 0x3fb8aa3b, v91, -v92
	v_sub_f32_e32 v92, v92, v93
	v_fmac_f32_e32 v94, 0x32a5705f, v91
	v_cvt_i32_f32_e32 v93, v93
	v_add_f32_e32 v92, v92, v94
	v_exp_f32_e32 v92, v92
	v_ldexp_f32 v92, v92, v93
	v_cndmask_b32_e32 v92, 0, v92, vcc_lo
	v_cmp_nlt_f32_e32 vcc_lo, 0x42b17218, v91
	v_cndmask_b32_e32 v91, 0x7f800000, v92, vcc_lo
	v_add_f32_e32 v91, 1.0, v91
	v_rcp_f32_e32 v91, v91
	v_fma_f32 v91, v91, -2.0, 1.0
.LBB81_31:                              ;   in Loop: Header=BB81_9 Depth=1
	s_andn2_saveexec_b32 s19, s19
	s_cbranch_execz .LBB81_33
; %bb.32:                               ;   in Loop: Header=BB81_9 Depth=1
	v_mul_f32_e32 v91, v19, v19
	v_fmaak_f32 v92, s18, v91, 0x3ca908c9
	v_fmaak_f32 v92, v91, v92, 0xbd5c1c4e
	;; [unrolled: 1-line block ×4, first 2 shown]
	v_mul_f32_e64 v92, |v19|, v92
	v_fma_f32 v91, v91, v92, |v19|
.LBB81_33:                              ;   in Loop: Header=BB81_9 Depth=1
	s_or_b32 exec_lo, exec_lo, s19
	v_cmp_ngt_f32_e64 s19, 0x3f200000, |v20|
                                        ; implicit-def: $vgpr92
	s_and_saveexec_b32 s24, s19
	s_xor_b32 s19, exec_lo, s24
	s_cbranch_execz .LBB81_35
; %bb.34:                               ;   in Loop: Header=BB81_9 Depth=1
	v_add_f32_e64 v92, |v20|, |v20|
	v_mul_f32_e32 v93, 0x3fb8aa3b, v92
	v_cmp_ngt_f32_e32 vcc_lo, 0xc2ce8ed0, v92
	v_rndne_f32_e32 v94, v93
	v_fma_f32 v95, 0x3fb8aa3b, v92, -v93
	v_sub_f32_e32 v93, v93, v94
	v_fmac_f32_e32 v95, 0x32a5705f, v92
	v_cvt_i32_f32_e32 v94, v94
	v_add_f32_e32 v93, v93, v95
	v_exp_f32_e32 v93, v93
	v_ldexp_f32 v93, v93, v94
	v_cndmask_b32_e32 v93, 0, v93, vcc_lo
	v_cmp_nlt_f32_e32 vcc_lo, 0x42b17218, v92
	v_cndmask_b32_e32 v92, 0x7f800000, v93, vcc_lo
	v_add_f32_e32 v92, 1.0, v92
	v_rcp_f32_e32 v92, v92
	v_fma_f32 v92, v92, -2.0, 1.0
.LBB81_35:                              ;   in Loop: Header=BB81_9 Depth=1
	s_andn2_saveexec_b32 s19, s19
	s_cbranch_execz .LBB81_37
; %bb.36:                               ;   in Loop: Header=BB81_9 Depth=1
	v_mul_f32_e32 v92, v20, v20
	v_fmaak_f32 v93, s18, v92, 0x3ca908c9
	v_fmaak_f32 v93, v92, v93, 0xbd5c1c4e
	;; [unrolled: 1-line block ×4, first 2 shown]
	v_mul_f32_e64 v93, |v20|, v93
	v_fma_f32 v92, v92, v93, |v20|
.LBB81_37:                              ;   in Loop: Header=BB81_9 Depth=1
	s_or_b32 exec_lo, exec_lo, s19
	v_cmp_ngt_f32_e64 s19, 0x3f200000, |v83|
                                        ; implicit-def: $vgpr95
	s_and_saveexec_b32 s24, s19
	s_xor_b32 s19, exec_lo, s24
	s_cbranch_execz .LBB81_39
; %bb.38:                               ;   in Loop: Header=BB81_9 Depth=1
	v_add_f32_e64 v93, |v83|, |v83|
	v_mul_f32_e32 v94, 0x3fb8aa3b, v93
	v_cmp_ngt_f32_e32 vcc_lo, 0xc2ce8ed0, v93
	v_rndne_f32_e32 v95, v94
	v_fma_f32 v96, 0x3fb8aa3b, v93, -v94
	v_sub_f32_e32 v94, v94, v95
	v_fmac_f32_e32 v96, 0x32a5705f, v93
	v_cvt_i32_f32_e32 v95, v95
	v_add_f32_e32 v94, v94, v96
	v_exp_f32_e32 v94, v94
	v_ldexp_f32 v94, v94, v95
	v_cndmask_b32_e32 v94, 0, v94, vcc_lo
	v_cmp_nlt_f32_e32 vcc_lo, 0x42b17218, v93
	v_cndmask_b32_e32 v93, 0x7f800000, v94, vcc_lo
	v_add_f32_e32 v93, 1.0, v93
	v_rcp_f32_e32 v93, v93
	v_fma_f32 v95, v93, -2.0, 1.0
.LBB81_39:                              ;   in Loop: Header=BB81_9 Depth=1
	s_andn2_saveexec_b32 s19, s19
	s_cbranch_execz .LBB81_41
; %bb.40:                               ;   in Loop: Header=BB81_9 Depth=1
	v_mul_f32_e32 v93, v83, v83
	v_fmaak_f32 v94, s18, v93, 0x3ca908c9
	v_fmaak_f32 v94, v93, v94, 0xbd5c1c4e
	;; [unrolled: 1-line block ×4, first 2 shown]
	v_mul_f32_e64 v94, |v83|, v94
	v_fma_f32 v95, v93, v94, |v83|
.LBB81_41:                              ;   in Loop: Header=BB81_9 Depth=1
	s_or_b32 exec_lo, exec_lo, s19
	v_cvt_f32_f16_e32 v93, v86
	v_bfi_b32 v2, 0x7fffffff, v2, v18
	v_cvt_f32_f16_e32 v94, v88
	v_bfi_b32 v18, 0x7fffffff, v91, v19
	v_cvt_f32_f16_e32 v88, v90
	v_cvt_f32_f16_e32 v86, v1
	v_fmac_f32_e32 v93, s10, v2
	v_bfi_b32 v1, 0x7fffffff, v92, v20
	v_fmac_f32_e32 v94, s10, v18
	v_bfi_b32 v2, 0x7fffffff, v95, v83
	v_cmp_ngt_f32_e64 s19, 0x3f200000, |v14|
	v_add_f32_e32 v18, 0x40051340, v93
	v_fmac_f32_e32 v88, s10, v1
	v_add_f32_e32 v1, 0x40051340, v94
	v_fmac_f32_e32 v86, s10, v2
                                        ; implicit-def: $vgpr90
	v_add_f32_e32 v2, 0x40051340, v88
	v_max3_f32 v1, v76, v18, v1
	v_add_f32_e32 v18, 0x40051340, v86
	v_max3_f32 v1, v1, v2, v18
	ds_bpermute_b32 v2, v3, v1
	s_waitcnt lgkmcnt(0)
	v_max_f32_e32 v2, v2, v2
	v_max_f32_e32 v1, v1, v2
	ds_bpermute_b32 v2, v87, v1
	s_waitcnt lgkmcnt(0)
	v_max_f32_e32 v2, v2, v2
	v_max_f32_e32 v1, v1, v2
	;; [unrolled: 4-line block ×4, first 2 shown]
	ds_bpermute_b32 v19, v4, v18
	s_and_saveexec_b32 s24, s19
	s_xor_b32 s19, exec_lo, s24
	s_cbranch_execz .LBB81_43
; %bb.42:                               ;   in Loop: Header=BB81_9 Depth=1
	v_add_f32_e64 v1, |v14|, |v14|
	v_mul_f32_e32 v2, 0x3fb8aa3b, v1
	v_cmp_ngt_f32_e32 vcc_lo, 0xc2ce8ed0, v1
	v_rndne_f32_e32 v20, v2
	v_fma_f32 v83, 0x3fb8aa3b, v1, -v2
	v_sub_f32_e32 v2, v2, v20
	v_fmac_f32_e32 v83, 0x32a5705f, v1
	v_cvt_i32_f32_e32 v20, v20
	v_add_f32_e32 v2, v2, v83
	v_exp_f32_e32 v2, v2
	v_ldexp_f32 v2, v2, v20
	v_cndmask_b32_e32 v2, 0, v2, vcc_lo
	v_cmp_nlt_f32_e32 vcc_lo, 0x42b17218, v1
	v_cndmask_b32_e32 v1, 0x7f800000, v2, vcc_lo
	v_add_f32_e32 v1, 1.0, v1
	v_rcp_f32_e32 v1, v1
	v_fma_f32 v90, v1, -2.0, 1.0
.LBB81_43:                              ;   in Loop: Header=BB81_9 Depth=1
	s_andn2_saveexec_b32 s19, s19
	s_cbranch_execz .LBB81_45
; %bb.44:                               ;   in Loop: Header=BB81_9 Depth=1
	v_mul_f32_e32 v1, v14, v14
	v_fmaak_f32 v2, s18, v1, 0x3ca908c9
	v_fmaak_f32 v2, v1, v2, 0xbd5c1c4e
	;; [unrolled: 1-line block ×4, first 2 shown]
	v_mul_f32_e64 v2, |v14|, v2
	v_fma_f32 v90, v1, v2, |v14|
.LBB81_45:                              ;   in Loop: Header=BB81_9 Depth=1
	s_or_b32 exec_lo, exec_lo, s19
	v_add_nc_u32_e32 v1, v89, v59
	v_cmp_ngt_f32_e64 s19, 0x3f200000, |v15|
                                        ; implicit-def: $vgpr89
	v_ashrrev_i32_e32 v2, 31, v1
	v_lshlrev_b64 v[1:2], 1, v[1:2]
	v_add_co_u32 v1, vcc_lo, s36, v1
	v_add_co_ci_u32_e64 v2, null, s37, v2, vcc_lo
	global_load_ushort v20, v[1:2], off
	s_and_saveexec_b32 s24, s19
	s_xor_b32 s19, exec_lo, s24
	s_cbranch_execz .LBB81_47
; %bb.46:                               ;   in Loop: Header=BB81_9 Depth=1
	v_add_f32_e64 v83, |v15|, |v15|
	v_mul_f32_e32 v89, 0x3fb8aa3b, v83
	v_cmp_ngt_f32_e32 vcc_lo, 0xc2ce8ed0, v83
	v_rndne_f32_e32 v91, v89
	v_fma_f32 v92, 0x3fb8aa3b, v83, -v89
	v_sub_f32_e32 v89, v89, v91
	v_fmac_f32_e32 v92, 0x32a5705f, v83
	v_cvt_i32_f32_e32 v91, v91
	v_add_f32_e32 v89, v89, v92
	v_exp_f32_e32 v89, v89
	v_ldexp_f32 v89, v89, v91
	v_cndmask_b32_e32 v89, 0, v89, vcc_lo
	v_cmp_nlt_f32_e32 vcc_lo, 0x42b17218, v83
	v_cndmask_b32_e32 v83, 0x7f800000, v89, vcc_lo
	v_add_f32_e32 v83, 1.0, v83
	v_rcp_f32_e32 v83, v83
	v_fma_f32 v89, v83, -2.0, 1.0
.LBB81_47:                              ;   in Loop: Header=BB81_9 Depth=1
	s_andn2_saveexec_b32 s19, s19
	s_cbranch_execz .LBB81_49
; %bb.48:                               ;   in Loop: Header=BB81_9 Depth=1
	v_mul_f32_e32 v83, v15, v15
	v_fmaak_f32 v89, s18, v83, 0x3ca908c9
	v_fmaak_f32 v89, v83, v89, 0xbd5c1c4e
	;; [unrolled: 1-line block ×4, first 2 shown]
	v_mul_f32_e64 v89, |v15|, v89
	v_fma_f32 v89, v83, v89, |v15|
.LBB81_49:                              ;   in Loop: Header=BB81_9 Depth=1
	s_or_b32 exec_lo, exec_lo, s19
	global_load_ushort v83, v[1:2], off offset:64
	v_cmp_ngt_f32_e64 s19, 0x3f200000, |v16|
                                        ; implicit-def: $vgpr96
	s_and_saveexec_b32 s24, s19
	s_xor_b32 s19, exec_lo, s24
	s_cbranch_execz .LBB81_51
; %bb.50:                               ;   in Loop: Header=BB81_9 Depth=1
	v_add_f32_e64 v91, |v16|, |v16|
	v_mul_f32_e32 v92, 0x3fb8aa3b, v91
	v_cmp_ngt_f32_e32 vcc_lo, 0xc2ce8ed0, v91
	v_rndne_f32_e32 v95, v92
	v_fma_f32 v96, 0x3fb8aa3b, v91, -v92
	v_sub_f32_e32 v92, v92, v95
	v_fmac_f32_e32 v96, 0x32a5705f, v91
	v_cvt_i32_f32_e32 v95, v95
	v_add_f32_e32 v92, v92, v96
	v_exp_f32_e32 v92, v92
	v_ldexp_f32 v92, v92, v95
	v_cndmask_b32_e32 v92, 0, v92, vcc_lo
	v_cmp_nlt_f32_e32 vcc_lo, 0x42b17218, v91
	v_cndmask_b32_e32 v91, 0x7f800000, v92, vcc_lo
	v_add_f32_e32 v91, 1.0, v91
	v_rcp_f32_e32 v91, v91
	v_fma_f32 v96, v91, -2.0, 1.0
.LBB81_51:                              ;   in Loop: Header=BB81_9 Depth=1
	s_andn2_saveexec_b32 s19, s19
	s_cbranch_execz .LBB81_53
; %bb.52:                               ;   in Loop: Header=BB81_9 Depth=1
	v_mul_f32_e32 v91, v16, v16
	v_fmaak_f32 v92, s18, v91, 0x3ca908c9
	v_fmaak_f32 v92, v91, v92, 0xbd5c1c4e
	;; [unrolled: 1-line block ×4, first 2 shown]
	v_mul_f32_e64 v92, |v16|, v92
	v_fma_f32 v96, v91, v92, |v16|
.LBB81_53:                              ;   in Loop: Header=BB81_9 Depth=1
	s_or_b32 exec_lo, exec_lo, s19
	global_load_ushort v95, v[1:2], off offset:128
	v_cmp_ngt_f32_e64 s19, 0x3f200000, |v17|
                                        ; implicit-def: $vgpr97
	s_and_saveexec_b32 s24, s19
	s_xor_b32 s19, exec_lo, s24
	s_cbranch_execz .LBB81_55
; %bb.54:                               ;   in Loop: Header=BB81_9 Depth=1
	v_add_f32_e64 v91, |v17|, |v17|
	v_mul_f32_e32 v92, 0x3fb8aa3b, v91
	v_cmp_ngt_f32_e32 vcc_lo, 0xc2ce8ed0, v91
	v_rndne_f32_e32 v97, v92
	v_fma_f32 v98, 0x3fb8aa3b, v91, -v92
	v_sub_f32_e32 v92, v92, v97
	v_fmac_f32_e32 v98, 0x32a5705f, v91
	v_cvt_i32_f32_e32 v97, v97
	v_add_f32_e32 v92, v92, v98
	v_exp_f32_e32 v92, v92
	v_ldexp_f32 v92, v92, v97
	v_cndmask_b32_e32 v92, 0, v92, vcc_lo
	v_cmp_nlt_f32_e32 vcc_lo, 0x42b17218, v91
	v_cndmask_b32_e32 v91, 0x7f800000, v92, vcc_lo
	v_add_f32_e32 v91, 1.0, v91
	v_rcp_f32_e32 v91, v91
	v_fma_f32 v97, v91, -2.0, 1.0
.LBB81_55:                              ;   in Loop: Header=BB81_9 Depth=1
	s_andn2_saveexec_b32 s19, s19
	s_cbranch_execz .LBB81_57
; %bb.56:                               ;   in Loop: Header=BB81_9 Depth=1
	v_mul_f32_e32 v91, v17, v17
	v_fmaak_f32 v92, s18, v91, 0x3ca908c9
	v_fmaak_f32 v92, v91, v92, 0xbd5c1c4e
	;; [unrolled: 1-line block ×4, first 2 shown]
	v_mul_f32_e64 v92, |v17|, v92
	v_fma_f32 v97, v91, v92, |v17|
.LBB81_57:                              ;   in Loop: Header=BB81_9 Depth=1
	s_or_b32 exec_lo, exec_lo, s19
	global_load_ushort v101, v[1:2], off offset:192
	v_bfi_b32 v1, 0x7fffffff, v90, v14
	v_bfi_b32 v2, 0x7fffffff, v89, v15
	v_cmp_ngt_f32_e64 s19, 0x3f200000, |v10|
	s_waitcnt vmcnt(3)
	v_fma_mix_f32 v92, s10, v1, v20 op_sel_hi:[0,0,1]
	s_waitcnt vmcnt(2)
	v_fma_mix_f32 v91, s10, v2, v83 op_sel_hi:[0,0,1]
	v_bfi_b32 v1, 0x7fffffff, v96, v16
	v_bfi_b32 v2, 0x7fffffff, v97, v17
	v_add_f32_e32 v14, 0x40051340, v92
	v_add_f32_e32 v15, 0x40051340, v91
	s_waitcnt vmcnt(1)
	v_fma_mix_f32 v90, s10, v1, v95 op_sel_hi:[0,0,1]
	v_max3_f32 v1, v75, v14, v15
	s_waitcnt vmcnt(0)
	v_fma_mix_f32 v89, s10, v2, v101 op_sel_hi:[0,0,1]
	v_add_f32_e32 v2, 0x40051340, v90
	v_add_f32_e32 v14, 0x40051340, v89
	v_max3_f32 v1, v1, v2, v14
                                        ; implicit-def: $vgpr14
	ds_bpermute_b32 v2, v3, v1
	s_waitcnt lgkmcnt(0)
	v_max_f32_e32 v2, v2, v2
	v_max_f32_e32 v1, v1, v2
	ds_bpermute_b32 v2, v87, v1
	s_waitcnt lgkmcnt(0)
	v_max_f32_e32 v2, v2, v2
	v_max_f32_e32 v1, v1, v2
	;; [unrolled: 4-line block ×4, first 2 shown]
	ds_bpermute_b32 v2, v4, v1
	s_and_saveexec_b32 s24, s19
	s_xor_b32 s19, exec_lo, s24
	s_cbranch_execz .LBB81_59
; %bb.58:                               ;   in Loop: Header=BB81_9 Depth=1
	v_add_f32_e64 v14, |v10|, |v10|
	v_mul_f32_e32 v15, 0x3fb8aa3b, v14
	v_cmp_ngt_f32_e32 vcc_lo, 0xc2ce8ed0, v14
	v_rndne_f32_e32 v16, v15
	v_fma_f32 v17, 0x3fb8aa3b, v14, -v15
	v_sub_f32_e32 v15, v15, v16
	v_fmac_f32_e32 v17, 0x32a5705f, v14
	v_cvt_i32_f32_e32 v16, v16
	v_add_f32_e32 v15, v15, v17
	v_exp_f32_e32 v15, v15
	v_ldexp_f32 v15, v15, v16
	v_cndmask_b32_e32 v15, 0, v15, vcc_lo
	v_cmp_nlt_f32_e32 vcc_lo, 0x42b17218, v14
	v_cndmask_b32_e32 v14, 0x7f800000, v15, vcc_lo
	v_add_f32_e32 v14, 1.0, v14
	v_rcp_f32_e32 v14, v14
	v_fma_f32 v14, v14, -2.0, 1.0
.LBB81_59:                              ;   in Loop: Header=BB81_9 Depth=1
	s_andn2_saveexec_b32 s19, s19
	s_cbranch_execz .LBB81_61
; %bb.60:                               ;   in Loop: Header=BB81_9 Depth=1
	v_mul_f32_e32 v14, v10, v10
	v_fmaak_f32 v15, s18, v14, 0x3ca908c9
	v_fmaak_f32 v15, v14, v15, 0xbd5c1c4e
	;; [unrolled: 1-line block ×4, first 2 shown]
	v_mul_f32_e64 v15, |v10|, v15
	v_fma_f32 v14, v14, v15, |v10|
.LBB81_61:                              ;   in Loop: Header=BB81_9 Depth=1
	s_or_b32 exec_lo, exec_lo, s19
	v_cmp_ngt_f32_e64 s19, 0x3f200000, |v11|
                                        ; implicit-def: $vgpr15
	s_and_saveexec_b32 s24, s19
	s_xor_b32 s19, exec_lo, s24
	s_cbranch_execz .LBB81_63
; %bb.62:                               ;   in Loop: Header=BB81_9 Depth=1
	v_add_f32_e64 v15, |v11|, |v11|
	v_mul_f32_e32 v16, 0x3fb8aa3b, v15
	v_cmp_ngt_f32_e32 vcc_lo, 0xc2ce8ed0, v15
	v_rndne_f32_e32 v17, v16
	v_fma_f32 v96, 0x3fb8aa3b, v15, -v16
	v_sub_f32_e32 v16, v16, v17
	v_fmac_f32_e32 v96, 0x32a5705f, v15
	v_cvt_i32_f32_e32 v17, v17
	v_add_f32_e32 v16, v16, v96
	v_exp_f32_e32 v16, v16
	v_ldexp_f32 v16, v16, v17
	v_cndmask_b32_e32 v16, 0, v16, vcc_lo
	v_cmp_nlt_f32_e32 vcc_lo, 0x42b17218, v15
	v_cndmask_b32_e32 v15, 0x7f800000, v16, vcc_lo
	v_add_f32_e32 v15, 1.0, v15
	v_rcp_f32_e32 v15, v15
	v_fma_f32 v15, v15, -2.0, 1.0
.LBB81_63:                              ;   in Loop: Header=BB81_9 Depth=1
	s_andn2_saveexec_b32 s19, s19
	s_cbranch_execz .LBB81_65
; %bb.64:                               ;   in Loop: Header=BB81_9 Depth=1
	v_mul_f32_e32 v15, v11, v11
	v_fmaak_f32 v16, s18, v15, 0x3ca908c9
	v_fmaak_f32 v16, v15, v16, 0xbd5c1c4e
	;; [unrolled: 1-line block ×4, first 2 shown]
	v_mul_f32_e64 v16, |v11|, v16
	v_fma_f32 v15, v15, v16, |v11|
.LBB81_65:                              ;   in Loop: Header=BB81_9 Depth=1
	s_or_b32 exec_lo, exec_lo, s19
	v_cmp_ngt_f32_e64 s19, 0x3f200000, |v12|
                                        ; implicit-def: $vgpr16
	s_and_saveexec_b32 s24, s19
	s_xor_b32 s19, exec_lo, s24
	s_cbranch_execz .LBB81_67
; %bb.66:                               ;   in Loop: Header=BB81_9 Depth=1
	v_add_f32_e64 v16, |v12|, |v12|
	v_mul_f32_e32 v17, 0x3fb8aa3b, v16
	v_cmp_ngt_f32_e32 vcc_lo, 0xc2ce8ed0, v16
	v_rndne_f32_e32 v96, v17
	v_fma_f32 v97, 0x3fb8aa3b, v16, -v17
	v_sub_f32_e32 v17, v17, v96
	v_fmac_f32_e32 v97, 0x32a5705f, v16
	v_cvt_i32_f32_e32 v96, v96
	v_add_f32_e32 v17, v17, v97
	v_exp_f32_e32 v17, v17
	v_ldexp_f32 v17, v17, v96
	v_cndmask_b32_e32 v17, 0, v17, vcc_lo
	v_cmp_nlt_f32_e32 vcc_lo, 0x42b17218, v16
	v_cndmask_b32_e32 v16, 0x7f800000, v17, vcc_lo
	v_add_f32_e32 v16, 1.0, v16
	v_rcp_f32_e32 v16, v16
	v_fma_f32 v16, v16, -2.0, 1.0
.LBB81_67:                              ;   in Loop: Header=BB81_9 Depth=1
	s_andn2_saveexec_b32 s19, s19
	s_cbranch_execz .LBB81_69
; %bb.68:                               ;   in Loop: Header=BB81_9 Depth=1
	v_mul_f32_e32 v16, v12, v12
	v_fmaak_f32 v17, s18, v16, 0x3ca908c9
	v_fmaak_f32 v17, v16, v17, 0xbd5c1c4e
	;; [unrolled: 1-line block ×4, first 2 shown]
	v_mul_f32_e64 v17, |v12|, v17
	v_fma_f32 v16, v16, v17, |v12|
.LBB81_69:                              ;   in Loop: Header=BB81_9 Depth=1
	s_or_b32 exec_lo, exec_lo, s19
	v_cmp_ngt_f32_e64 s19, 0x3f200000, |v13|
                                        ; implicit-def: $vgpr17
	s_and_saveexec_b32 s24, s19
	s_xor_b32 s19, exec_lo, s24
	s_cbranch_execz .LBB81_71
; %bb.70:                               ;   in Loop: Header=BB81_9 Depth=1
	v_add_f32_e64 v17, |v13|, |v13|
	v_mul_f32_e32 v96, 0x3fb8aa3b, v17
	v_cmp_ngt_f32_e32 vcc_lo, 0xc2ce8ed0, v17
	v_rndne_f32_e32 v97, v96
	v_fma_f32 v98, 0x3fb8aa3b, v17, -v96
	v_sub_f32_e32 v96, v96, v97
	v_fmac_f32_e32 v98, 0x32a5705f, v17
	v_cvt_i32_f32_e32 v97, v97
	v_add_f32_e32 v96, v96, v98
	v_exp_f32_e32 v96, v96
	v_ldexp_f32 v96, v96, v97
	v_cndmask_b32_e32 v96, 0, v96, vcc_lo
	v_cmp_nlt_f32_e32 vcc_lo, 0x42b17218, v17
	v_cndmask_b32_e32 v17, 0x7f800000, v96, vcc_lo
	v_add_f32_e32 v17, 1.0, v17
	v_rcp_f32_e32 v17, v17
	v_fma_f32 v17, v17, -2.0, 1.0
.LBB81_71:                              ;   in Loop: Header=BB81_9 Depth=1
	s_andn2_saveexec_b32 s19, s19
	s_cbranch_execz .LBB81_73
; %bb.72:                               ;   in Loop: Header=BB81_9 Depth=1
	v_mul_f32_e32 v17, v13, v13
	v_fmaak_f32 v96, s18, v17, 0x3ca908c9
	v_fmaak_f32 v96, v17, v96, 0xbd5c1c4e
	;; [unrolled: 1-line block ×4, first 2 shown]
	v_mul_f32_e64 v96, |v13|, v96
	v_fma_f32 v17, v17, v96, |v13|
.LBB81_73:                              ;   in Loop: Header=BB81_9 Depth=1
	s_or_b32 exec_lo, exec_lo, s19
	v_cvt_f32_f16_e32 v98, v20
	v_bfi_b32 v10, 0x7fffffff, v14, v10
	v_cvt_f32_f16_e32 v97, v83
	v_bfi_b32 v11, 0x7fffffff, v15, v11
	v_cvt_f32_f16_e32 v96, v95
	v_cvt_f32_f16_e32 v95, v101
	v_fmac_f32_e32 v98, s10, v10
	v_bfi_b32 v10, 0x7fffffff, v16, v12
	v_bfi_b32 v12, 0x7fffffff, v17, v13
	v_fmac_f32_e32 v97, s10, v11
	s_mul_hi_i32 s25, s6, s8
	v_add_f32_e32 v11, 0x40051340, v98
	v_fmac_f32_e32 v96, s10, v10
	v_fmac_f32_e32 v95, s10, v12
	v_add_f32_e32 v10, 0x40051340, v97
	s_mul_i32 s24, s6, s8
	s_waitcnt lgkmcnt(0)
	v_max_f32_e32 v2, v2, v2
	v_add_f32_e32 v12, 0x40051340, v96
	v_add_f32_e32 v13, 0x40051340, v95
	v_max3_f32 v10, v74, v11, v10
	v_max_f32_e32 v1, v1, v1
	s_lshl_b64 s[24:25], s[24:25], 2
	v_max_f32_e32 v14, v100, v100
	v_max_f32_e32 v15, v99, v99
	v_max3_f32 v10, v10, v12, v13
	v_max_f32_e32 v12, v19, v19
	v_max_f32_e32 v13, v18, v18
	s_add_u32 s19, s12, s24
	s_addc_u32 s24, s13, s25
	ds_bpermute_b32 v11, v3, v10
	v_max_f32_e32 v3, v1, v2
	v_max_f32_e32 v2, v13, v12
	v_add_co_u32 v12, vcc_lo, s19, v33
	v_max_f32_e32 v1, v15, v14
	v_add_co_ci_u32_e64 v13, null, s24, v34, vcc_lo
	v_add_co_u32 v14, vcc_lo, s19, v35
	v_add_co_ci_u32_e64 v15, null, s24, v36, vcc_lo
	v_sub_f32_e32 v83, v9, v1
	v_sub_f32_e32 v99, v6, v1
	s_waitcnt lgkmcnt(0)
	s_barrier
	buffer_gl0_inv
	v_sub_f32_e32 v100, v7, v1
	v_sub_f32_e32 v101, v8, v1
	v_mul_f32_e32 v104, 0x3fb8aa3b, v99
	v_max_f32_e32 v11, v11, v11
	v_mul_f32_e32 v107, 0x3fb8aa3b, v83
	v_mul_f32_e32 v105, 0x3fb8aa3b, v100
	;; [unrolled: 1-line block ×3, first 2 shown]
	v_fma_f32 v112, 0x3fb8aa3b, v99, -v104
	v_max_f32_e32 v16, v10, v11
	v_add_co_u32 v11, vcc_lo, s19, v37
	v_add_co_ci_u32_e64 v17, null, s24, v38, vcc_lo
	ds_bpermute_b32 v18, v87, v16
	v_add_co_u32 v19, vcc_lo, s19, v39
	v_add_co_ci_u32_e64 v20, null, s24, v40, vcc_lo
	v_sub_f32_e32 v87, v5, v1
	v_add_co_u32 v5, vcc_lo, v12, v65
	v_add_co_ci_u32_e64 v6, null, 0, v13, vcc_lo
	v_add_co_u32 v9, vcc_lo, v14, v65
	v_add_co_ci_u32_e64 v10, null, 0, v15, vcc_lo
	;; [unrolled: 2-line block ×3, first 2 shown]
	v_add_co_u32 v17, vcc_lo, v19, v65
	s_waitcnt lgkmcnt(0)
	v_max_f32_e32 v15, v18, v18
	v_add_co_ci_u32_e64 v18, null, 0, v20, vcc_lo
	s_clause 0x1
	global_load_dwordx4 v[5:8], v[5:6], off
	global_load_dwordx4 v[9:12], v[9:10], off
	v_mul_f32_e32 v103, 0x3fb8aa3b, v87
	v_max_f32_e32 v102, v16, v15
	s_clause 0x1
	global_load_dwordx4 v[13:16], v[13:14], off
	global_load_dwordx4 v[17:20], v[17:18], off
	v_rndne_f32_e32 v113, v104
	v_fma_f32 v114, 0x3fb8aa3b, v100, -v105
	v_fma_f32 v110, 0x3fb8aa3b, v87, -v103
	ds_bpermute_b32 v85, v85, v102
	v_rndne_f32_e32 v111, v103
	v_rndne_f32_e32 v115, v105
	v_fmac_f32_e32 v112, 0x32a5705f, v99
	v_fmac_f32_e32 v110, 0x32a5705f, v87
	v_sub_f32_e32 v104, v104, v113
	v_sub_f32_e32 v103, v103, v111
	v_fma_f32 v116, 0x3fb8aa3b, v101, -v106
	v_rndne_f32_e32 v117, v106
	v_fmac_f32_e32 v114, 0x32a5705f, v100
	v_sub_f32_e32 v105, v105, v115
	v_add_f32_e32 v103, v103, v110
	v_add_f32_e32 v104, v104, v112
	v_cvt_i32_f32_e32 v111, v111
	v_fmac_f32_e32 v116, 0x32a5705f, v101
	v_sub_f32_e32 v106, v106, v117
	v_exp_f32_e32 v103, v103
	v_add_f32_e32 v105, v105, v114
	v_exp_f32_e32 v104, v104
	v_cmp_ngt_f32_e32 vcc_lo, 0xc2ce8ed0, v87
	s_waitcnt lgkmcnt(0)
	v_max_f32_e32 v85, v85, v85
	v_add_f32_e32 v106, v106, v116
	v_exp_f32_e32 v105, v105
	v_fma_f32 v118, 0x3fb8aa3b, v83, -v107
	v_rndne_f32_e32 v119, v107
	v_max_f32_e32 v85, v102, v85
	v_cvt_i32_f32_e32 v102, v113
	v_ldexp_f32 v103, v103, v111
	v_cvt_i32_f32_e32 v110, v115
	v_exp_f32_e32 v106, v106
	ds_bpermute_b32 v84, v84, v85
	v_ldexp_f32 v102, v104, v102
	v_fmac_f32_e32 v118, 0x32a5705f, v83
	v_sub_f32_e32 v107, v107, v119
	v_cvt_i32_f32_e32 v112, v117
	v_ldexp_f32 v104, v105, v110
	v_cvt_i32_f32_e32 v113, v119
	v_sub_f32_e32 v93, v93, v2
	v_add_f32_e32 v107, v107, v118
	v_ldexp_f32 v105, v106, v112
	v_sub_f32_e32 v94, v94, v2
	v_sub_f32_e32 v88, v88, v2
	v_mul_f32_e32 v108, 0x3fb8aa3b, v93
	v_exp_f32_e32 v107, v107
	v_sub_f32_e32 v86, v86, v2
	v_mul_f32_e32 v109, 0x3fb8aa3b, v94
	v_sub_f32_e32 v76, v76, v2
	v_fma_f32 v120, 0x3fb8aa3b, v93, -v108
	v_rndne_f32_e32 v121, v108
	v_sub_f32_e32 v92, v92, v3
	s_waitcnt lgkmcnt(0)
	v_max_f32_e32 v84, v84, v84
	v_sub_f32_e32 v91, v91, v3
	v_fmac_f32_e32 v120, 0x32a5705f, v93
	v_ldexp_f32 v106, v107, v113
	v_sub_f32_e32 v108, v108, v121
	v_max_f32_e32 v84, v85, v84
	v_cndmask_b32_e32 v85, 0, v103, vcc_lo
	v_cmp_ngt_f32_e32 vcc_lo, 0xc2ce8ed0, v99
	v_sub_f32_e32 v89, v89, v3
	s_or_b32 s19, s6, 64
	ds_bpermute_b32 v4, v4, v84
	s_mul_hi_i32 s25, s19, s8
	v_cndmask_b32_e32 v102, 0, v102, vcc_lo
	v_cmp_ngt_f32_e32 vcc_lo, 0xc2ce8ed0, v100
	s_mul_i32 s24, s19, s8
	s_lshl_b64 s[24:25], s[24:25], 2
	v_cndmask_b32_e32 v103, 0, v104, vcc_lo
	v_cmp_ngt_f32_e32 vcc_lo, 0xc2ce8ed0, v101
	s_add_u32 s19, s12, s24
	s_addc_u32 s24, s13, s25
	v_cndmask_b32_e32 v104, 0, v105, vcc_lo
	v_cmp_nlt_f32_e32 vcc_lo, 0x42b17218, v87
	v_cndmask_b32_e32 v85, 0x7f800000, v85, vcc_lo
	v_cmp_nlt_f32_e32 vcc_lo, 0x42b17218, v99
	s_waitcnt lgkmcnt(0)
	v_max_f32_e32 v4, v4, v4
	v_cndmask_b32_e32 v87, 0x7f800000, v102, vcc_lo
	v_cmp_ngt_f32_e32 vcc_lo, 0xc2ce8ed0, v83
	v_max_f32_e32 v4, v84, v4
	v_mul_f32_e32 v84, 0x3fb8aa3b, v88
	v_add_f32_e32 v102, v85, v87
	v_cndmask_b32_e32 v99, 0, v106, vcc_lo
	v_cmp_nlt_f32_e32 vcc_lo, 0x42b17218, v100
	v_fma_f32 v107, 0x3fb8aa3b, v88, -v84
	v_sub_f32_e32 v98, v98, v4
	v_sub_f32_e32 v96, v96, v4
	v_cvt_f16_f32_e32 v85, v85
	v_cndmask_b32_e32 v100, 0x7f800000, v103, vcc_lo
	v_cmp_nlt_f32_e32 vcc_lo, 0x42b17218, v101
	v_rndne_f32_e32 v103, v109
	v_fmac_f32_e32 v107, 0x32a5705f, v88
	v_mul_f32_e32 v111, 0x3fb8aa3b, v96
	v_cvt_f16_f32_e32 v87, v87
	v_cndmask_b32_e32 v101, 0x7f800000, v104, vcc_lo
	v_cmp_nlt_f32_e32 vcc_lo, 0x42b17218, v83
	v_add_f32_e32 v83, v100, v102
	v_add_f32_e32 v104, v108, v120
	v_sub_f32_e32 v105, v109, v103
	v_cvt_f16_f32_e32 v102, v101
	v_cndmask_b32_e32 v99, 0x7f800000, v99, vcc_lo
	v_add_f32_e32 v83, v101, v83
	v_fma_f32 v101, 0x3fb8aa3b, v94, -v109
	v_rndne_f32_e32 v108, v84
	v_exp_f32_e32 v104, v104
	v_cvt_f16_f32_e32 v106, v99
	v_fmac_f32_e32 v83, v77, v99
	v_fmac_f32_e32 v101, 0x32a5705f, v94
	v_sub_f32_e32 v84, v84, v108
	v_cvt_i32_f32_e32 v99, v121
	v_cvt_i32_f32_e32 v103, v103
	v_cmp_ngt_f32_e32 vcc_lo, 0xc2ce8ed0, v93
	v_add_f32_e32 v77, v105, v101
	v_add_f32_e32 v84, v84, v107
	v_ldexp_f32 v99, v104, v99
	v_mul_f32_e32 v104, 0x3fb8aa3b, v86
	v_mul_u32_u24_sdwa v101, v106, v66 dst_sel:DWORD dst_unused:UNUSED_PAD src0_sel:WORD_0 src1_sel:DWORD
	v_exp_f32_e32 v77, v77
	v_exp_f32_e32 v84, v84
	v_cndmask_b32_e32 v99, 0, v99, vcc_lo
	v_cmp_ngt_f32_e32 vcc_lo, 0xc2ce8ed0, v94
	v_rndne_f32_e32 v105, v104
	v_cvt_i32_f32_e32 v106, v108
	v_mul_f32_e32 v107, 0x3fb8aa3b, v91
	v_fma_f32 v113, 0x3fb8aa3b, v96, -v111
	v_rndne_f32_e32 v114, v111
	v_cvt_f16_f32_e32 v100, v100
	v_ldexp_f32 v77, v77, v103
	v_fma_f32 v103, 0x3fb8aa3b, v86, -v104
	v_sub_f32_e32 v104, v104, v105
	v_ldexp_f32 v84, v84, v106
	v_mul_f32_e32 v106, 0x3fb8aa3b, v76
	v_cndmask_b32_e32 v77, 0, v77, vcc_lo
	v_cmp_nlt_f32_e32 vcc_lo, 0x42b17218, v93
	v_fmac_f32_e32 v103, 0x32a5705f, v86
	v_rndne_f32_e32 v108, v107
	v_fmac_f32_e32 v113, 0x32a5705f, v96
	v_pk_mul_f16 v72, v72, v101
	v_cndmask_b32_e32 v93, 0x7f800000, v99, vcc_lo
	v_cmp_nlt_f32_e32 vcc_lo, 0x42b17218, v94
	v_add_f32_e32 v94, v104, v103
	v_fma_f32 v99, 0x3fb8aa3b, v76, -v106
	v_rndne_f32_e32 v103, v106
	v_cndmask_b32_e32 v77, 0x7f800000, v77, vcc_lo
	v_cmp_ngt_f32_e32 vcc_lo, 0xc2ce8ed0, v88
	v_fmac_f32_e32 v99, 0x32a5705f, v76
	v_sub_f32_e32 v106, v106, v103
	v_exp_f32_e32 v94, v94
	v_add_f32_e32 v104, v93, v77
	v_cndmask_b32_e32 v84, 0, v84, vcc_lo
	v_cmp_nlt_f32_e32 vcc_lo, 0x42b17218, v88
	v_add_f32_e32 v99, v106, v99
	v_cvt_i32_f32_e32 v88, v105
	v_cvt_f16_f32_e32 v105, v77
	v_cvt_f16_f32_e32 v93, v93
	v_cndmask_b32_e32 v84, 0x7f800000, v84, vcc_lo
	v_exp_f32_e32 v99, v99
	v_ldexp_f32 v88, v94, v88
	v_cmp_ngt_f32_e32 vcc_lo, 0xc2ce8ed0, v86
	v_add_f32_e32 v77, v84, v104
	v_mul_f32_e32 v104, 0x3fb8aa3b, v92
	v_cvt_f16_f32_e32 v94, v84
	v_cvt_i32_f32_e32 v84, v103
	v_cndmask_b32_e32 v88, 0, v88, vcc_lo
	v_cmp_nlt_f32_e32 vcc_lo, 0x42b17218, v86
	v_fma_f32 v103, 0x3fb8aa3b, v92, -v104
	v_rndne_f32_e32 v106, v104
	v_ldexp_f32 v84, v99, v84
	v_cndmask_b32_e32 v86, 0x7f800000, v88, vcc_lo
	v_fmac_f32_e32 v103, 0x32a5705f, v92
	v_sub_f32_e32 v99, v104, v106
	v_fma_f32 v104, 0x3fb8aa3b, v91, -v107
	v_cmp_ngt_f32_e32 vcc_lo, 0xc2ce8ed0, v76
	v_add_f32_e32 v88, v99, v103
	v_fmac_f32_e32 v104, 0x32a5705f, v91
	v_sub_f32_e32 v99, v107, v108
	v_cndmask_b32_e32 v103, 0, v84, vcc_lo
	v_add_f32_e32 v84, v86, v77
	v_exp_f32_e32 v77, v88
	v_sub_f32_e32 v88, v90, v3
	v_add_f32_e32 v90, v99, v104
	v_cmp_nlt_f32_e32 vcc_lo, 0x42b17218, v76
	v_sub_f32_e32 v104, v75, v3
	v_mul_f32_e32 v107, 0x3fb8aa3b, v89
	v_mul_f32_e32 v76, 0x3fb8aa3b, v88
	v_exp_f32_e32 v90, v90
	v_cndmask_b32_e32 v99, 0x7f800000, v103, vcc_lo
	v_cvt_f16_f32_e32 v103, v86
	v_cvt_i32_f32_e32 v86, v106
	v_fma_f32 v75, 0x3fb8aa3b, v88, -v76
	v_rndne_f32_e32 v106, v76
	v_cmp_ngt_f32_e32 vcc_lo, 0xc2ce8ed0, v92
	v_rndne_f32_e32 v109, v107
	v_ldexp_f32 v77, v77, v86
	v_cvt_i32_f32_e32 v86, v108
	v_fmac_f32_e32 v75, 0x32a5705f, v88
	v_sub_f32_e32 v76, v76, v106
	v_fma_f32 v108, 0x3fb8aa3b, v89, -v107
	v_cndmask_b32_e32 v77, 0, v77, vcc_lo
	v_ldexp_f32 v86, v90, v86
	v_cmp_ngt_f32_e32 vcc_lo, 0xc2ce8ed0, v91
	v_add_f32_e32 v75, v76, v75
	v_fmac_f32_e32 v108, 0x32a5705f, v89
	v_sub_f32_e32 v76, v107, v109
	v_fmac_f32_e32 v84, v73, v99
	v_cndmask_b32_e32 v86, 0, v86, vcc_lo
	v_cmp_nlt_f32_e32 vcc_lo, 0x42b17218, v92
	v_exp_f32_e32 v75, v75
	v_add_f32_e32 v76, v76, v108
	v_mul_f32_e32 v108, 0x3fb8aa3b, v98
	v_cndmask_b32_e32 v92, 0x7f800000, v77, vcc_lo
	v_cmp_nlt_f32_e32 vcc_lo, 0x42b17218, v91
	v_mul_f32_e32 v77, 0x3fb8aa3b, v104
	v_exp_f32_e32 v76, v76
	v_cvt_f16_f32_e32 v107, v92
	v_cndmask_b32_e32 v91, 0x7f800000, v86, vcc_lo
	v_cvt_i32_f32_e32 v86, v106
	v_fma_f32 v90, 0x3fb8aa3b, v104, -v77
	v_rndne_f32_e32 v106, v77
	v_cmp_ngt_f32_e32 vcc_lo, 0xc2ce8ed0, v88
	v_ldexp_f32 v75, v75, v86
	v_cvt_i32_f32_e32 v86, v109
	v_fmac_f32_e32 v90, 0x32a5705f, v104
	v_sub_f32_e32 v77, v77, v106
	v_cvt_i32_f32_e32 v106, v106
	v_cndmask_b32_e32 v75, 0, v75, vcc_lo
	v_cmp_nlt_f32_e32 vcc_lo, 0x42b17218, v88
	v_ldexp_f32 v76, v76, v86
	v_add_f32_e32 v77, v77, v90
	v_rndne_f32_e32 v88, v108
	v_sub_f32_e32 v90, v97, v4
	v_cndmask_b32_e32 v109, 0x7f800000, v75, vcc_lo
	v_cmp_ngt_f32_e32 vcc_lo, 0xc2ce8ed0, v89
	v_exp_f32_e32 v77, v77
	v_cvt_f16_f32_e32 v86, v91
	v_mul_f32_e32 v97, 0x3fb8aa3b, v90
	v_cndmask_b32_e32 v75, 0, v76, vcc_lo
	v_fma_f32 v76, 0x3fb8aa3b, v98, -v108
	v_cmp_nlt_f32_e32 vcc_lo, 0x42b17218, v89
	v_sub_f32_e32 v89, v108, v88
	v_cvt_i32_f32_e32 v88, v88
	v_cvt_f16_f32_e32 v108, v109
	v_fmac_f32_e32 v76, 0x32a5705f, v98
	v_ldexp_f32 v106, v77, v106
	v_sub_f32_e32 v77, v95, v4
	v_rndne_f32_e32 v95, v97
	v_cndmask_b32_e32 v75, 0x7f800000, v75, vcc_lo
	v_add_f32_e32 v76, v89, v76
	v_fma_f32 v89, 0x3fb8aa3b, v90, -v97
	v_mul_f32_e32 v112, 0x3fb8aa3b, v77
	v_sub_f32_e32 v97, v97, v95
	v_cmp_ngt_f32_e32 vcc_lo, 0xc2ce8ed0, v98
	v_exp_f32_e32 v76, v76
	v_fmac_f32_e32 v89, 0x32a5705f, v90
	v_fma_f32 v115, 0x3fb8aa3b, v77, -v112
	v_rndne_f32_e32 v116, v112
	v_cvt_i32_f32_e32 v95, v95
	v_cvt_f16_f32_e32 v110, v75
	v_add_f32_e32 v89, v97, v89
	v_sub_f32_e32 v97, v111, v114
	v_fmac_f32_e32 v115, 0x32a5705f, v77
	v_sub_f32_e32 v111, v112, v116
	v_sub_f32_e32 v112, v74, v4
	v_ldexp_f32 v74, v76, v88
	v_exp_f32_e32 v76, v89
	v_add_f32_e32 v88, v97, v113
	v_add_f32_e32 v89, v111, v115
	v_cvt_i32_f32_e32 v114, v114
	v_cndmask_b32_e32 v74, 0, v74, vcc_lo
	v_cmp_ngt_f32_e32 vcc_lo, 0xc2ce8ed0, v90
	v_exp_f32_e32 v88, v88
	v_exp_f32_e32 v89, v89
	v_cvt_i32_f32_e32 v115, v116
	v_mul_f32_e32 v97, 0x3fb8aa3b, v112
	v_ldexp_f32 v76, v76, v95
	v_rndne_f32_e32 v113, v97
	v_cndmask_b32_e32 v76, 0, v76, vcc_lo
	v_ldexp_f32 v88, v88, v114
	v_cmp_ngt_f32_e32 vcc_lo, 0xc2ce8ed0, v96
	v_ldexp_f32 v89, v89, v115
	v_fma_f32 v111, 0x3fb8aa3b, v112, -v97
	v_sub_f32_e32 v95, v97, v113
	v_cndmask_b32_e32 v88, 0, v88, vcc_lo
	v_cmp_ngt_f32_e32 vcc_lo, 0xc2ce8ed0, v77
	v_fmac_f32_e32 v111, 0x32a5705f, v112
	v_cndmask_b32_e32 v89, 0, v89, vcc_lo
	v_cmp_nlt_f32_e32 vcc_lo, 0x42b17218, v98
	v_add_f32_e32 v95, v95, v111
	v_add_nc_u32_e32 v111, v60, v48
	v_cndmask_b32_e32 v97, 0x7f800000, v74, vcc_lo
	v_cmp_nlt_f32_e32 vcc_lo, 0x42b17218, v90
	v_exp_f32_e32 v95, v95
	v_cndmask_b32_e32 v98, 0x7f800000, v76, vcc_lo
	v_cmp_nlt_f32_e32 vcc_lo, 0x42b17218, v96
	v_cvt_i32_f32_e32 v76, v113
	v_cndmask_b32_e32 v96, 0x7f800000, v88, vcc_lo
	v_cmp_nlt_f32_e32 vcc_lo, 0x42b17218, v77
	v_cvt_f16_f32_e32 v77, v97
	v_cvt_f16_f32_e32 v88, v98
	v_ldexp_f32 v95, v95, v76
	v_pack_b32_f16 v76, v85, v93
	v_cndmask_b32_e32 v74, 0x7f800000, v89, vcc_lo
	v_cmp_ngt_f32_e32 vcc_lo, 0xc2ce8ed0, v104
	v_cvt_f16_f32_e32 v89, v96
	v_pack_b32_f16 v77, v107, v77
	v_pack_b32_f16 v86, v86, v88
	v_cvt_f16_f32_e32 v90, v74
	v_pack_b32_f16 v85, v87, v105
	v_cndmask_b32_e32 v93, 0, v106, vcc_lo
	v_cmp_ngt_f32_e32 vcc_lo, 0xc2ce8ed0, v112
	v_pack_b32_f16 v88, v108, v89
	v_pack_b32_f16 v87, v100, v94
	;; [unrolled: 1-line block ×4, first 2 shown]
	v_cndmask_b32_e32 v94, 0, v95, vcc_lo
	ds_write2_b64 v111, v[76:77], v[85:86] offset1:32
	ds_write2_b64 v111, v[87:88], v[89:90] offset0:64 offset1:96
	s_waitcnt vmcnt(3)
	ds_write_b128 v58, v[5:8]
	s_waitcnt vmcnt(2)
	ds_write_b128 v61, v[9:12]
	;; [unrolled: 2-line block ×4, first 2 shown]
	s_waitcnt lgkmcnt(0)
	s_barrier
	buffer_gl0_inv
	ds_read_b128 v[5:8], v60
	v_cmp_nlt_f32_e32 vcc_lo, 0x42b17218, v104
	ds_read2_b64 v[9:12], v48 offset1:32
	v_cvt_f16_f32_e32 v13, v99
	v_add_f32_e32 v16, v92, v91
	v_add_f32_e32 v17, v97, v98
	v_cndmask_b32_e32 v77, 0x7f800000, v93, vcc_lo
	v_cmp_nlt_f32_e32 vcc_lo, 0x42b17218, v112
	v_mul_u32_u24_sdwa v73, v13, v66 dst_sel:DWORD dst_unused:UNUSED_PAD src0_sel:WORD_0 src1_sel:DWORD
	v_add_f32_e32 v86, v109, v16
	v_add_f32_e32 v85, v96, v17
	v_cvt_f16_f32_e32 v14, v77
	v_cndmask_b32_e32 v76, 0x7f800000, v94, vcc_lo
	v_pk_mul_f16 v70, v70, v73
	v_add_co_u32 v176, vcc_lo, s19, v33
	v_mul_u32_u24_sdwa v91, v14, v66 dst_sel:DWORD dst_unused:UNUSED_PAD src0_sel:WORD_0 src1_sel:DWORD
	v_cvt_f16_f32_e32 v15, v76
	v_add_co_ci_u32_e64 v177, null, s24, v34, vcc_lo
	v_add_co_u32 v178, vcc_lo, s19, v35
	v_mul_u32_u24_sdwa v18, v15, v66 dst_sel:DWORD dst_unused:UNUSED_PAD src0_sel:WORD_0 src1_sel:DWORD
	v_pk_mul_f16 v92, v24, v91
	ds_read_b128 v[13:16], v60 offset:16
	s_waitcnt lgkmcnt(2)
	v_mul_u32_u24_sdwa v24, v5, v66 dst_sel:DWORD dst_unused:UNUSED_PAD src0_sel:WORD_0 src1_sel:DWORD
	v_mul_u32_u24_sdwa v5, v5, v66 dst_sel:DWORD dst_unused:UNUSED_PAD src0_sel:WORD_1 src1_sel:DWORD
	v_mul_u32_u24_sdwa v93, v6, v66 dst_sel:DWORD dst_unused:UNUSED_PAD src0_sel:WORD_0 src1_sel:DWORD
	v_pk_mul_f16 v22, v22, v18
	v_pk_mul_f16 v94, v21, v18
	v_mul_u32_u24_sdwa v6, v6, v66 dst_sel:DWORD dst_unused:UNUSED_PAD src0_sel:WORD_1 src1_sel:DWORD
	s_waitcnt lgkmcnt(1)
	v_pk_mul_f16 v21, v9, v24
	v_pk_mul_f16 v95, v9, v5
	;; [unrolled: 1-line block ×3, first 2 shown]
	ds_read_b128 v[17:20], v60 offset:32
	ds_read_b128 v[87:90], v60 offset:48
	v_pk_fma_f16 v9, v9, v6, v22
	v_pk_fma_f16 v71, v71, v101, v21
	;; [unrolled: 1-line block ×5, first 2 shown]
	ds_read2_b64 v[21:24], v48 offset0:64 offset1:96
	v_pk_fma_f16 v5, v10, v5, v70
	v_pk_fma_f16 v70, v10, v93, v92
	v_mul_u32_u24_sdwa v91, v7, v66 dst_sel:DWORD dst_unused:UNUSED_PAD src0_sel:WORD_0 src1_sel:DWORD
	v_mul_u32_u24_sdwa v7, v7, v66 dst_sel:DWORD dst_unused:UNUSED_PAD src0_sel:WORD_1 src1_sel:DWORD
	v_mul_u32_u24_sdwa v92, v8, v66 dst_sel:DWORD dst_unused:UNUSED_PAD src0_sel:WORD_0 src1_sel:DWORD
	v_mul_u32_u24_sdwa v8, v8, v66 dst_sel:DWORD dst_unused:UNUSED_PAD src0_sel:WORD_1 src1_sel:DWORD
	v_pk_fma_f16 v6, v10, v6, v94
	v_pk_fma_f16 v10, v11, v91, v71
	;; [unrolled: 1-line block ×7, first 2 shown]
	s_waitcnt lgkmcnt(3)
	v_mul_u32_u24_sdwa v5, v13, v66 dst_sel:DWORD dst_unused:UNUSED_PAD src0_sel:WORD_0 src1_sel:DWORD
	v_pk_fma_f16 v70, v12, v92, v70
	v_pk_fma_f16 v12, v12, v8, v6
	v_mul_u32_u24_sdwa v13, v13, v66 dst_sel:DWORD dst_unused:UNUSED_PAD src0_sel:WORD_1 src1_sel:DWORD
	v_mul_u32_u24_sdwa v73, v14, v66 dst_sel:DWORD dst_unused:UNUSED_PAD src0_sel:WORD_0 src1_sel:DWORD
	v_mul_u32_u24_sdwa v14, v14, v66 dst_sel:DWORD dst_unused:UNUSED_PAD src0_sel:WORD_1 src1_sel:DWORD
	s_waitcnt lgkmcnt(0)
	v_pk_fma_f16 v10, v21, v5, v10
	v_pk_fma_f16 v11, v22, v5, v11
	ds_read2_b64 v[5:8], v48 offset0:128 offset1:160
	v_pk_fma_f16 v69, v21, v13, v69
	v_pk_fma_f16 v71, v21, v73, v71
	;; [unrolled: 1-line block ×5, first 2 shown]
	v_mul_u32_u24_sdwa v70, v15, v66 dst_sel:DWORD dst_unused:UNUSED_PAD src0_sel:WORD_0 src1_sel:DWORD
	v_mul_u32_u24_sdwa v15, v15, v66 dst_sel:DWORD dst_unused:UNUSED_PAD src0_sel:WORD_1 src1_sel:DWORD
	v_mul_u32_u24_sdwa v72, v16, v66 dst_sel:DWORD dst_unused:UNUSED_PAD src0_sel:WORD_0 src1_sel:DWORD
	v_mul_u32_u24_sdwa v16, v16, v66 dst_sel:DWORD dst_unused:UNUSED_PAD src0_sel:WORD_1 src1_sel:DWORD
	v_pk_fma_f16 v12, v22, v14, v12
	v_pk_fma_f16 v10, v23, v70, v10
	;; [unrolled: 1-line block ×8, first 2 shown]
	v_mul_u32_u24_sdwa v21, v17, v66 dst_sel:DWORD dst_unused:UNUSED_PAD src0_sel:WORD_0 src1_sel:DWORD
	v_mul_u32_u24_sdwa v17, v17, v66 dst_sel:DWORD dst_unused:UNUSED_PAD src0_sel:WORD_1 src1_sel:DWORD
	v_mul_u32_u24_sdwa v23, v18, v66 dst_sel:DWORD dst_unused:UNUSED_PAD src0_sel:WORD_0 src1_sel:DWORD
	v_mul_u32_u24_sdwa v18, v18, v66 dst_sel:DWORD dst_unused:UNUSED_PAD src0_sel:WORD_1 src1_sel:DWORD
	v_pk_fma_f16 v16, v24, v16, v12
	s_waitcnt lgkmcnt(0)
	v_pk_fma_f16 v24, v5, v21, v10
	v_pk_fma_f16 v14, v5, v17, v14
	;; [unrolled: 1-line block ×5, first 2 shown]
	ds_read2_b64 v[9:12], v48 offset0:192 offset1:224
	v_pk_fma_f16 v13, v6, v17, v13
	v_pk_fma_f16 v15, v6, v23, v15
	v_mul_u32_u24_sdwa v17, v19, v66 dst_sel:DWORD dst_unused:UNUSED_PAD src0_sel:WORD_0 src1_sel:DWORD
	v_mul_u32_u24_sdwa v19, v19, v66 dst_sel:DWORD dst_unused:UNUSED_PAD src0_sel:WORD_1 src1_sel:DWORD
	v_mul_u32_u24_sdwa v23, v20, v66 dst_sel:DWORD dst_unused:UNUSED_PAD src0_sel:WORD_0 src1_sel:DWORD
	v_mul_u32_u24_sdwa v20, v20, v66 dst_sel:DWORD dst_unused:UNUSED_PAD src0_sel:WORD_1 src1_sel:DWORD
	v_pk_fma_f16 v6, v6, v18, v16
	v_pk_fma_f16 v16, v7, v17, v24
	;; [unrolled: 1-line block ×8, first 2 shown]
	v_mul_u32_u24_sdwa v15, v87, v66 dst_sel:DWORD dst_unused:UNUSED_PAD src0_sel:WORD_0 src1_sel:DWORD
	v_mul_u32_u24_sdwa v21, v87, v66 dst_sel:DWORD dst_unused:UNUSED_PAD src0_sel:WORD_1 src1_sel:DWORD
	v_pk_fma_f16 v20, v8, v20, v6
	v_add_nc_u32_e32 v69, 0x800, v48
	ds_read_b128 v[5:8], v60 offset:64
	s_waitcnt lgkmcnt(1)
	v_pk_fma_f16 v70, v9, v15, v16
	v_pk_fma_f16 v71, v9, v21, v14
	;; [unrolled: 1-line block ×4, first 2 shown]
	ds_read2_b64 v[13:16], v69 offset1:32
	v_mul_u32_u24_sdwa v23, v88, v66 dst_sel:DWORD dst_unused:UNUSED_PAD src0_sel:WORD_0 src1_sel:DWORD
	v_mul_u32_u24_sdwa v24, v88, v66 dst_sel:DWORD dst_unused:UNUSED_PAD src0_sel:WORD_1 src1_sel:DWORD
	v_mul_u32_u24_sdwa v72, v90, v66 dst_sel:DWORD dst_unused:UNUSED_PAD src0_sel:WORD_0 src1_sel:DWORD
	v_mul_u32_u24_sdwa v73, v90, v66 dst_sel:DWORD dst_unused:UNUSED_PAD src0_sel:WORD_1 src1_sel:DWORD
	v_add_co_ci_u32_e64 v179, null, s24, v36, vcc_lo
	v_pk_fma_f16 v18, v9, v23, v18
	v_pk_fma_f16 v9, v9, v24, v22
	;; [unrolled: 1-line block ×3, first 2 shown]
	v_mul_u32_u24_sdwa v22, v89, v66 dst_sel:DWORD dst_unused:UNUSED_PAD src0_sel:WORD_0 src1_sel:DWORD
	v_mul_u32_u24_sdwa v23, v89, v66 dst_sel:DWORD dst_unused:UNUSED_PAD src0_sel:WORD_1 src1_sel:DWORD
	v_pk_fma_f16 v10, v10, v24, v20
	v_pk_fma_f16 v9, v11, v73, v9
	v_add_co_u32 v184, vcc_lo, v176, v65
	v_pk_fma_f16 v24, v11, v22, v70
	v_pk_fma_f16 v70, v11, v23, v71
	;; [unrolled: 1-line block ×6, first 2 shown]
	ds_read_b128 v[17:20], v60 offset:80
	s_waitcnt lgkmcnt(2)
	v_mul_u32_u24_sdwa v23, v5, v66 dst_sel:DWORD dst_unused:UNUSED_PAD src0_sel:WORD_0 src1_sel:DWORD
	v_mul_u32_u24_sdwa v5, v5, v66 dst_sel:DWORD dst_unused:UNUSED_PAD src0_sel:WORD_1 src1_sel:DWORD
	v_mul_u32_u24_sdwa v72, v6, v66 dst_sel:DWORD dst_unused:UNUSED_PAD src0_sel:WORD_0 src1_sel:DWORD
	v_mul_u32_u24_sdwa v6, v6, v66 dst_sel:DWORD dst_unused:UNUSED_PAD src0_sel:WORD_1 src1_sel:DWORD
	v_pk_fma_f16 v73, v12, v73, v10
	s_waitcnt lgkmcnt(1)
	v_pk_fma_f16 v24, v13, v23, v24
	v_pk_fma_f16 v70, v13, v5, v70
	;; [unrolled: 1-line block ×5, first 2 shown]
	ds_read2_b64 v[9:12], v69 offset0:64 offset1:96
	v_pk_fma_f16 v5, v14, v5, v21
	v_pk_fma_f16 v21, v14, v72, v22
	v_mul_u32_u24_sdwa v22, v7, v66 dst_sel:DWORD dst_unused:UNUSED_PAD src0_sel:WORD_0 src1_sel:DWORD
	v_mul_u32_u24_sdwa v7, v7, v66 dst_sel:DWORD dst_unused:UNUSED_PAD src0_sel:WORD_1 src1_sel:DWORD
	v_mul_u32_u24_sdwa v72, v8, v66 dst_sel:DWORD dst_unused:UNUSED_PAD src0_sel:WORD_0 src1_sel:DWORD
	v_mul_u32_u24_sdwa v8, v8, v66 dst_sel:DWORD dst_unused:UNUSED_PAD src0_sel:WORD_1 src1_sel:DWORD
	v_pk_fma_f16 v6, v14, v6, v73
	v_pk_fma_f16 v14, v15, v22, v24
	;; [unrolled: 1-line block ×8, first 2 shown]
	s_waitcnt lgkmcnt(1)
	v_mul_u32_u24_sdwa v23, v17, v66 dst_sel:DWORD dst_unused:UNUSED_PAD src0_sel:WORD_0 src1_sel:DWORD
	v_mul_u32_u24_sdwa v17, v17, v66 dst_sel:DWORD dst_unused:UNUSED_PAD src0_sel:WORD_1 src1_sel:DWORD
	v_pk_fma_f16 v71, v16, v8, v6
	v_mul_u32_u24_sdwa v72, v18, v66 dst_sel:DWORD dst_unused:UNUSED_PAD src0_sel:WORD_0 src1_sel:DWORD
	v_mul_u32_u24_sdwa v18, v18, v66 dst_sel:DWORD dst_unused:UNUSED_PAD src0_sel:WORD_1 src1_sel:DWORD
	ds_read_b128 v[5:8], v60 offset:96
	s_waitcnt lgkmcnt(1)
	v_pk_fma_f16 v73, v9, v23, v14
	v_pk_fma_f16 v24, v9, v17, v24
	;; [unrolled: 1-line block ×5, first 2 shown]
	ds_read2_b64 v[13:16], v69 offset0:128 offset1:160
	v_pk_fma_f16 v17, v10, v17, v22
	v_pk_fma_f16 v21, v10, v72, v21
	v_mul_u32_u24_sdwa v22, v19, v66 dst_sel:DWORD dst_unused:UNUSED_PAD src0_sel:WORD_0 src1_sel:DWORD
	v_mul_u32_u24_sdwa v19, v19, v66 dst_sel:DWORD dst_unused:UNUSED_PAD src0_sel:WORD_1 src1_sel:DWORD
	v_mul_u32_u24_sdwa v72, v20, v66 dst_sel:DWORD dst_unused:UNUSED_PAD src0_sel:WORD_0 src1_sel:DWORD
	v_mul_u32_u24_sdwa v87, v20, v66 dst_sel:DWORD dst_unused:UNUSED_PAD src0_sel:WORD_1 src1_sel:DWORD
	v_pk_fma_f16 v10, v10, v18, v71
	v_pk_fma_f16 v71, v11, v22, v73
	;; [unrolled: 1-line block ×8, first 2 shown]
	ds_read_b128 v[17:20], v60 offset:112
	s_waitcnt lgkmcnt(2)
	v_mul_u32_u24_sdwa v23, v5, v66 dst_sel:DWORD dst_unused:UNUSED_PAD src0_sel:WORD_0 src1_sel:DWORD
	v_mul_u32_u24_sdwa v5, v5, v66 dst_sel:DWORD dst_unused:UNUSED_PAD src0_sel:WORD_1 src1_sel:DWORD
	v_mul_u32_u24_sdwa v72, v6, v66 dst_sel:DWORD dst_unused:UNUSED_PAD src0_sel:WORD_0 src1_sel:DWORD
	v_mul_u32_u24_sdwa v6, v6, v66 dst_sel:DWORD dst_unused:UNUSED_PAD src0_sel:WORD_1 src1_sel:DWORD
	v_pk_fma_f16 v73, v12, v87, v10
	s_waitcnt lgkmcnt(1)
	v_pk_fma_f16 v71, v13, v23, v71
	v_pk_fma_f16 v24, v13, v5, v24
	;; [unrolled: 1-line block ×5, first 2 shown]
	ds_read2_b64 v[9:12], v69 offset0:192 offset1:224
	v_pk_fma_f16 v5, v14, v5, v22
	v_pk_fma_f16 v21, v14, v72, v21
	v_mul_u32_u24_sdwa v22, v7, v66 dst_sel:DWORD dst_unused:UNUSED_PAD src0_sel:WORD_0 src1_sel:DWORD
	v_mul_u32_u24_sdwa v7, v7, v66 dst_sel:DWORD dst_unused:UNUSED_PAD src0_sel:WORD_1 src1_sel:DWORD
	v_mul_u32_u24_sdwa v72, v8, v66 dst_sel:DWORD dst_unused:UNUSED_PAD src0_sel:WORD_0 src1_sel:DWORD
	v_mul_u32_u24_sdwa v8, v8, v66 dst_sel:DWORD dst_unused:UNUSED_PAD src0_sel:WORD_1 src1_sel:DWORD
	v_pk_fma_f16 v6, v14, v6, v73
	v_pk_fma_f16 v14, v15, v22, v71
	;; [unrolled: 1-line block ×8, first 2 shown]
	s_waitcnt lgkmcnt(1)
	v_mul_u32_u24_sdwa v23, v17, v66 dst_sel:DWORD dst_unused:UNUSED_PAD src0_sel:WORD_0 src1_sel:DWORD
	v_mul_u32_u24_sdwa v17, v17, v66 dst_sel:DWORD dst_unused:UNUSED_PAD src0_sel:WORD_1 src1_sel:DWORD
	v_pk_fma_f16 v72, v16, v8, v6
	v_mul_u32_u24_sdwa v73, v18, v66 dst_sel:DWORD dst_unused:UNUSED_PAD src0_sel:WORD_0 src1_sel:DWORD
	v_mul_u32_u24_sdwa v18, v18, v66 dst_sel:DWORD dst_unused:UNUSED_PAD src0_sel:WORD_1 src1_sel:DWORD
	v_add_nc_u32_e32 v70, 0x1000, v48
	ds_read_b128 v[5:8], v60 offset:128
	s_waitcnt lgkmcnt(1)
	v_pk_fma_f16 v87, v9, v23, v14
	v_pk_fma_f16 v24, v9, v17, v24
	;; [unrolled: 1-line block ×5, first 2 shown]
	ds_read2_b64 v[13:16], v70 offset1:32
	v_pk_fma_f16 v17, v10, v17, v22
	v_pk_fma_f16 v21, v10, v73, v21
	v_mul_u32_u24_sdwa v22, v19, v66 dst_sel:DWORD dst_unused:UNUSED_PAD src0_sel:WORD_0 src1_sel:DWORD
	v_mul_u32_u24_sdwa v19, v19, v66 dst_sel:DWORD dst_unused:UNUSED_PAD src0_sel:WORD_1 src1_sel:DWORD
	v_mul_u32_u24_sdwa v73, v20, v66 dst_sel:DWORD dst_unused:UNUSED_PAD src0_sel:WORD_0 src1_sel:DWORD
	v_mul_u32_u24_sdwa v88, v20, v66 dst_sel:DWORD dst_unused:UNUSED_PAD src0_sel:WORD_1 src1_sel:DWORD
	v_pk_fma_f16 v10, v10, v18, v72
	v_pk_fma_f16 v72, v11, v22, v87
	;; [unrolled: 1-line block ×8, first 2 shown]
	ds_read_b128 v[17:20], v60 offset:144
	s_waitcnt lgkmcnt(2)
	v_mul_u32_u24_sdwa v23, v5, v66 dst_sel:DWORD dst_unused:UNUSED_PAD src0_sel:WORD_0 src1_sel:DWORD
	v_mul_u32_u24_sdwa v5, v5, v66 dst_sel:DWORD dst_unused:UNUSED_PAD src0_sel:WORD_1 src1_sel:DWORD
	v_mul_u32_u24_sdwa v73, v6, v66 dst_sel:DWORD dst_unused:UNUSED_PAD src0_sel:WORD_0 src1_sel:DWORD
	v_mul_u32_u24_sdwa v6, v6, v66 dst_sel:DWORD dst_unused:UNUSED_PAD src0_sel:WORD_1 src1_sel:DWORD
	v_pk_fma_f16 v87, v12, v88, v10
	s_waitcnt lgkmcnt(1)
	v_pk_fma_f16 v72, v13, v23, v72
	v_pk_fma_f16 v24, v13, v5, v24
	;; [unrolled: 1-line block ×5, first 2 shown]
	ds_read2_b64 v[9:12], v70 offset0:64 offset1:96
	v_pk_fma_f16 v5, v14, v5, v22
	v_pk_fma_f16 v21, v14, v73, v21
	v_mul_u32_u24_sdwa v22, v7, v66 dst_sel:DWORD dst_unused:UNUSED_PAD src0_sel:WORD_0 src1_sel:DWORD
	v_mul_u32_u24_sdwa v7, v7, v66 dst_sel:DWORD dst_unused:UNUSED_PAD src0_sel:WORD_1 src1_sel:DWORD
	v_mul_u32_u24_sdwa v73, v8, v66 dst_sel:DWORD dst_unused:UNUSED_PAD src0_sel:WORD_0 src1_sel:DWORD
	v_mul_u32_u24_sdwa v8, v8, v66 dst_sel:DWORD dst_unused:UNUSED_PAD src0_sel:WORD_1 src1_sel:DWORD
	v_pk_fma_f16 v6, v14, v6, v87
	v_pk_fma_f16 v14, v15, v22, v72
	;; [unrolled: 1-line block ×8, first 2 shown]
	s_waitcnt lgkmcnt(1)
	v_mul_u32_u24_sdwa v23, v17, v66 dst_sel:DWORD dst_unused:UNUSED_PAD src0_sel:WORD_0 src1_sel:DWORD
	v_mul_u32_u24_sdwa v17, v17, v66 dst_sel:DWORD dst_unused:UNUSED_PAD src0_sel:WORD_1 src1_sel:DWORD
	v_pk_fma_f16 v72, v16, v8, v6
	v_mul_u32_u24_sdwa v73, v18, v66 dst_sel:DWORD dst_unused:UNUSED_PAD src0_sel:WORD_0 src1_sel:DWORD
	v_mul_u32_u24_sdwa v18, v18, v66 dst_sel:DWORD dst_unused:UNUSED_PAD src0_sel:WORD_1 src1_sel:DWORD
	ds_read_b128 v[5:8], v60 offset:160
	s_waitcnt lgkmcnt(1)
	v_pk_fma_f16 v87, v9, v23, v14
	v_pk_fma_f16 v24, v9, v17, v24
	;; [unrolled: 1-line block ×5, first 2 shown]
	ds_read2_b64 v[13:16], v70 offset0:128 offset1:160
	v_pk_fma_f16 v17, v10, v17, v22
	v_pk_fma_f16 v21, v10, v73, v21
	v_mul_u32_u24_sdwa v22, v19, v66 dst_sel:DWORD dst_unused:UNUSED_PAD src0_sel:WORD_0 src1_sel:DWORD
	v_mul_u32_u24_sdwa v19, v19, v66 dst_sel:DWORD dst_unused:UNUSED_PAD src0_sel:WORD_1 src1_sel:DWORD
	v_mul_u32_u24_sdwa v73, v20, v66 dst_sel:DWORD dst_unused:UNUSED_PAD src0_sel:WORD_0 src1_sel:DWORD
	v_mul_u32_u24_sdwa v88, v20, v66 dst_sel:DWORD dst_unused:UNUSED_PAD src0_sel:WORD_1 src1_sel:DWORD
	v_pk_fma_f16 v10, v10, v18, v72
	v_pk_fma_f16 v72, v11, v22, v87
	;; [unrolled: 1-line block ×8, first 2 shown]
	ds_read_b128 v[17:20], v60 offset:176
	s_waitcnt lgkmcnt(2)
	v_mul_u32_u24_sdwa v23, v5, v66 dst_sel:DWORD dst_unused:UNUSED_PAD src0_sel:WORD_0 src1_sel:DWORD
	v_mul_u32_u24_sdwa v5, v5, v66 dst_sel:DWORD dst_unused:UNUSED_PAD src0_sel:WORD_1 src1_sel:DWORD
	v_mul_u32_u24_sdwa v73, v6, v66 dst_sel:DWORD dst_unused:UNUSED_PAD src0_sel:WORD_0 src1_sel:DWORD
	v_mul_u32_u24_sdwa v6, v6, v66 dst_sel:DWORD dst_unused:UNUSED_PAD src0_sel:WORD_1 src1_sel:DWORD
	v_pk_fma_f16 v87, v12, v88, v10
	s_waitcnt lgkmcnt(1)
	v_pk_fma_f16 v72, v13, v23, v72
	v_pk_fma_f16 v24, v13, v5, v24
	;; [unrolled: 1-line block ×5, first 2 shown]
	ds_read2_b64 v[9:12], v70 offset0:192 offset1:224
	v_pk_fma_f16 v5, v14, v5, v22
	v_pk_fma_f16 v21, v14, v73, v21
	v_mul_u32_u24_sdwa v22, v7, v66 dst_sel:DWORD dst_unused:UNUSED_PAD src0_sel:WORD_0 src1_sel:DWORD
	v_mul_u32_u24_sdwa v7, v7, v66 dst_sel:DWORD dst_unused:UNUSED_PAD src0_sel:WORD_1 src1_sel:DWORD
	v_mul_u32_u24_sdwa v73, v8, v66 dst_sel:DWORD dst_unused:UNUSED_PAD src0_sel:WORD_0 src1_sel:DWORD
	v_mul_u32_u24_sdwa v8, v8, v66 dst_sel:DWORD dst_unused:UNUSED_PAD src0_sel:WORD_1 src1_sel:DWORD
	v_pk_fma_f16 v6, v14, v6, v87
	v_pk_fma_f16 v14, v15, v22, v72
	;; [unrolled: 1-line block ×8, first 2 shown]
	s_waitcnt lgkmcnt(1)
	v_mul_u32_u24_sdwa v23, v17, v66 dst_sel:DWORD dst_unused:UNUSED_PAD src0_sel:WORD_0 src1_sel:DWORD
	v_mul_u32_u24_sdwa v17, v17, v66 dst_sel:DWORD dst_unused:UNUSED_PAD src0_sel:WORD_1 src1_sel:DWORD
	v_pk_fma_f16 v73, v16, v8, v6
	v_mul_u32_u24_sdwa v87, v18, v66 dst_sel:DWORD dst_unused:UNUSED_PAD src0_sel:WORD_0 src1_sel:DWORD
	v_mul_u32_u24_sdwa v18, v18, v66 dst_sel:DWORD dst_unused:UNUSED_PAD src0_sel:WORD_1 src1_sel:DWORD
	v_add_nc_u32_e32 v71, 0x1800, v48
	ds_read_b128 v[5:8], v60 offset:192
	s_waitcnt lgkmcnt(1)
	v_pk_fma_f16 v88, v9, v23, v14
	v_pk_fma_f16 v24, v9, v17, v24
	;; [unrolled: 1-line block ×5, first 2 shown]
	ds_read2_b64 v[13:16], v71 offset1:32
	v_pk_fma_f16 v17, v10, v17, v22
	v_pk_fma_f16 v21, v10, v87, v21
	v_mul_u32_u24_sdwa v22, v19, v66 dst_sel:DWORD dst_unused:UNUSED_PAD src0_sel:WORD_0 src1_sel:DWORD
	v_mul_u32_u24_sdwa v19, v19, v66 dst_sel:DWORD dst_unused:UNUSED_PAD src0_sel:WORD_1 src1_sel:DWORD
	v_mul_u32_u24_sdwa v87, v20, v66 dst_sel:DWORD dst_unused:UNUSED_PAD src0_sel:WORD_0 src1_sel:DWORD
	v_mul_u32_u24_sdwa v89, v20, v66 dst_sel:DWORD dst_unused:UNUSED_PAD src0_sel:WORD_1 src1_sel:DWORD
	v_pk_fma_f16 v10, v10, v18, v73
	v_pk_fma_f16 v73, v11, v22, v88
	;; [unrolled: 1-line block ×8, first 2 shown]
	ds_read_b128 v[17:20], v60 offset:208
	s_waitcnt lgkmcnt(2)
	v_mul_u32_u24_sdwa v23, v5, v66 dst_sel:DWORD dst_unused:UNUSED_PAD src0_sel:WORD_0 src1_sel:DWORD
	v_mul_u32_u24_sdwa v5, v5, v66 dst_sel:DWORD dst_unused:UNUSED_PAD src0_sel:WORD_1 src1_sel:DWORD
	v_mul_u32_u24_sdwa v87, v6, v66 dst_sel:DWORD dst_unused:UNUSED_PAD src0_sel:WORD_0 src1_sel:DWORD
	v_mul_u32_u24_sdwa v6, v6, v66 dst_sel:DWORD dst_unused:UNUSED_PAD src0_sel:WORD_1 src1_sel:DWORD
	v_pk_fma_f16 v88, v12, v89, v10
	s_waitcnt lgkmcnt(1)
	v_pk_fma_f16 v73, v13, v23, v73
	v_pk_fma_f16 v24, v13, v5, v24
	;; [unrolled: 1-line block ×5, first 2 shown]
	ds_read2_b64 v[9:12], v71 offset0:64 offset1:96
	v_pk_fma_f16 v5, v14, v5, v22
	v_pk_fma_f16 v21, v14, v87, v21
	v_mul_u32_u24_sdwa v22, v7, v66 dst_sel:DWORD dst_unused:UNUSED_PAD src0_sel:WORD_0 src1_sel:DWORD
	v_mul_u32_u24_sdwa v7, v7, v66 dst_sel:DWORD dst_unused:UNUSED_PAD src0_sel:WORD_1 src1_sel:DWORD
	v_mul_u32_u24_sdwa v87, v8, v66 dst_sel:DWORD dst_unused:UNUSED_PAD src0_sel:WORD_0 src1_sel:DWORD
	v_mul_u32_u24_sdwa v8, v8, v66 dst_sel:DWORD dst_unused:UNUSED_PAD src0_sel:WORD_1 src1_sel:DWORD
	v_pk_fma_f16 v6, v14, v6, v88
	v_pk_fma_f16 v14, v15, v22, v73
	v_pk_fma_f16 v24, v15, v7, v24
	v_pk_fma_f16 v72, v15, v87, v72
	v_pk_fma_f16 v13, v15, v8, v13
	v_pk_fma_f16 v15, v16, v22, v23
	v_pk_fma_f16 v22, v16, v7, v5
	v_pk_fma_f16 v21, v16, v87, v21
	s_waitcnt lgkmcnt(1)
	v_mul_u32_u24_sdwa v23, v17, v66 dst_sel:DWORD dst_unused:UNUSED_PAD src0_sel:WORD_0 src1_sel:DWORD
	v_mul_u32_u24_sdwa v17, v17, v66 dst_sel:DWORD dst_unused:UNUSED_PAD src0_sel:WORD_1 src1_sel:DWORD
	v_pk_fma_f16 v73, v16, v8, v6
	v_mul_u32_u24_sdwa v87, v18, v66 dst_sel:DWORD dst_unused:UNUSED_PAD src0_sel:WORD_0 src1_sel:DWORD
	v_mul_u32_u24_sdwa v18, v18, v66 dst_sel:DWORD dst_unused:UNUSED_PAD src0_sel:WORD_1 src1_sel:DWORD
	ds_read_b128 v[5:8], v60 offset:224
	s_waitcnt lgkmcnt(1)
	v_pk_fma_f16 v88, v9, v23, v14
	v_pk_fma_f16 v24, v9, v17, v24
	;; [unrolled: 1-line block ×5, first 2 shown]
	ds_read2_b64 v[13:16], v71 offset0:128 offset1:160
	v_pk_fma_f16 v17, v10, v17, v22
	v_pk_fma_f16 v21, v10, v87, v21
	v_mul_u32_u24_sdwa v22, v19, v66 dst_sel:DWORD dst_unused:UNUSED_PAD src0_sel:WORD_0 src1_sel:DWORD
	v_mul_u32_u24_sdwa v19, v19, v66 dst_sel:DWORD dst_unused:UNUSED_PAD src0_sel:WORD_1 src1_sel:DWORD
	v_mul_u32_u24_sdwa v87, v20, v66 dst_sel:DWORD dst_unused:UNUSED_PAD src0_sel:WORD_0 src1_sel:DWORD
	v_mul_u32_u24_sdwa v89, v20, v66 dst_sel:DWORD dst_unused:UNUSED_PAD src0_sel:WORD_1 src1_sel:DWORD
	v_pk_fma_f16 v10, v10, v18, v73
	v_pk_fma_f16 v73, v11, v22, v88
	;; [unrolled: 1-line block ×8, first 2 shown]
	ds_read_b128 v[17:20], v60 offset:240
	s_waitcnt lgkmcnt(2)
	v_mul_u32_u24_sdwa v23, v5, v66 dst_sel:DWORD dst_unused:UNUSED_PAD src0_sel:WORD_0 src1_sel:DWORD
	v_mul_u32_u24_sdwa v5, v5, v66 dst_sel:DWORD dst_unused:UNUSED_PAD src0_sel:WORD_1 src1_sel:DWORD
	v_mul_u32_u24_sdwa v87, v6, v66 dst_sel:DWORD dst_unused:UNUSED_PAD src0_sel:WORD_0 src1_sel:DWORD
	v_mul_u32_u24_sdwa v6, v6, v66 dst_sel:DWORD dst_unused:UNUSED_PAD src0_sel:WORD_1 src1_sel:DWORD
	v_pk_fma_f16 v88, v12, v89, v10
	s_waitcnt lgkmcnt(1)
	v_pk_fma_f16 v73, v13, v23, v73
	v_pk_fma_f16 v24, v13, v5, v24
	;; [unrolled: 1-line block ×5, first 2 shown]
	ds_read2_b64 v[9:12], v71 offset0:192 offset1:224
	v_pk_fma_f16 v5, v14, v5, v22
	v_pk_fma_f16 v21, v14, v87, v21
	v_mul_u32_u24_sdwa v22, v7, v66 dst_sel:DWORD dst_unused:UNUSED_PAD src0_sel:WORD_0 src1_sel:DWORD
	v_mul_u32_u24_sdwa v7, v7, v66 dst_sel:DWORD dst_unused:UNUSED_PAD src0_sel:WORD_1 src1_sel:DWORD
	v_mul_u32_u24_sdwa v87, v8, v66 dst_sel:DWORD dst_unused:UNUSED_PAD src0_sel:WORD_0 src1_sel:DWORD
	v_mul_u32_u24_sdwa v8, v8, v66 dst_sel:DWORD dst_unused:UNUSED_PAD src0_sel:WORD_1 src1_sel:DWORD
	v_pk_fma_f16 v6, v14, v6, v88
	v_pk_fma_f16 v14, v15, v22, v73
	;; [unrolled: 1-line block ×8, first 2 shown]
	s_waitcnt lgkmcnt(1)
	v_mul_u32_u24_sdwa v23, v17, v66 dst_sel:DWORD dst_unused:UNUSED_PAD src0_sel:WORD_0 src1_sel:DWORD
	v_mul_u32_u24_sdwa v17, v17, v66 dst_sel:DWORD dst_unused:UNUSED_PAD src0_sel:WORD_1 src1_sel:DWORD
	v_pk_fma_f16 v87, v16, v8, v6
	v_mul_u32_u24_sdwa v88, v18, v66 dst_sel:DWORD dst_unused:UNUSED_PAD src0_sel:WORD_0 src1_sel:DWORD
	v_mul_u32_u24_sdwa v18, v18, v66 dst_sel:DWORD dst_unused:UNUSED_PAD src0_sel:WORD_1 src1_sel:DWORD
	v_add_nc_u32_e32 v72, 0x2000, v48
	ds_read_b128 v[5:8], v60 offset:256
	s_waitcnt lgkmcnt(1)
	v_pk_fma_f16 v89, v9, v23, v14
	v_pk_fma_f16 v24, v9, v17, v24
	;; [unrolled: 1-line block ×5, first 2 shown]
	ds_read2_b64 v[13:16], v72 offset1:32
	v_pk_fma_f16 v17, v10, v17, v22
	v_pk_fma_f16 v21, v10, v88, v21
	v_mul_u32_u24_sdwa v22, v19, v66 dst_sel:DWORD dst_unused:UNUSED_PAD src0_sel:WORD_0 src1_sel:DWORD
	v_mul_u32_u24_sdwa v19, v19, v66 dst_sel:DWORD dst_unused:UNUSED_PAD src0_sel:WORD_1 src1_sel:DWORD
	v_mul_u32_u24_sdwa v88, v20, v66 dst_sel:DWORD dst_unused:UNUSED_PAD src0_sel:WORD_0 src1_sel:DWORD
	v_mul_u32_u24_sdwa v90, v20, v66 dst_sel:DWORD dst_unused:UNUSED_PAD src0_sel:WORD_1 src1_sel:DWORD
	v_pk_fma_f16 v10, v10, v18, v87
	v_pk_fma_f16 v87, v11, v22, v89
	;; [unrolled: 1-line block ×8, first 2 shown]
	ds_read_b128 v[17:20], v60 offset:272
	s_waitcnt lgkmcnt(2)
	v_mul_u32_u24_sdwa v21, v5, v66 dst_sel:DWORD dst_unused:UNUSED_PAD src0_sel:WORD_0 src1_sel:DWORD
	v_mul_u32_u24_sdwa v5, v5, v66 dst_sel:DWORD dst_unused:UNUSED_PAD src0_sel:WORD_1 src1_sel:DWORD
	v_pk_fma_f16 v10, v12, v90, v10
	v_mul_u32_u24_sdwa v91, v6, v66 dst_sel:DWORD dst_unused:UNUSED_PAD src0_sel:WORD_0 src1_sel:DWORD
	v_mul_u32_u24_sdwa v6, v6, v66 dst_sel:DWORD dst_unused:UNUSED_PAD src0_sel:WORD_1 src1_sel:DWORD
	s_waitcnt lgkmcnt(1)
	v_pk_fma_f16 v12, v13, v21, v87
	v_pk_fma_f16 v87, v13, v5, v24
	;; [unrolled: 1-line block ×3, first 2 shown]
	ds_read2_b64 v[21:24], v72 offset0:64 offset1:96
	v_pk_fma_f16 v73, v13, v91, v73
	v_pk_fma_f16 v9, v13, v6, v9
	;; [unrolled: 1-line block ×4, first 2 shown]
	v_mul_u32_u24_sdwa v88, v7, v66 dst_sel:DWORD dst_unused:UNUSED_PAD src0_sel:WORD_0 src1_sel:DWORD
	v_mul_u32_u24_sdwa v7, v7, v66 dst_sel:DWORD dst_unused:UNUSED_PAD src0_sel:WORD_1 src1_sel:DWORD
	v_mul_u32_u24_sdwa v89, v8, v66 dst_sel:DWORD dst_unused:UNUSED_PAD src0_sel:WORD_0 src1_sel:DWORD
	v_mul_u32_u24_sdwa v8, v8, v66 dst_sel:DWORD dst_unused:UNUSED_PAD src0_sel:WORD_1 src1_sel:DWORD
	v_pk_fma_f16 v6, v14, v6, v10
	v_pk_fma_f16 v10, v15, v88, v12
	;; [unrolled: 1-line block ×4, first 2 shown]
	s_waitcnt lgkmcnt(1)
	v_mul_u32_u24_sdwa v7, v17, v66 dst_sel:DWORD dst_unused:UNUSED_PAD src0_sel:WORD_0 src1_sel:DWORD
	v_mul_u32_u24_sdwa v17, v17, v66 dst_sel:DWORD dst_unused:UNUSED_PAD src0_sel:WORD_1 src1_sel:DWORD
	v_pk_fma_f16 v14, v15, v89, v73
	v_pk_fma_f16 v15, v15, v8, v9
	;; [unrolled: 1-line block ×4, first 2 shown]
	v_mul_u32_u24_sdwa v87, v18, v66 dst_sel:DWORD dst_unused:UNUSED_PAD src0_sel:WORD_0 src1_sel:DWORD
	v_mul_u32_u24_sdwa v18, v18, v66 dst_sel:DWORD dst_unused:UNUSED_PAD src0_sel:WORD_1 src1_sel:DWORD
	s_waitcnt lgkmcnt(0)
	v_pk_fma_f16 v88, v21, v7, v10
	v_pk_fma_f16 v89, v21, v17, v12
	ds_read_b128 v[9:12], v60 offset:288
	v_pk_fma_f16 v16, v16, v8, v6
	v_pk_fma_f16 v14, v21, v87, v14
	;; [unrolled: 1-line block ×5, first 2 shown]
	ds_read2_b64 v[5:8], v72 offset0:128 offset1:160
	v_add_co_ci_u32_e64 v185, null, 0, v177, vcc_lo
	v_add_co_u32 v188, vcc_lo, v178, v65
	v_add_co_ci_u32_e64 v189, null, 0, v179, vcc_lo
	v_add_co_u32 v176, vcc_lo, s19, v37
	v_pk_fma_f16 v13, v22, v87, v13
	v_mul_u32_u24_sdwa v73, v19, v66 dst_sel:DWORD dst_unused:UNUSED_PAD src0_sel:WORD_0 src1_sel:DWORD
	v_mul_u32_u24_sdwa v19, v19, v66 dst_sel:DWORD dst_unused:UNUSED_PAD src0_sel:WORD_1 src1_sel:DWORD
	v_mul_u32_u24_sdwa v90, v20, v66 dst_sel:DWORD dst_unused:UNUSED_PAD src0_sel:WORD_0 src1_sel:DWORD
	v_mul_u32_u24_sdwa v20, v20, v66 dst_sel:DWORD dst_unused:UNUSED_PAD src0_sel:WORD_1 src1_sel:DWORD
	v_add_co_ci_u32_e64 v177, null, s24, v38, vcc_lo
	v_add_co_u32 v178, vcc_lo, s19, v39
	v_add_co_ci_u32_e64 v179, null, s24, v40, vcc_lo
	v_add_co_u32 v192, vcc_lo, v176, v65
	v_pk_fma_f16 v18, v22, v18, v16
	v_pk_fma_f16 v22, v23, v73, v88
	;; [unrolled: 1-line block ×7, first 2 shown]
	ds_read_b128 v[13:16], v60 offset:304
	s_waitcnt lgkmcnt(2)
	v_mul_u32_u24_sdwa v200, v9, v66 dst_sel:DWORD dst_unused:UNUSED_PAD src0_sel:WORD_0 src1_sel:DWORD
	v_mul_u32_u24_sdwa v201, v9, v66 dst_sel:DWORD dst_unused:UNUSED_PAD src0_sel:WORD_1 src1_sel:DWORD
	v_mul_u32_u24_sdwa v202, v10, v66 dst_sel:DWORD dst_unused:UNUSED_PAD src0_sel:WORD_0 src1_sel:DWORD
	v_mul_u32_u24_sdwa v91, v10, v66 dst_sel:DWORD dst_unused:UNUSED_PAD src0_sel:WORD_1 src1_sel:DWORD
	v_add_nc_u32_e32 v73, 0x2800, v48
	v_add_nc_u32_e32 v10, 0x3000, v48
	v_add_nc_u32_e32 v9, 0x3800, v48
	v_add_co_ci_u32_e64 v193, null, 0, v177, vcc_lo
	v_add_co_u32 v196, vcc_lo, v178, v65
	v_add_co_ci_u32_e64 v197, null, 0, v179, vcc_lo
	v_pk_fma_f16 v89, v24, v19, v17
	v_pk_fma_f16 v203, v24, v20, v18
	s_waitcnt lgkmcnt(1)
	v_pk_fma_f16 v204, v5, v200, v22
	v_pk_fma_f16 v205, v5, v201, v92
	;; [unrolled: 1-line block ×3, first 2 shown]
	ds_read2_b64 v[92:95], v72 offset0:192 offset1:224
	ds_read2_b64 v[21:24], v73 offset1:32
	ds_read2_b64 v[17:20], v73 offset0:64 offset1:96
	ds_read_b128 v[96:99], v60 offset:320
	ds_read_b128 v[100:103], v60 offset:336
	ds_read2_b64 v[104:107], v73 offset0:128 offset1:160
	ds_read2_b64 v[108:111], v73 offset0:192 offset1:224
	ds_read_b128 v[112:115], v60 offset:352
	ds_read_b128 v[116:119], v60 offset:368
	ds_read2_b64 v[120:123], v10 offset1:32
	ds_read2_b64 v[124:127], v10 offset0:64 offset1:96
	ds_read_b128 v[128:131], v60 offset:384
	ds_read_b128 v[132:135], v60 offset:400
	ds_read2_b64 v[136:139], v10 offset0:128 offset1:160
	ds_read2_b64 v[140:143], v10 offset0:192 offset1:224
	ds_read_b128 v[144:147], v60 offset:416
	ds_read_b128 v[148:151], v60 offset:432
	;; [unrolled: 8-line block ×3, first 2 shown]
	s_waitcnt lgkmcnt(0)
	s_barrier
	buffer_gl0_inv
	s_clause 0x3
	global_load_dwordx4 v[184:187], v[184:185], off
	global_load_dwordx4 v[188:191], v[188:189], off
	;; [unrolled: 1-line block ×4, first 2 shown]
	v_pk_fma_f16 v5, v5, v91, v87
	v_pk_fma_f16 v87, v6, v200, v88
	;; [unrolled: 1-line block ×4, first 2 shown]
	v_mul_u32_u24_sdwa v90, v11, v66 dst_sel:DWORD dst_unused:UNUSED_PAD src0_sel:WORD_0 src1_sel:DWORD
	v_mul_u32_u24_sdwa v11, v11, v66 dst_sel:DWORD dst_unused:UNUSED_PAD src0_sel:WORD_1 src1_sel:DWORD
	v_mul_u32_u24_sdwa v200, v12, v66 dst_sel:DWORD dst_unused:UNUSED_PAD src0_sel:WORD_0 src1_sel:DWORD
	v_mul_u32_u24_sdwa v12, v12, v66 dst_sel:DWORD dst_unused:UNUSED_PAD src0_sel:WORD_1 src1_sel:DWORD
	v_pk_fma_f16 v6, v6, v91, v203
	v_pk_fma_f16 v91, v7, v90, v204
	;; [unrolled: 1-line block ×8, first 2 shown]
	v_mul_u32_u24_sdwa v88, v13, v66 dst_sel:DWORD dst_unused:UNUSED_PAD src0_sel:WORD_0 src1_sel:DWORD
	v_mul_u32_u24_sdwa v13, v13, v66 dst_sel:DWORD dst_unused:UNUSED_PAD src0_sel:WORD_1 src1_sel:DWORD
	v_mul_u32_u24_sdwa v89, v14, v66 dst_sel:DWORD dst_unused:UNUSED_PAD src0_sel:WORD_0 src1_sel:DWORD
	v_mul_u32_u24_sdwa v14, v14, v66 dst_sel:DWORD dst_unused:UNUSED_PAD src0_sel:WORD_1 src1_sel:DWORD
	v_pk_fma_f16 v6, v8, v12, v6
	v_pk_fma_f16 v8, v92, v88, v91
	v_pk_fma_f16 v12, v92, v13, v201
	v_pk_fma_f16 v90, v92, v89, v202
	v_pk_fma_f16 v5, v92, v14, v5
	v_pk_fma_f16 v7, v93, v88, v7
	v_pk_fma_f16 v11, v93, v13, v11
	v_pk_fma_f16 v13, v93, v89, v87
	v_mul_u32_u24_sdwa v87, v15, v66 dst_sel:DWORD dst_unused:UNUSED_PAD src0_sel:WORD_0 src1_sel:DWORD
	v_mul_u32_u24_sdwa v15, v15, v66 dst_sel:DWORD dst_unused:UNUSED_PAD src0_sel:WORD_1 src1_sel:DWORD
	v_mul_u32_u24_sdwa v88, v16, v66 dst_sel:DWORD dst_unused:UNUSED_PAD src0_sel:WORD_0 src1_sel:DWORD
	v_pk_fma_f16 v6, v93, v14, v6
	v_mul_u32_u24_sdwa v14, v16, v66 dst_sel:DWORD dst_unused:UNUSED_PAD src0_sel:WORD_1 src1_sel:DWORD
	v_pk_fma_f16 v8, v94, v87, v8
	v_pk_fma_f16 v12, v94, v15, v12
	;; [unrolled: 1-line block ×7, first 2 shown]
	v_mul_u32_u24_sdwa v15, v96, v66 dst_sel:DWORD dst_unused:UNUSED_PAD src0_sel:WORD_0 src1_sel:DWORD
	v_mul_u32_u24_sdwa v87, v96, v66 dst_sel:DWORD dst_unused:UNUSED_PAD src0_sel:WORD_1 src1_sel:DWORD
	v_mul_u32_u24_sdwa v88, v97, v66 dst_sel:DWORD dst_unused:UNUSED_PAD src0_sel:WORD_0 src1_sel:DWORD
	v_mul_u32_u24_sdwa v89, v97, v66 dst_sel:DWORD dst_unused:UNUSED_PAD src0_sel:WORD_1 src1_sel:DWORD
	v_pk_fma_f16 v6, v95, v14, v6
	v_pk_fma_f16 v8, v21, v15, v8
	;; [unrolled: 1-line block ×8, first 2 shown]
	v_mul_u32_u24_sdwa v15, v98, v66 dst_sel:DWORD dst_unused:UNUSED_PAD src0_sel:WORD_0 src1_sel:DWORD
	v_mul_u32_u24_sdwa v16, v98, v66 dst_sel:DWORD dst_unused:UNUSED_PAD src0_sel:WORD_1 src1_sel:DWORD
	v_mul_u32_u24_sdwa v21, v99, v66 dst_sel:DWORD dst_unused:UNUSED_PAD src0_sel:WORD_0 src1_sel:DWORD
	v_mul_u32_u24_sdwa v87, v99, v66 dst_sel:DWORD dst_unused:UNUSED_PAD src0_sel:WORD_1 src1_sel:DWORD
	v_pk_fma_f16 v22, v22, v89, v6
	v_pk_fma_f16 v8, v23, v15, v8
	;; [unrolled: 1-line block ×9, first 2 shown]
	v_mul_u32_u24_sdwa v21, v100, v66 dst_sel:DWORD dst_unused:UNUSED_PAD src0_sel:WORD_0 src1_sel:DWORD
	v_mul_u32_u24_sdwa v22, v100, v66 dst_sel:DWORD dst_unused:UNUSED_PAD src0_sel:WORD_1 src1_sel:DWORD
	v_mul_u32_u24_sdwa v23, v101, v66 dst_sel:DWORD dst_unused:UNUSED_PAD src0_sel:WORD_0 src1_sel:DWORD
	v_mul_u32_u24_sdwa v24, v101, v66 dst_sel:DWORD dst_unused:UNUSED_PAD src0_sel:WORD_1 src1_sel:DWORD
	v_add_f32_e32 v5, v74, v85
	v_pk_fma_f16 v8, v17, v21, v8
	v_pk_fma_f16 v12, v17, v22, v12
	;; [unrolled: 1-line block ×7, first 2 shown]
	v_mul_u32_u24_sdwa v17, v102, v66 dst_sel:DWORD dst_unused:UNUSED_PAD src0_sel:WORD_0 src1_sel:DWORD
	v_mul_u32_u24_sdwa v21, v102, v66 dst_sel:DWORD dst_unused:UNUSED_PAD src0_sel:WORD_1 src1_sel:DWORD
	v_mul_u32_u24_sdwa v22, v103, v66 dst_sel:DWORD dst_unused:UNUSED_PAD src0_sel:WORD_0 src1_sel:DWORD
	v_mul_u32_u24_sdwa v23, v103, v66 dst_sel:DWORD dst_unused:UNUSED_PAD src0_sel:WORD_1 src1_sel:DWORD
	v_pk_fma_f16 v16, v18, v24, v16
	v_pk_fma_f16 v8, v19, v17, v8
	;; [unrolled: 1-line block ×7, first 2 shown]
	v_mul_u32_u24_sdwa v18, v112, v66 dst_sel:DWORD dst_unused:UNUSED_PAD src0_sel:WORD_1 src1_sel:DWORD
	v_mul_u32_u24_sdwa v19, v113, v66 dst_sel:DWORD dst_unused:UNUSED_PAD src0_sel:WORD_0 src1_sel:DWORD
	v_pk_fma_f16 v7, v20, v17, v7
	v_mul_u32_u24_sdwa v17, v112, v66 dst_sel:DWORD dst_unused:UNUSED_PAD src0_sel:WORD_0 src1_sel:DWORD
	v_mul_u32_u24_sdwa v21, v113, v66 dst_sel:DWORD dst_unused:UNUSED_PAD src0_sel:WORD_1 src1_sel:DWORD
	v_pk_fma_f16 v16, v20, v23, v16
	v_pk_fma_f16 v12, v104, v18, v12
	v_pk_fma_f16 v14, v104, v19, v14
	v_pk_fma_f16 v11, v105, v18, v11
	v_pk_fma_f16 v13, v105, v19, v13
	v_mul_u32_u24_sdwa v18, v114, v66 dst_sel:DWORD dst_unused:UNUSED_PAD src0_sel:WORD_1 src1_sel:DWORD
	v_mul_u32_u24_sdwa v19, v115, v66 dst_sel:DWORD dst_unused:UNUSED_PAD src0_sel:WORD_0 src1_sel:DWORD
	v_pk_fma_f16 v8, v104, v17, v8
	v_pk_fma_f16 v15, v104, v21, v15
	v_pk_fma_f16 v7, v105, v17, v7
	v_mul_u32_u24_sdwa v17, v114, v66 dst_sel:DWORD dst_unused:UNUSED_PAD src0_sel:WORD_0 src1_sel:DWORD
	v_mul_u32_u24_sdwa v20, v115, v66 dst_sel:DWORD dst_unused:UNUSED_PAD src0_sel:WORD_1 src1_sel:DWORD
	v_pk_fma_f16 v16, v105, v21, v16
	v_pk_fma_f16 v12, v106, v18, v12
	v_pk_fma_f16 v14, v106, v19, v14
	v_pk_fma_f16 v11, v107, v18, v11
	v_pk_fma_f16 v13, v107, v19, v13
	v_mul_u32_u24_sdwa v18, v116, v66 dst_sel:DWORD dst_unused:UNUSED_PAD src0_sel:WORD_1 src1_sel:DWORD
	v_mul_u32_u24_sdwa v19, v117, v66 dst_sel:DWORD dst_unused:UNUSED_PAD src0_sel:WORD_0 src1_sel:DWORD
	v_pk_fma_f16 v8, v106, v17, v8
	v_pk_fma_f16 v15, v106, v20, v15
	;; [unrolled: 12-line block ×17, first 2 shown]
	v_pk_fma_f16 v7, v169, v17, v7
	v_mul_u32_u24_sdwa v17, v178, v66 dst_sel:DWORD dst_unused:UNUSED_PAD src0_sel:WORD_0 src1_sel:DWORD
	v_mul_u32_u24_sdwa v20, v179, v66 dst_sel:DWORD dst_unused:UNUSED_PAD src0_sel:WORD_1 src1_sel:DWORD
	v_pk_fma_f16 v16, v169, v21, v16
	v_pk_fma_f16 v12, v170, v18, v12
	;; [unrolled: 1-line block ×3, first 2 shown]
	v_mul_u32_u24_sdwa v21, v180, v66 dst_sel:DWORD dst_unused:UNUSED_PAD src0_sel:WORD_1 src1_sel:DWORD
	v_mul_u32_u24_sdwa v22, v181, v66 dst_sel:DWORD dst_unused:UNUSED_PAD src0_sel:WORD_0 src1_sel:DWORD
	v_add_f32_e32 v6, v75, v86
	v_fmac_f32_e32 v5, v67, v76
	v_pk_fma_f16 v8, v170, v17, v8
	v_pk_fma_f16 v15, v170, v20, v15
	;; [unrolled: 1-line block ×5, first 2 shown]
	v_mul_u32_u24_sdwa v19, v180, v66 dst_sel:DWORD dst_unused:UNUSED_PAD src0_sel:WORD_0 src1_sel:DWORD
	v_mul_u32_u24_sdwa v23, v181, v66 dst_sel:DWORD dst_unused:UNUSED_PAD src0_sel:WORD_1 src1_sel:DWORD
	v_pk_fma_f16 v24, v172, v21, v12
	v_pk_fma_f16 v67, v172, v22, v14
	s_waitcnt vmcnt(3)
	ds_write_b128 v58, v[184:187]
	s_waitcnt vmcnt(2)
	ds_write_b128 v61, v[188:191]
	;; [unrolled: 2-line block ×4, first 2 shown]
	s_waitcnt lgkmcnt(0)
	s_barrier
	buffer_gl0_inv
	ds_read_b128 v[11:14], v60 offset:512
	v_fmac_f32_e32 v6, v68, v77
	v_pk_fma_f16 v20, v171, v20, v16
	v_pk_fma_f16 v8, v172, v19, v8
	;; [unrolled: 1-line block ×6, first 2 shown]
	ds_read2_b64 v[15:18], v48 offset1:32
	v_mul_u32_u24_sdwa v22, v182, v66 dst_sel:DWORD dst_unused:UNUSED_PAD src0_sel:WORD_0 src1_sel:DWORD
	v_mul_u32_u24_sdwa v74, v182, v66 dst_sel:DWORD dst_unused:UNUSED_PAD src0_sel:WORD_1 src1_sel:DWORD
	v_mul_u32_u24_sdwa v75, v183, v66 dst_sel:DWORD dst_unused:UNUSED_PAD src0_sel:WORD_0 src1_sel:DWORD
	v_mul_u32_u24_sdwa v76, v183, v66 dst_sel:DWORD dst_unused:UNUSED_PAD src0_sel:WORD_1 src1_sel:DWORD
	v_pk_fma_f16 v20, v173, v23, v20
	v_pk_fma_f16 v8, v174, v22, v8
	;; [unrolled: 1-line block ×9, first 2 shown]
	ds_read_b128 v[19:22], v60 offset:528
	s_waitcnt lgkmcnt(2)
	v_mul_u32_u24_sdwa v89, v11, v66 dst_sel:DWORD dst_unused:UNUSED_PAD src0_sel:WORD_0 src1_sel:DWORD
	ds_read_b128 v[74:77], v60 offset:544
	ds_read_b128 v[85:88], v60 offset:560
	v_mul_u32_u24_sdwa v11, v11, v66 dst_sel:DWORD dst_unused:UNUSED_PAD src0_sel:WORD_1 src1_sel:DWORD
	v_mul_u32_u24_sdwa v95, v12, v66 dst_sel:DWORD dst_unused:UNUSED_PAD src0_sel:WORD_0 src1_sel:DWORD
	v_mul_u32_u24_sdwa v12, v12, v66 dst_sel:DWORD dst_unused:UNUSED_PAD src0_sel:WORD_1 src1_sel:DWORD
	s_waitcnt lgkmcnt(3)
	v_pk_fma_f16 v8, v15, v89, v8
	v_pk_fma_f16 v7, v16, v89, v7
	ds_read2_b64 v[89:92], v48 offset0:64 offset1:96
	v_pk_fma_f16 v23, v15, v11, v23
	v_pk_fma_f16 v24, v15, v95, v24
	;; [unrolled: 1-line block ×5, first 2 shown]
	v_mul_u32_u24_sdwa v68, v13, v66 dst_sel:DWORD dst_unused:UNUSED_PAD src0_sel:WORD_0 src1_sel:DWORD
	v_mul_u32_u24_sdwa v13, v13, v66 dst_sel:DWORD dst_unused:UNUSED_PAD src0_sel:WORD_1 src1_sel:DWORD
	v_mul_u32_u24_sdwa v93, v14, v66 dst_sel:DWORD dst_unused:UNUSED_PAD src0_sel:WORD_0 src1_sel:DWORD
	v_mul_u32_u24_sdwa v14, v14, v66 dst_sel:DWORD dst_unused:UNUSED_PAD src0_sel:WORD_1 src1_sel:DWORD
	v_pk_fma_f16 v12, v16, v12, v94
	v_pk_fma_f16 v8, v17, v68, v8
	;; [unrolled: 1-line block ×7, first 2 shown]
	s_waitcnt lgkmcnt(3)
	v_mul_u32_u24_sdwa v11, v19, v66 dst_sel:DWORD dst_unused:UNUSED_PAD src0_sel:WORD_0 src1_sel:DWORD
	v_pk_fma_f16 v24, v18, v93, v67
	v_pk_fma_f16 v18, v18, v14, v12
	v_mul_u32_u24_sdwa v19, v19, v66 dst_sel:DWORD dst_unused:UNUSED_PAD src0_sel:WORD_1 src1_sel:DWORD
	v_mul_u32_u24_sdwa v67, v20, v66 dst_sel:DWORD dst_unused:UNUSED_PAD src0_sel:WORD_0 src1_sel:DWORD
	s_waitcnt lgkmcnt(0)
	v_pk_fma_f16 v8, v89, v11, v8
	v_pk_fma_f16 v7, v90, v11, v7
	ds_read2_b64 v[11:14], v48 offset0:128 offset1:160
	v_mul_u32_u24_sdwa v20, v20, v66 dst_sel:DWORD dst_unused:UNUSED_PAD src0_sel:WORD_1 src1_sel:DWORD
	v_pk_fma_f16 v16, v89, v19, v16
	v_pk_fma_f16 v23, v89, v67, v23
	;; [unrolled: 1-line block ×5, first 2 shown]
	v_mul_u32_u24_sdwa v24, v21, v66 dst_sel:DWORD dst_unused:UNUSED_PAD src0_sel:WORD_0 src1_sel:DWORD
	v_mul_u32_u24_sdwa v21, v21, v66 dst_sel:DWORD dst_unused:UNUSED_PAD src0_sel:WORD_1 src1_sel:DWORD
	v_mul_u32_u24_sdwa v67, v22, v66 dst_sel:DWORD dst_unused:UNUSED_PAD src0_sel:WORD_0 src1_sel:DWORD
	v_mul_u32_u24_sdwa v22, v22, v66 dst_sel:DWORD dst_unused:UNUSED_PAD src0_sel:WORD_1 src1_sel:DWORD
	v_pk_fma_f16 v18, v90, v20, v18
	v_pk_fma_f16 v8, v91, v24, v8
	;; [unrolled: 1-line block ×8, first 2 shown]
	v_mul_u32_u24_sdwa v17, v74, v66 dst_sel:DWORD dst_unused:UNUSED_PAD src0_sel:WORD_0 src1_sel:DWORD
	v_mul_u32_u24_sdwa v23, v74, v66 dst_sel:DWORD dst_unused:UNUSED_PAD src0_sel:WORD_1 src1_sel:DWORD
	v_mul_u32_u24_sdwa v24, v75, v66 dst_sel:DWORD dst_unused:UNUSED_PAD src0_sel:WORD_0 src1_sel:DWORD
	v_mul_u32_u24_sdwa v67, v75, v66 dst_sel:DWORD dst_unused:UNUSED_PAD src0_sel:WORD_1 src1_sel:DWORD
	v_pk_fma_f16 v22, v92, v22, v18
	s_waitcnt lgkmcnt(0)
	v_pk_fma_f16 v8, v11, v17, v8
	v_pk_fma_f16 v68, v11, v23, v16
	;; [unrolled: 1-line block ×5, first 2 shown]
	ds_read2_b64 v[15:18], v48 offset0:192 offset1:224
	v_pk_fma_f16 v21, v12, v23, v21
	v_pk_fma_f16 v19, v12, v24, v19
	v_mul_u32_u24_sdwa v23, v76, v66 dst_sel:DWORD dst_unused:UNUSED_PAD src0_sel:WORD_0 src1_sel:DWORD
	v_mul_u32_u24_sdwa v24, v76, v66 dst_sel:DWORD dst_unused:UNUSED_PAD src0_sel:WORD_1 src1_sel:DWORD
	v_mul_u32_u24_sdwa v74, v77, v66 dst_sel:DWORD dst_unused:UNUSED_PAD src0_sel:WORD_0 src1_sel:DWORD
	v_mul_u32_u24_sdwa v75, v77, v66 dst_sel:DWORD dst_unused:UNUSED_PAD src0_sel:WORD_1 src1_sel:DWORD
	v_pk_fma_f16 v12, v12, v67, v22
	v_pk_fma_f16 v8, v13, v23, v8
	;; [unrolled: 1-line block ×8, first 2 shown]
	v_mul_u32_u24_sdwa v19, v85, v66 dst_sel:DWORD dst_unused:UNUSED_PAD src0_sel:WORD_0 src1_sel:DWORD
	v_mul_u32_u24_sdwa v24, v85, v66 dst_sel:DWORD dst_unused:UNUSED_PAD src0_sel:WORD_1 src1_sel:DWORD
	v_pk_fma_f16 v68, v14, v75, v12
	v_mul_u32_u24_sdwa v74, v86, v66 dst_sel:DWORD dst_unused:UNUSED_PAD src0_sel:WORD_0 src1_sel:DWORD
	ds_read_b128 v[11:14], v60 offset:576
	s_waitcnt lgkmcnt(1)
	v_pk_fma_f16 v8, v15, v19, v8
	v_pk_fma_f16 v76, v15, v24, v22
	;; [unrolled: 1-line block ×5, first 2 shown]
	ds_read2_b64 v[19:22], v69 offset1:32
	v_mul_u32_u24_sdwa v75, v86, v66 dst_sel:DWORD dst_unused:UNUSED_PAD src0_sel:WORD_1 src1_sel:DWORD
	v_pk_fma_f16 v23, v16, v74, v23
	v_mul_u32_u24_sdwa v74, v87, v66 dst_sel:DWORD dst_unused:UNUSED_PAD src0_sel:WORD_1 src1_sel:DWORD
	v_mul_u32_u24_sdwa v85, v88, v66 dst_sel:DWORD dst_unused:UNUSED_PAD src0_sel:WORD_0 src1_sel:DWORD
	v_mul_u32_u24_sdwa v86, v88, v66 dst_sel:DWORD dst_unused:UNUSED_PAD src0_sel:WORD_1 src1_sel:DWORD
	v_pk_fma_f16 v15, v15, v75, v67
	v_mul_u32_u24_sdwa v67, v87, v66 dst_sel:DWORD dst_unused:UNUSED_PAD src0_sel:WORD_0 src1_sel:DWORD
	v_pk_fma_f16 v16, v16, v75, v68
	v_pk_fma_f16 v68, v17, v74, v76
	v_pk_fma_f16 v87, v17, v85, v77
	v_pk_fma_f16 v15, v17, v86, v15
	v_pk_fma_f16 v8, v17, v67, v8
	v_pk_fma_f16 v7, v18, v67, v7
	v_pk_fma_f16 v24, v18, v74, v24
	ds_read_b128 v[74:77], v60 offset:592
	s_waitcnt lgkmcnt(2)
	v_mul_u32_u24_sdwa v17, v11, v66 dst_sel:DWORD dst_unused:UNUSED_PAD src0_sel:WORD_0 src1_sel:DWORD
	v_mul_u32_u24_sdwa v11, v11, v66 dst_sel:DWORD dst_unused:UNUSED_PAD src0_sel:WORD_1 src1_sel:DWORD
	v_mul_u32_u24_sdwa v67, v12, v66 dst_sel:DWORD dst_unused:UNUSED_PAD src0_sel:WORD_0 src1_sel:DWORD
	v_mul_u32_u24_sdwa v12, v12, v66 dst_sel:DWORD dst_unused:UNUSED_PAD src0_sel:WORD_1 src1_sel:DWORD
	v_pk_fma_f16 v23, v18, v85, v23
	v_pk_fma_f16 v85, v18, v86, v16
	s_waitcnt lgkmcnt(1)
	v_pk_fma_f16 v8, v19, v17, v8
	v_pk_fma_f16 v68, v19, v11, v68
	;; [unrolled: 1-line block ×5, first 2 shown]
	ds_read2_b64 v[15:18], v69 offset0:64 offset1:96
	v_pk_fma_f16 v11, v20, v11, v24
	v_pk_fma_f16 v23, v20, v67, v23
	v_mul_u32_u24_sdwa v24, v13, v66 dst_sel:DWORD dst_unused:UNUSED_PAD src0_sel:WORD_0 src1_sel:DWORD
	v_mul_u32_u24_sdwa v13, v13, v66 dst_sel:DWORD dst_unused:UNUSED_PAD src0_sel:WORD_1 src1_sel:DWORD
	v_mul_u32_u24_sdwa v67, v14, v66 dst_sel:DWORD dst_unused:UNUSED_PAD src0_sel:WORD_0 src1_sel:DWORD
	v_mul_u32_u24_sdwa v14, v14, v66 dst_sel:DWORD dst_unused:UNUSED_PAD src0_sel:WORD_1 src1_sel:DWORD
	v_pk_fma_f16 v12, v20, v12, v85
	v_pk_fma_f16 v8, v21, v24, v8
	;; [unrolled: 1-line block ×8, first 2 shown]
	s_waitcnt lgkmcnt(1)
	v_mul_u32_u24_sdwa v24, v74, v66 dst_sel:DWORD dst_unused:UNUSED_PAD src0_sel:WORD_0 src1_sel:DWORD
	v_mul_u32_u24_sdwa v67, v74, v66 dst_sel:DWORD dst_unused:UNUSED_PAD src0_sel:WORD_1 src1_sel:DWORD
	v_pk_fma_f16 v74, v22, v14, v12
	v_mul_u32_u24_sdwa v85, v75, v66 dst_sel:DWORD dst_unused:UNUSED_PAD src0_sel:WORD_0 src1_sel:DWORD
	v_mul_u32_u24_sdwa v75, v75, v66 dst_sel:DWORD dst_unused:UNUSED_PAD src0_sel:WORD_1 src1_sel:DWORD
	ds_read_b128 v[11:14], v60 offset:608
	s_waitcnt lgkmcnt(1)
	v_pk_fma_f16 v8, v15, v24, v8
	v_pk_fma_f16 v86, v15, v67, v20
	;; [unrolled: 1-line block ×6, first 2 shown]
	ds_read2_b64 v[19:22], v69 offset0:128 offset1:160
	v_pk_fma_f16 v23, v16, v85, v23
	v_mul_u32_u24_sdwa v67, v76, v66 dst_sel:DWORD dst_unused:UNUSED_PAD src0_sel:WORD_0 src1_sel:DWORD
	v_mul_u32_u24_sdwa v76, v76, v66 dst_sel:DWORD dst_unused:UNUSED_PAD src0_sel:WORD_1 src1_sel:DWORD
	v_mul_u32_u24_sdwa v85, v77, v66 dst_sel:DWORD dst_unused:UNUSED_PAD src0_sel:WORD_0 src1_sel:DWORD
	v_mul_u32_u24_sdwa v87, v77, v66 dst_sel:DWORD dst_unused:UNUSED_PAD src0_sel:WORD_1 src1_sel:DWORD
	v_pk_fma_f16 v16, v16, v75, v74
	v_pk_fma_f16 v8, v17, v67, v8
	;; [unrolled: 1-line block ×7, first 2 shown]
	ds_read_b128 v[74:77], v60 offset:624
	s_waitcnt lgkmcnt(2)
	v_mul_u32_u24_sdwa v17, v11, v66 dst_sel:DWORD dst_unused:UNUSED_PAD src0_sel:WORD_0 src1_sel:DWORD
	v_mul_u32_u24_sdwa v11, v11, v66 dst_sel:DWORD dst_unused:UNUSED_PAD src0_sel:WORD_1 src1_sel:DWORD
	v_mul_u32_u24_sdwa v67, v12, v66 dst_sel:DWORD dst_unused:UNUSED_PAD src0_sel:WORD_0 src1_sel:DWORD
	v_mul_u32_u24_sdwa v12, v12, v66 dst_sel:DWORD dst_unused:UNUSED_PAD src0_sel:WORD_1 src1_sel:DWORD
	v_pk_fma_f16 v23, v18, v85, v23
	v_pk_fma_f16 v85, v18, v87, v16
	s_waitcnt lgkmcnt(1)
	v_pk_fma_f16 v8, v19, v17, v8
	v_pk_fma_f16 v86, v19, v11, v86
	;; [unrolled: 1-line block ×5, first 2 shown]
	ds_read2_b64 v[15:18], v69 offset0:192 offset1:224
	v_pk_fma_f16 v11, v20, v11, v24
	v_pk_fma_f16 v23, v20, v67, v23
	v_mul_u32_u24_sdwa v24, v13, v66 dst_sel:DWORD dst_unused:UNUSED_PAD src0_sel:WORD_0 src1_sel:DWORD
	v_mul_u32_u24_sdwa v13, v13, v66 dst_sel:DWORD dst_unused:UNUSED_PAD src0_sel:WORD_1 src1_sel:DWORD
	v_mul_u32_u24_sdwa v67, v14, v66 dst_sel:DWORD dst_unused:UNUSED_PAD src0_sel:WORD_0 src1_sel:DWORD
	v_mul_u32_u24_sdwa v14, v14, v66 dst_sel:DWORD dst_unused:UNUSED_PAD src0_sel:WORD_1 src1_sel:DWORD
	v_pk_fma_f16 v12, v20, v12, v85
	v_pk_fma_f16 v8, v21, v24, v8
	;; [unrolled: 1-line block ×8, first 2 shown]
	s_waitcnt lgkmcnt(1)
	v_mul_u32_u24_sdwa v24, v74, v66 dst_sel:DWORD dst_unused:UNUSED_PAD src0_sel:WORD_0 src1_sel:DWORD
	v_mul_u32_u24_sdwa v67, v74, v66 dst_sel:DWORD dst_unused:UNUSED_PAD src0_sel:WORD_1 src1_sel:DWORD
	v_pk_fma_f16 v69, v22, v14, v12
	v_mul_u32_u24_sdwa v74, v75, v66 dst_sel:DWORD dst_unused:UNUSED_PAD src0_sel:WORD_0 src1_sel:DWORD
	v_mul_u32_u24_sdwa v75, v75, v66 dst_sel:DWORD dst_unused:UNUSED_PAD src0_sel:WORD_1 src1_sel:DWORD
	ds_read_b128 v[11:14], v60 offset:640
	s_waitcnt lgkmcnt(1)
	v_pk_fma_f16 v8, v15, v24, v8
	v_pk_fma_f16 v85, v15, v67, v20
	;; [unrolled: 1-line block ×6, first 2 shown]
	ds_read2_b64 v[19:22], v70 offset1:32
	v_pk_fma_f16 v23, v16, v74, v23
	v_mul_u32_u24_sdwa v67, v76, v66 dst_sel:DWORD dst_unused:UNUSED_PAD src0_sel:WORD_0 src1_sel:DWORD
	v_mul_u32_u24_sdwa v74, v76, v66 dst_sel:DWORD dst_unused:UNUSED_PAD src0_sel:WORD_1 src1_sel:DWORD
	v_mul_u32_u24_sdwa v76, v77, v66 dst_sel:DWORD dst_unused:UNUSED_PAD src0_sel:WORD_0 src1_sel:DWORD
	v_mul_u32_u24_sdwa v86, v77, v66 dst_sel:DWORD dst_unused:UNUSED_PAD src0_sel:WORD_1 src1_sel:DWORD
	v_pk_fma_f16 v16, v16, v75, v69
	v_pk_fma_f16 v8, v17, v67, v8
	;; [unrolled: 1-line block ×8, first 2 shown]
	ds_read_b128 v[74:77], v60 offset:656
	s_waitcnt lgkmcnt(2)
	v_mul_u32_u24_sdwa v17, v11, v66 dst_sel:DWORD dst_unused:UNUSED_PAD src0_sel:WORD_0 src1_sel:DWORD
	v_mul_u32_u24_sdwa v11, v11, v66 dst_sel:DWORD dst_unused:UNUSED_PAD src0_sel:WORD_1 src1_sel:DWORD
	v_mul_u32_u24_sdwa v67, v12, v66 dst_sel:DWORD dst_unused:UNUSED_PAD src0_sel:WORD_0 src1_sel:DWORD
	v_mul_u32_u24_sdwa v12, v12, v66 dst_sel:DWORD dst_unused:UNUSED_PAD src0_sel:WORD_1 src1_sel:DWORD
	v_pk_fma_f16 v85, v18, v86, v16
	s_waitcnt lgkmcnt(1)
	v_pk_fma_f16 v8, v19, v17, v8
	v_pk_fma_f16 v69, v19, v11, v69
	;; [unrolled: 1-line block ×5, first 2 shown]
	ds_read2_b64 v[15:18], v70 offset0:64 offset1:96
	v_pk_fma_f16 v11, v20, v11, v24
	v_pk_fma_f16 v23, v20, v67, v23
	v_mul_u32_u24_sdwa v24, v13, v66 dst_sel:DWORD dst_unused:UNUSED_PAD src0_sel:WORD_0 src1_sel:DWORD
	v_mul_u32_u24_sdwa v13, v13, v66 dst_sel:DWORD dst_unused:UNUSED_PAD src0_sel:WORD_1 src1_sel:DWORD
	v_mul_u32_u24_sdwa v67, v14, v66 dst_sel:DWORD dst_unused:UNUSED_PAD src0_sel:WORD_0 src1_sel:DWORD
	v_mul_u32_u24_sdwa v14, v14, v66 dst_sel:DWORD dst_unused:UNUSED_PAD src0_sel:WORD_1 src1_sel:DWORD
	v_pk_fma_f16 v12, v20, v12, v85
	v_pk_fma_f16 v8, v21, v24, v8
	;; [unrolled: 1-line block ×8, first 2 shown]
	s_waitcnt lgkmcnt(1)
	v_mul_u32_u24_sdwa v24, v74, v66 dst_sel:DWORD dst_unused:UNUSED_PAD src0_sel:WORD_0 src1_sel:DWORD
	v_mul_u32_u24_sdwa v67, v74, v66 dst_sel:DWORD dst_unused:UNUSED_PAD src0_sel:WORD_1 src1_sel:DWORD
	v_pk_fma_f16 v69, v22, v14, v12
	v_mul_u32_u24_sdwa v74, v75, v66 dst_sel:DWORD dst_unused:UNUSED_PAD src0_sel:WORD_0 src1_sel:DWORD
	v_mul_u32_u24_sdwa v75, v75, v66 dst_sel:DWORD dst_unused:UNUSED_PAD src0_sel:WORD_1 src1_sel:DWORD
	ds_read_b128 v[11:14], v60 offset:672
	s_waitcnt lgkmcnt(1)
	v_pk_fma_f16 v8, v15, v24, v8
	v_pk_fma_f16 v85, v15, v67, v20
	;; [unrolled: 1-line block ×6, first 2 shown]
	ds_read2_b64 v[19:22], v70 offset0:128 offset1:160
	v_pk_fma_f16 v23, v16, v74, v23
	v_mul_u32_u24_sdwa v67, v76, v66 dst_sel:DWORD dst_unused:UNUSED_PAD src0_sel:WORD_0 src1_sel:DWORD
	v_mul_u32_u24_sdwa v74, v76, v66 dst_sel:DWORD dst_unused:UNUSED_PAD src0_sel:WORD_1 src1_sel:DWORD
	v_mul_u32_u24_sdwa v76, v77, v66 dst_sel:DWORD dst_unused:UNUSED_PAD src0_sel:WORD_0 src1_sel:DWORD
	v_mul_u32_u24_sdwa v86, v77, v66 dst_sel:DWORD dst_unused:UNUSED_PAD src0_sel:WORD_1 src1_sel:DWORD
	v_pk_fma_f16 v16, v16, v75, v69
	v_pk_fma_f16 v8, v17, v67, v8
	;; [unrolled: 1-line block ×8, first 2 shown]
	ds_read_b128 v[74:77], v60 offset:688
	s_waitcnt lgkmcnt(2)
	v_mul_u32_u24_sdwa v17, v11, v66 dst_sel:DWORD dst_unused:UNUSED_PAD src0_sel:WORD_0 src1_sel:DWORD
	v_mul_u32_u24_sdwa v11, v11, v66 dst_sel:DWORD dst_unused:UNUSED_PAD src0_sel:WORD_1 src1_sel:DWORD
	v_mul_u32_u24_sdwa v67, v12, v66 dst_sel:DWORD dst_unused:UNUSED_PAD src0_sel:WORD_0 src1_sel:DWORD
	v_mul_u32_u24_sdwa v12, v12, v66 dst_sel:DWORD dst_unused:UNUSED_PAD src0_sel:WORD_1 src1_sel:DWORD
	v_pk_fma_f16 v85, v18, v86, v16
	s_waitcnt lgkmcnt(1)
	v_pk_fma_f16 v8, v19, v17, v8
	v_pk_fma_f16 v69, v19, v11, v69
	v_pk_fma_f16 v68, v19, v67, v68
	v_pk_fma_f16 v19, v19, v12, v15
	v_pk_fma_f16 v7, v20, v17, v7
	ds_read2_b64 v[15:18], v70 offset0:192 offset1:224
	v_pk_fma_f16 v11, v20, v11, v24
	v_pk_fma_f16 v23, v20, v67, v23
	v_mul_u32_u24_sdwa v24, v13, v66 dst_sel:DWORD dst_unused:UNUSED_PAD src0_sel:WORD_0 src1_sel:DWORD
	v_mul_u32_u24_sdwa v13, v13, v66 dst_sel:DWORD dst_unused:UNUSED_PAD src0_sel:WORD_1 src1_sel:DWORD
	v_mul_u32_u24_sdwa v67, v14, v66 dst_sel:DWORD dst_unused:UNUSED_PAD src0_sel:WORD_0 src1_sel:DWORD
	v_mul_u32_u24_sdwa v14, v14, v66 dst_sel:DWORD dst_unused:UNUSED_PAD src0_sel:WORD_1 src1_sel:DWORD
	v_pk_fma_f16 v12, v20, v12, v85
	v_pk_fma_f16 v8, v21, v24, v8
	;; [unrolled: 1-line block ×8, first 2 shown]
	s_waitcnt lgkmcnt(1)
	v_mul_u32_u24_sdwa v24, v74, v66 dst_sel:DWORD dst_unused:UNUSED_PAD src0_sel:WORD_0 src1_sel:DWORD
	v_mul_u32_u24_sdwa v67, v74, v66 dst_sel:DWORD dst_unused:UNUSED_PAD src0_sel:WORD_1 src1_sel:DWORD
	v_pk_fma_f16 v69, v22, v14, v12
	v_mul_u32_u24_sdwa v70, v75, v66 dst_sel:DWORD dst_unused:UNUSED_PAD src0_sel:WORD_0 src1_sel:DWORD
	v_mul_u32_u24_sdwa v74, v75, v66 dst_sel:DWORD dst_unused:UNUSED_PAD src0_sel:WORD_1 src1_sel:DWORD
	ds_read_b128 v[11:14], v60 offset:704
	s_waitcnt lgkmcnt(1)
	v_pk_fma_f16 v8, v15, v24, v8
	v_pk_fma_f16 v75, v15, v67, v20
	;; [unrolled: 1-line block ×6, first 2 shown]
	ds_read2_b64 v[19:22], v71 offset1:32
	v_pk_fma_f16 v23, v16, v70, v23
	v_mul_u32_u24_sdwa v67, v76, v66 dst_sel:DWORD dst_unused:UNUSED_PAD src0_sel:WORD_0 src1_sel:DWORD
	v_mul_u32_u24_sdwa v70, v76, v66 dst_sel:DWORD dst_unused:UNUSED_PAD src0_sel:WORD_1 src1_sel:DWORD
	v_mul_u32_u24_sdwa v76, v77, v66 dst_sel:DWORD dst_unused:UNUSED_PAD src0_sel:WORD_0 src1_sel:DWORD
	v_mul_u32_u24_sdwa v77, v77, v66 dst_sel:DWORD dst_unused:UNUSED_PAD src0_sel:WORD_1 src1_sel:DWORD
	v_pk_fma_f16 v16, v16, v74, v69
	v_pk_fma_f16 v8, v17, v67, v8
	;; [unrolled: 1-line block ×8, first 2 shown]
	ds_read_b128 v[67:70], v60 offset:720
	s_waitcnt lgkmcnt(2)
	v_mul_u32_u24_sdwa v17, v11, v66 dst_sel:DWORD dst_unused:UNUSED_PAD src0_sel:WORD_0 src1_sel:DWORD
	v_mul_u32_u24_sdwa v11, v11, v66 dst_sel:DWORD dst_unused:UNUSED_PAD src0_sel:WORD_1 src1_sel:DWORD
	v_mul_u32_u24_sdwa v76, v12, v66 dst_sel:DWORD dst_unused:UNUSED_PAD src0_sel:WORD_0 src1_sel:DWORD
	v_mul_u32_u24_sdwa v12, v12, v66 dst_sel:DWORD dst_unused:UNUSED_PAD src0_sel:WORD_1 src1_sel:DWORD
	v_pk_fma_f16 v77, v18, v77, v16
	s_waitcnt lgkmcnt(1)
	v_pk_fma_f16 v8, v19, v17, v8
	v_pk_fma_f16 v74, v19, v11, v74
	;; [unrolled: 1-line block ×5, first 2 shown]
	ds_read2_b64 v[15:18], v71 offset0:64 offset1:96
	v_pk_fma_f16 v11, v20, v11, v24
	v_pk_fma_f16 v23, v20, v76, v23
	v_mul_u32_u24_sdwa v24, v13, v66 dst_sel:DWORD dst_unused:UNUSED_PAD src0_sel:WORD_0 src1_sel:DWORD
	v_mul_u32_u24_sdwa v13, v13, v66 dst_sel:DWORD dst_unused:UNUSED_PAD src0_sel:WORD_1 src1_sel:DWORD
	v_mul_u32_u24_sdwa v76, v14, v66 dst_sel:DWORD dst_unused:UNUSED_PAD src0_sel:WORD_0 src1_sel:DWORD
	v_mul_u32_u24_sdwa v14, v14, v66 dst_sel:DWORD dst_unused:UNUSED_PAD src0_sel:WORD_1 src1_sel:DWORD
	v_pk_fma_f16 v12, v20, v12, v77
	v_pk_fma_f16 v8, v21, v24, v8
	;; [unrolled: 1-line block ×8, first 2 shown]
	s_waitcnt lgkmcnt(1)
	v_mul_u32_u24_sdwa v24, v67, v66 dst_sel:DWORD dst_unused:UNUSED_PAD src0_sel:WORD_0 src1_sel:DWORD
	v_mul_u32_u24_sdwa v67, v67, v66 dst_sel:DWORD dst_unused:UNUSED_PAD src0_sel:WORD_1 src1_sel:DWORD
	v_pk_fma_f16 v75, v22, v14, v12
	v_mul_u32_u24_sdwa v76, v68, v66 dst_sel:DWORD dst_unused:UNUSED_PAD src0_sel:WORD_0 src1_sel:DWORD
	v_mul_u32_u24_sdwa v68, v68, v66 dst_sel:DWORD dst_unused:UNUSED_PAD src0_sel:WORD_1 src1_sel:DWORD
	ds_read_b128 v[11:14], v60 offset:736
	s_waitcnt lgkmcnt(1)
	v_pk_fma_f16 v8, v15, v24, v8
	v_pk_fma_f16 v77, v15, v67, v20
	;; [unrolled: 1-line block ×6, first 2 shown]
	ds_read2_b64 v[19:22], v71 offset0:128 offset1:160
	v_pk_fma_f16 v23, v16, v76, v23
	v_mul_u32_u24_sdwa v67, v69, v66 dst_sel:DWORD dst_unused:UNUSED_PAD src0_sel:WORD_0 src1_sel:DWORD
	v_mul_u32_u24_sdwa v69, v69, v66 dst_sel:DWORD dst_unused:UNUSED_PAD src0_sel:WORD_1 src1_sel:DWORD
	v_mul_u32_u24_sdwa v76, v70, v66 dst_sel:DWORD dst_unused:UNUSED_PAD src0_sel:WORD_0 src1_sel:DWORD
	v_mul_u32_u24_sdwa v85, v70, v66 dst_sel:DWORD dst_unused:UNUSED_PAD src0_sel:WORD_1 src1_sel:DWORD
	v_pk_fma_f16 v16, v16, v68, v75
	v_pk_fma_f16 v8, v17, v67, v8
	;; [unrolled: 1-line block ×8, first 2 shown]
	ds_read_b128 v[67:70], v60 offset:752
	s_waitcnt lgkmcnt(2)
	v_mul_u32_u24_sdwa v17, v11, v66 dst_sel:DWORD dst_unused:UNUSED_PAD src0_sel:WORD_0 src1_sel:DWORD
	v_mul_u32_u24_sdwa v11, v11, v66 dst_sel:DWORD dst_unused:UNUSED_PAD src0_sel:WORD_1 src1_sel:DWORD
	v_mul_u32_u24_sdwa v76, v12, v66 dst_sel:DWORD dst_unused:UNUSED_PAD src0_sel:WORD_0 src1_sel:DWORD
	v_mul_u32_u24_sdwa v12, v12, v66 dst_sel:DWORD dst_unused:UNUSED_PAD src0_sel:WORD_1 src1_sel:DWORD
	v_pk_fma_f16 v77, v18, v85, v16
	s_waitcnt lgkmcnt(1)
	v_pk_fma_f16 v8, v19, v17, v8
	v_pk_fma_f16 v75, v19, v11, v75
	;; [unrolled: 1-line block ×5, first 2 shown]
	ds_read2_b64 v[15:18], v71 offset0:192 offset1:224
	v_pk_fma_f16 v11, v20, v11, v24
	v_pk_fma_f16 v23, v20, v76, v23
	v_mul_u32_u24_sdwa v24, v13, v66 dst_sel:DWORD dst_unused:UNUSED_PAD src0_sel:WORD_0 src1_sel:DWORD
	v_mul_u32_u24_sdwa v13, v13, v66 dst_sel:DWORD dst_unused:UNUSED_PAD src0_sel:WORD_1 src1_sel:DWORD
	v_mul_u32_u24_sdwa v71, v14, v66 dst_sel:DWORD dst_unused:UNUSED_PAD src0_sel:WORD_0 src1_sel:DWORD
	v_mul_u32_u24_sdwa v14, v14, v66 dst_sel:DWORD dst_unused:UNUSED_PAD src0_sel:WORD_1 src1_sel:DWORD
	v_pk_fma_f16 v12, v20, v12, v77
	v_pk_fma_f16 v8, v21, v24, v8
	;; [unrolled: 1-line block ×8, first 2 shown]
	s_waitcnt lgkmcnt(1)
	v_mul_u32_u24_sdwa v24, v67, v66 dst_sel:DWORD dst_unused:UNUSED_PAD src0_sel:WORD_0 src1_sel:DWORD
	v_mul_u32_u24_sdwa v67, v67, v66 dst_sel:DWORD dst_unused:UNUSED_PAD src0_sel:WORD_1 src1_sel:DWORD
	v_pk_fma_f16 v71, v22, v14, v12
	v_mul_u32_u24_sdwa v75, v68, v66 dst_sel:DWORD dst_unused:UNUSED_PAD src0_sel:WORD_0 src1_sel:DWORD
	v_mul_u32_u24_sdwa v68, v68, v66 dst_sel:DWORD dst_unused:UNUSED_PAD src0_sel:WORD_1 src1_sel:DWORD
	ds_read_b128 v[11:14], v60 offset:768
	s_waitcnt lgkmcnt(1)
	v_pk_fma_f16 v8, v15, v24, v8
	v_pk_fma_f16 v76, v15, v67, v20
	;; [unrolled: 1-line block ×6, first 2 shown]
	ds_read2_b64 v[19:22], v72 offset1:32
	v_pk_fma_f16 v23, v16, v75, v23
	v_mul_u32_u24_sdwa v67, v69, v66 dst_sel:DWORD dst_unused:UNUSED_PAD src0_sel:WORD_0 src1_sel:DWORD
	v_mul_u32_u24_sdwa v69, v69, v66 dst_sel:DWORD dst_unused:UNUSED_PAD src0_sel:WORD_1 src1_sel:DWORD
	v_mul_u32_u24_sdwa v75, v70, v66 dst_sel:DWORD dst_unused:UNUSED_PAD src0_sel:WORD_0 src1_sel:DWORD
	v_mul_u32_u24_sdwa v77, v70, v66 dst_sel:DWORD dst_unused:UNUSED_PAD src0_sel:WORD_1 src1_sel:DWORD
	v_pk_fma_f16 v16, v16, v68, v71
	v_pk_fma_f16 v8, v17, v67, v8
	;; [unrolled: 1-line block ×8, first 2 shown]
	ds_read_b128 v[67:70], v60 offset:784
	s_waitcnt lgkmcnt(2)
	v_mul_u32_u24_sdwa v17, v11, v66 dst_sel:DWORD dst_unused:UNUSED_PAD src0_sel:WORD_0 src1_sel:DWORD
	v_mul_u32_u24_sdwa v11, v11, v66 dst_sel:DWORD dst_unused:UNUSED_PAD src0_sel:WORD_1 src1_sel:DWORD
	v_mul_u32_u24_sdwa v75, v12, v66 dst_sel:DWORD dst_unused:UNUSED_PAD src0_sel:WORD_0 src1_sel:DWORD
	v_mul_u32_u24_sdwa v12, v12, v66 dst_sel:DWORD dst_unused:UNUSED_PAD src0_sel:WORD_1 src1_sel:DWORD
	v_pk_fma_f16 v76, v18, v77, v16
	s_waitcnt lgkmcnt(1)
	v_pk_fma_f16 v8, v19, v17, v8
	v_pk_fma_f16 v71, v19, v11, v71
	;; [unrolled: 1-line block ×5, first 2 shown]
	ds_read2_b64 v[15:18], v72 offset0:64 offset1:96
	v_pk_fma_f16 v11, v20, v11, v24
	v_pk_fma_f16 v23, v20, v75, v23
	v_mul_u32_u24_sdwa v24, v13, v66 dst_sel:DWORD dst_unused:UNUSED_PAD src0_sel:WORD_0 src1_sel:DWORD
	v_mul_u32_u24_sdwa v13, v13, v66 dst_sel:DWORD dst_unused:UNUSED_PAD src0_sel:WORD_1 src1_sel:DWORD
	v_mul_u32_u24_sdwa v75, v14, v66 dst_sel:DWORD dst_unused:UNUSED_PAD src0_sel:WORD_0 src1_sel:DWORD
	v_mul_u32_u24_sdwa v14, v14, v66 dst_sel:DWORD dst_unused:UNUSED_PAD src0_sel:WORD_1 src1_sel:DWORD
	v_pk_fma_f16 v12, v20, v12, v76
	v_pk_fma_f16 v8, v21, v24, v8
	;; [unrolled: 1-line block ×8, first 2 shown]
	s_waitcnt lgkmcnt(1)
	v_mul_u32_u24_sdwa v24, v67, v66 dst_sel:DWORD dst_unused:UNUSED_PAD src0_sel:WORD_0 src1_sel:DWORD
	v_mul_u32_u24_sdwa v67, v67, v66 dst_sel:DWORD dst_unused:UNUSED_PAD src0_sel:WORD_1 src1_sel:DWORD
	v_pk_fma_f16 v74, v22, v14, v12
	v_mul_u32_u24_sdwa v75, v68, v66 dst_sel:DWORD dst_unused:UNUSED_PAD src0_sel:WORD_0 src1_sel:DWORD
	v_mul_u32_u24_sdwa v68, v68, v66 dst_sel:DWORD dst_unused:UNUSED_PAD src0_sel:WORD_1 src1_sel:DWORD
	ds_read_b128 v[11:14], v60 offset:800
	s_waitcnt lgkmcnt(1)
	v_pk_fma_f16 v8, v15, v24, v8
	v_pk_fma_f16 v76, v15, v67, v20
	;; [unrolled: 1-line block ×6, first 2 shown]
	ds_read2_b64 v[19:22], v72 offset0:128 offset1:160
	v_pk_fma_f16 v23, v16, v75, v23
	v_mul_u32_u24_sdwa v67, v69, v66 dst_sel:DWORD dst_unused:UNUSED_PAD src0_sel:WORD_0 src1_sel:DWORD
	v_mul_u32_u24_sdwa v69, v69, v66 dst_sel:DWORD dst_unused:UNUSED_PAD src0_sel:WORD_1 src1_sel:DWORD
	v_mul_u32_u24_sdwa v75, v70, v66 dst_sel:DWORD dst_unused:UNUSED_PAD src0_sel:WORD_0 src1_sel:DWORD
	v_mul_u32_u24_sdwa v77, v70, v66 dst_sel:DWORD dst_unused:UNUSED_PAD src0_sel:WORD_1 src1_sel:DWORD
	v_pk_fma_f16 v16, v16, v68, v74
	v_pk_fma_f16 v8, v17, v67, v8
	;; [unrolled: 1-line block ×8, first 2 shown]
	ds_read_b128 v[67:70], v60 offset:816
	s_waitcnt lgkmcnt(2)
	v_mul_u32_u24_sdwa v17, v11, v66 dst_sel:DWORD dst_unused:UNUSED_PAD src0_sel:WORD_0 src1_sel:DWORD
	v_mul_u32_u24_sdwa v11, v11, v66 dst_sel:DWORD dst_unused:UNUSED_PAD src0_sel:WORD_1 src1_sel:DWORD
	v_mul_u32_u24_sdwa v75, v12, v66 dst_sel:DWORD dst_unused:UNUSED_PAD src0_sel:WORD_0 src1_sel:DWORD
	v_mul_u32_u24_sdwa v12, v12, v66 dst_sel:DWORD dst_unused:UNUSED_PAD src0_sel:WORD_1 src1_sel:DWORD
	v_pk_fma_f16 v76, v18, v77, v16
	s_waitcnt lgkmcnt(1)
	v_pk_fma_f16 v8, v19, v17, v8
	v_pk_fma_f16 v74, v19, v11, v74
	;; [unrolled: 1-line block ×5, first 2 shown]
	ds_read2_b64 v[15:18], v72 offset0:192 offset1:224
	v_pk_fma_f16 v11, v20, v11, v24
	v_pk_fma_f16 v23, v20, v75, v23
	v_mul_u32_u24_sdwa v24, v13, v66 dst_sel:DWORD dst_unused:UNUSED_PAD src0_sel:WORD_0 src1_sel:DWORD
	v_mul_u32_u24_sdwa v13, v13, v66 dst_sel:DWORD dst_unused:UNUSED_PAD src0_sel:WORD_1 src1_sel:DWORD
	v_mul_u32_u24_sdwa v72, v14, v66 dst_sel:DWORD dst_unused:UNUSED_PAD src0_sel:WORD_0 src1_sel:DWORD
	v_mul_u32_u24_sdwa v14, v14, v66 dst_sel:DWORD dst_unused:UNUSED_PAD src0_sel:WORD_1 src1_sel:DWORD
	v_pk_fma_f16 v12, v20, v12, v76
	v_pk_fma_f16 v8, v21, v24, v8
	;; [unrolled: 1-line block ×8, first 2 shown]
	s_waitcnt lgkmcnt(1)
	v_mul_u32_u24_sdwa v24, v67, v66 dst_sel:DWORD dst_unused:UNUSED_PAD src0_sel:WORD_0 src1_sel:DWORD
	v_mul_u32_u24_sdwa v67, v67, v66 dst_sel:DWORD dst_unused:UNUSED_PAD src0_sel:WORD_1 src1_sel:DWORD
	v_pk_fma_f16 v72, v22, v14, v12
	v_mul_u32_u24_sdwa v74, v68, v66 dst_sel:DWORD dst_unused:UNUSED_PAD src0_sel:WORD_0 src1_sel:DWORD
	v_mul_u32_u24_sdwa v68, v68, v66 dst_sel:DWORD dst_unused:UNUSED_PAD src0_sel:WORD_1 src1_sel:DWORD
	ds_read_b128 v[11:14], v60 offset:832
	s_waitcnt lgkmcnt(1)
	v_pk_fma_f16 v8, v15, v24, v8
	v_pk_fma_f16 v75, v15, v67, v20
	;; [unrolled: 1-line block ×6, first 2 shown]
	ds_read2_b64 v[19:22], v73 offset1:32
	v_pk_fma_f16 v23, v16, v74, v23
	v_mul_u32_u24_sdwa v67, v69, v66 dst_sel:DWORD dst_unused:UNUSED_PAD src0_sel:WORD_0 src1_sel:DWORD
	v_mul_u32_u24_sdwa v69, v69, v66 dst_sel:DWORD dst_unused:UNUSED_PAD src0_sel:WORD_1 src1_sel:DWORD
	v_mul_u32_u24_sdwa v74, v70, v66 dst_sel:DWORD dst_unused:UNUSED_PAD src0_sel:WORD_0 src1_sel:DWORD
	v_mul_u32_u24_sdwa v76, v70, v66 dst_sel:DWORD dst_unused:UNUSED_PAD src0_sel:WORD_1 src1_sel:DWORD
	v_pk_fma_f16 v16, v16, v68, v72
	v_pk_fma_f16 v8, v17, v67, v8
	v_pk_fma_f16 v72, v17, v69, v75
	v_pk_fma_f16 v71, v17, v74, v71
	v_pk_fma_f16 v15, v17, v76, v15
	v_pk_fma_f16 v7, v18, v67, v7
	v_pk_fma_f16 v24, v18, v69, v24
	v_pk_fma_f16 v23, v18, v74, v23
	ds_read_b128 v[67:70], v60 offset:848
	s_waitcnt lgkmcnt(2)
	v_mul_u32_u24_sdwa v17, v11, v66 dst_sel:DWORD dst_unused:UNUSED_PAD src0_sel:WORD_0 src1_sel:DWORD
	v_mul_u32_u24_sdwa v11, v11, v66 dst_sel:DWORD dst_unused:UNUSED_PAD src0_sel:WORD_1 src1_sel:DWORD
	v_mul_u32_u24_sdwa v74, v12, v66 dst_sel:DWORD dst_unused:UNUSED_PAD src0_sel:WORD_0 src1_sel:DWORD
	v_mul_u32_u24_sdwa v12, v12, v66 dst_sel:DWORD dst_unused:UNUSED_PAD src0_sel:WORD_1 src1_sel:DWORD
	v_pk_fma_f16 v75, v18, v76, v16
	s_waitcnt lgkmcnt(1)
	v_pk_fma_f16 v8, v19, v17, v8
	v_pk_fma_f16 v72, v19, v11, v72
	;; [unrolled: 1-line block ×5, first 2 shown]
	ds_read2_b64 v[15:18], v73 offset0:64 offset1:96
	v_pk_fma_f16 v11, v20, v11, v24
	v_pk_fma_f16 v23, v20, v74, v23
	v_mul_u32_u24_sdwa v24, v13, v66 dst_sel:DWORD dst_unused:UNUSED_PAD src0_sel:WORD_0 src1_sel:DWORD
	v_mul_u32_u24_sdwa v13, v13, v66 dst_sel:DWORD dst_unused:UNUSED_PAD src0_sel:WORD_1 src1_sel:DWORD
	v_mul_u32_u24_sdwa v74, v14, v66 dst_sel:DWORD dst_unused:UNUSED_PAD src0_sel:WORD_0 src1_sel:DWORD
	v_mul_u32_u24_sdwa v14, v14, v66 dst_sel:DWORD dst_unused:UNUSED_PAD src0_sel:WORD_1 src1_sel:DWORD
	v_pk_fma_f16 v12, v20, v12, v75
	v_pk_fma_f16 v8, v21, v24, v8
	;; [unrolled: 1-line block ×8, first 2 shown]
	s_waitcnt lgkmcnt(1)
	v_mul_u32_u24_sdwa v24, v67, v66 dst_sel:DWORD dst_unused:UNUSED_PAD src0_sel:WORD_0 src1_sel:DWORD
	v_mul_u32_u24_sdwa v67, v67, v66 dst_sel:DWORD dst_unused:UNUSED_PAD src0_sel:WORD_1 src1_sel:DWORD
	v_pk_fma_f16 v72, v22, v14, v12
	v_mul_u32_u24_sdwa v74, v68, v66 dst_sel:DWORD dst_unused:UNUSED_PAD src0_sel:WORD_0 src1_sel:DWORD
	v_mul_u32_u24_sdwa v68, v68, v66 dst_sel:DWORD dst_unused:UNUSED_PAD src0_sel:WORD_1 src1_sel:DWORD
	ds_read_b128 v[11:14], v60 offset:864
	s_waitcnt lgkmcnt(1)
	v_pk_fma_f16 v8, v15, v24, v8
	v_pk_fma_f16 v75, v15, v67, v20
	;; [unrolled: 1-line block ×6, first 2 shown]
	ds_read2_b64 v[19:22], v73 offset0:128 offset1:160
	v_pk_fma_f16 v23, v16, v74, v23
	v_mul_u32_u24_sdwa v67, v69, v66 dst_sel:DWORD dst_unused:UNUSED_PAD src0_sel:WORD_0 src1_sel:DWORD
	v_mul_u32_u24_sdwa v69, v69, v66 dst_sel:DWORD dst_unused:UNUSED_PAD src0_sel:WORD_1 src1_sel:DWORD
	v_mul_u32_u24_sdwa v74, v70, v66 dst_sel:DWORD dst_unused:UNUSED_PAD src0_sel:WORD_0 src1_sel:DWORD
	v_mul_u32_u24_sdwa v76, v70, v66 dst_sel:DWORD dst_unused:UNUSED_PAD src0_sel:WORD_1 src1_sel:DWORD
	v_pk_fma_f16 v16, v16, v68, v72
	v_pk_fma_f16 v8, v17, v67, v8
	;; [unrolled: 1-line block ×8, first 2 shown]
	ds_read_b128 v[67:70], v60 offset:880
	s_waitcnt lgkmcnt(2)
	v_mul_u32_u24_sdwa v17, v11, v66 dst_sel:DWORD dst_unused:UNUSED_PAD src0_sel:WORD_0 src1_sel:DWORD
	v_mul_u32_u24_sdwa v11, v11, v66 dst_sel:DWORD dst_unused:UNUSED_PAD src0_sel:WORD_1 src1_sel:DWORD
	v_mul_u32_u24_sdwa v74, v12, v66 dst_sel:DWORD dst_unused:UNUSED_PAD src0_sel:WORD_0 src1_sel:DWORD
	v_mul_u32_u24_sdwa v12, v12, v66 dst_sel:DWORD dst_unused:UNUSED_PAD src0_sel:WORD_1 src1_sel:DWORD
	v_pk_fma_f16 v75, v18, v76, v16
	s_waitcnt lgkmcnt(1)
	v_pk_fma_f16 v8, v19, v17, v8
	v_pk_fma_f16 v72, v19, v11, v72
	;; [unrolled: 1-line block ×5, first 2 shown]
	ds_read2_b64 v[15:18], v73 offset0:192 offset1:224
	v_pk_fma_f16 v11, v20, v11, v24
	v_pk_fma_f16 v23, v20, v74, v23
	v_mul_u32_u24_sdwa v24, v13, v66 dst_sel:DWORD dst_unused:UNUSED_PAD src0_sel:WORD_0 src1_sel:DWORD
	v_mul_u32_u24_sdwa v13, v13, v66 dst_sel:DWORD dst_unused:UNUSED_PAD src0_sel:WORD_1 src1_sel:DWORD
	v_mul_u32_u24_sdwa v73, v14, v66 dst_sel:DWORD dst_unused:UNUSED_PAD src0_sel:WORD_0 src1_sel:DWORD
	v_mul_u32_u24_sdwa v14, v14, v66 dst_sel:DWORD dst_unused:UNUSED_PAD src0_sel:WORD_1 src1_sel:DWORD
	v_pk_fma_f16 v12, v20, v12, v75
	v_pk_fma_f16 v8, v21, v24, v8
	;; [unrolled: 1-line block ×8, first 2 shown]
	s_waitcnt lgkmcnt(1)
	v_mul_u32_u24_sdwa v24, v67, v66 dst_sel:DWORD dst_unused:UNUSED_PAD src0_sel:WORD_0 src1_sel:DWORD
	v_mul_u32_u24_sdwa v67, v67, v66 dst_sel:DWORD dst_unused:UNUSED_PAD src0_sel:WORD_1 src1_sel:DWORD
	v_pk_fma_f16 v72, v22, v14, v12
	v_mul_u32_u24_sdwa v73, v68, v66 dst_sel:DWORD dst_unused:UNUSED_PAD src0_sel:WORD_0 src1_sel:DWORD
	v_mul_u32_u24_sdwa v68, v68, v66 dst_sel:DWORD dst_unused:UNUSED_PAD src0_sel:WORD_1 src1_sel:DWORD
	ds_read_b128 v[11:14], v60 offset:896
	s_waitcnt lgkmcnt(1)
	v_pk_fma_f16 v8, v15, v24, v8
	v_pk_fma_f16 v74, v15, v67, v20
	;; [unrolled: 1-line block ×6, first 2 shown]
	ds_read2_b64 v[19:22], v10 offset1:32
	v_pk_fma_f16 v23, v16, v73, v23
	v_mul_u32_u24_sdwa v67, v69, v66 dst_sel:DWORD dst_unused:UNUSED_PAD src0_sel:WORD_0 src1_sel:DWORD
	v_mul_u32_u24_sdwa v69, v69, v66 dst_sel:DWORD dst_unused:UNUSED_PAD src0_sel:WORD_1 src1_sel:DWORD
	v_mul_u32_u24_sdwa v73, v70, v66 dst_sel:DWORD dst_unused:UNUSED_PAD src0_sel:WORD_0 src1_sel:DWORD
	v_mul_u32_u24_sdwa v75, v70, v66 dst_sel:DWORD dst_unused:UNUSED_PAD src0_sel:WORD_1 src1_sel:DWORD
	v_pk_fma_f16 v16, v16, v68, v72
	v_pk_fma_f16 v8, v17, v67, v8
	;; [unrolled: 1-line block ×8, first 2 shown]
	ds_read_b128 v[67:70], v60 offset:912
	s_waitcnt lgkmcnt(2)
	v_mul_u32_u24_sdwa v17, v11, v66 dst_sel:DWORD dst_unused:UNUSED_PAD src0_sel:WORD_0 src1_sel:DWORD
	v_mul_u32_u24_sdwa v11, v11, v66 dst_sel:DWORD dst_unused:UNUSED_PAD src0_sel:WORD_1 src1_sel:DWORD
	v_mul_u32_u24_sdwa v73, v12, v66 dst_sel:DWORD dst_unused:UNUSED_PAD src0_sel:WORD_0 src1_sel:DWORD
	v_mul_u32_u24_sdwa v12, v12, v66 dst_sel:DWORD dst_unused:UNUSED_PAD src0_sel:WORD_1 src1_sel:DWORD
	v_pk_fma_f16 v74, v18, v75, v16
	s_waitcnt lgkmcnt(1)
	v_pk_fma_f16 v8, v19, v17, v8
	v_pk_fma_f16 v72, v19, v11, v72
	;; [unrolled: 1-line block ×5, first 2 shown]
	ds_read2_b64 v[15:18], v10 offset0:64 offset1:96
	v_pk_fma_f16 v11, v20, v11, v24
	v_pk_fma_f16 v23, v20, v73, v23
	v_mul_u32_u24_sdwa v24, v13, v66 dst_sel:DWORD dst_unused:UNUSED_PAD src0_sel:WORD_0 src1_sel:DWORD
	v_mul_u32_u24_sdwa v13, v13, v66 dst_sel:DWORD dst_unused:UNUSED_PAD src0_sel:WORD_1 src1_sel:DWORD
	v_mul_u32_u24_sdwa v73, v14, v66 dst_sel:DWORD dst_unused:UNUSED_PAD src0_sel:WORD_0 src1_sel:DWORD
	v_mul_u32_u24_sdwa v14, v14, v66 dst_sel:DWORD dst_unused:UNUSED_PAD src0_sel:WORD_1 src1_sel:DWORD
	v_pk_fma_f16 v12, v20, v12, v74
	v_pk_fma_f16 v8, v21, v24, v8
	v_pk_fma_f16 v20, v21, v13, v72
	v_pk_fma_f16 v71, v21, v73, v71
	v_pk_fma_f16 v19, v21, v14, v19
	v_pk_fma_f16 v7, v22, v24, v7
	v_pk_fma_f16 v21, v22, v13, v11
	v_pk_fma_f16 v23, v22, v73, v23
	s_waitcnt lgkmcnt(1)
	v_mul_u32_u24_sdwa v24, v67, v66 dst_sel:DWORD dst_unused:UNUSED_PAD src0_sel:WORD_0 src1_sel:DWORD
	v_mul_u32_u24_sdwa v67, v67, v66 dst_sel:DWORD dst_unused:UNUSED_PAD src0_sel:WORD_1 src1_sel:DWORD
	v_pk_fma_f16 v72, v22, v14, v12
	v_mul_u32_u24_sdwa v73, v68, v66 dst_sel:DWORD dst_unused:UNUSED_PAD src0_sel:WORD_0 src1_sel:DWORD
	v_mul_u32_u24_sdwa v68, v68, v66 dst_sel:DWORD dst_unused:UNUSED_PAD src0_sel:WORD_1 src1_sel:DWORD
	ds_read_b128 v[11:14], v60 offset:928
	s_waitcnt lgkmcnt(1)
	v_pk_fma_f16 v8, v15, v24, v8
	v_pk_fma_f16 v74, v15, v67, v20
	;; [unrolled: 1-line block ×6, first 2 shown]
	ds_read2_b64 v[19:22], v10 offset0:128 offset1:160
	v_pk_fma_f16 v23, v16, v73, v23
	v_mul_u32_u24_sdwa v67, v69, v66 dst_sel:DWORD dst_unused:UNUSED_PAD src0_sel:WORD_0 src1_sel:DWORD
	v_mul_u32_u24_sdwa v69, v69, v66 dst_sel:DWORD dst_unused:UNUSED_PAD src0_sel:WORD_1 src1_sel:DWORD
	v_mul_u32_u24_sdwa v73, v70, v66 dst_sel:DWORD dst_unused:UNUSED_PAD src0_sel:WORD_0 src1_sel:DWORD
	v_mul_u32_u24_sdwa v75, v70, v66 dst_sel:DWORD dst_unused:UNUSED_PAD src0_sel:WORD_1 src1_sel:DWORD
	v_pk_fma_f16 v16, v16, v68, v72
	v_pk_fma_f16 v8, v17, v67, v8
	;; [unrolled: 1-line block ×8, first 2 shown]
	ds_read_b128 v[67:70], v60 offset:944
	s_waitcnt lgkmcnt(2)
	v_mul_u32_u24_sdwa v17, v11, v66 dst_sel:DWORD dst_unused:UNUSED_PAD src0_sel:WORD_0 src1_sel:DWORD
	v_mul_u32_u24_sdwa v11, v11, v66 dst_sel:DWORD dst_unused:UNUSED_PAD src0_sel:WORD_1 src1_sel:DWORD
	v_mul_u32_u24_sdwa v73, v12, v66 dst_sel:DWORD dst_unused:UNUSED_PAD src0_sel:WORD_0 src1_sel:DWORD
	v_mul_u32_u24_sdwa v12, v12, v66 dst_sel:DWORD dst_unused:UNUSED_PAD src0_sel:WORD_1 src1_sel:DWORD
	v_pk_fma_f16 v74, v18, v75, v16
	s_waitcnt lgkmcnt(1)
	v_pk_fma_f16 v8, v19, v17, v8
	v_pk_fma_f16 v72, v19, v11, v72
	;; [unrolled: 1-line block ×5, first 2 shown]
	ds_read2_b64 v[15:18], v10 offset0:192 offset1:224
	v_pk_fma_f16 v10, v20, v11, v24
	v_pk_fma_f16 v11, v20, v73, v23
	v_mul_u32_u24_sdwa v23, v13, v66 dst_sel:DWORD dst_unused:UNUSED_PAD src0_sel:WORD_0 src1_sel:DWORD
	v_mul_u32_u24_sdwa v13, v13, v66 dst_sel:DWORD dst_unused:UNUSED_PAD src0_sel:WORD_1 src1_sel:DWORD
	v_mul_u32_u24_sdwa v24, v14, v66 dst_sel:DWORD dst_unused:UNUSED_PAD src0_sel:WORD_0 src1_sel:DWORD
	v_mul_u32_u24_sdwa v14, v14, v66 dst_sel:DWORD dst_unused:UNUSED_PAD src0_sel:WORD_1 src1_sel:DWORD
	v_pk_fma_f16 v12, v20, v12, v74
	v_pk_fma_f16 v8, v21, v23, v8
	;; [unrolled: 1-line block ×8, first 2 shown]
	s_waitcnt lgkmcnt(1)
	v_mul_u32_u24_sdwa v24, v67, v66 dst_sel:DWORD dst_unused:UNUSED_PAD src0_sel:WORD_0 src1_sel:DWORD
	v_mul_u32_u24_sdwa v67, v67, v66 dst_sel:DWORD dst_unused:UNUSED_PAD src0_sel:WORD_1 src1_sel:DWORD
	v_pk_fma_f16 v14, v22, v14, v12
	v_mul_u32_u24_sdwa v72, v68, v66 dst_sel:DWORD dst_unused:UNUSED_PAD src0_sel:WORD_0 src1_sel:DWORD
	v_mul_u32_u24_sdwa v68, v68, v66 dst_sel:DWORD dst_unused:UNUSED_PAD src0_sel:WORD_1 src1_sel:DWORD
	ds_read_b128 v[10:13], v60 offset:960
	s_waitcnt lgkmcnt(1)
	v_pk_fma_f16 v8, v15, v24, v8
	v_pk_fma_f16 v73, v15, v67, v20
	;; [unrolled: 1-line block ×6, first 2 shown]
	ds_read2_b64 v[19:22], v9 offset1:32
	v_pk_fma_f16 v23, v16, v72, v23
	v_mul_u32_u24_sdwa v67, v69, v66 dst_sel:DWORD dst_unused:UNUSED_PAD src0_sel:WORD_0 src1_sel:DWORD
	v_mul_u32_u24_sdwa v69, v69, v66 dst_sel:DWORD dst_unused:UNUSED_PAD src0_sel:WORD_1 src1_sel:DWORD
	v_mul_u32_u24_sdwa v72, v70, v66 dst_sel:DWORD dst_unused:UNUSED_PAD src0_sel:WORD_0 src1_sel:DWORD
	v_mul_u32_u24_sdwa v70, v70, v66 dst_sel:DWORD dst_unused:UNUSED_PAD src0_sel:WORD_1 src1_sel:DWORD
	v_pk_fma_f16 v68, v16, v68, v14
	v_pk_fma_f16 v8, v17, v67, v8
	;; [unrolled: 1-line block ×6, first 2 shown]
	ds_read_b128 v[14:17], v60 offset:976
	s_waitcnt lgkmcnt(2)
	v_mul_u32_u24_sdwa v67, v10, v66 dst_sel:DWORD dst_unused:UNUSED_PAD src0_sel:WORD_0 src1_sel:DWORD
	v_pk_fma_f16 v24, v18, v69, v24
	v_pk_fma_f16 v23, v18, v72, v23
	;; [unrolled: 1-line block ×3, first 2 shown]
	v_mul_u32_u24_sdwa v10, v10, v66 dst_sel:DWORD dst_unused:UNUSED_PAD src0_sel:WORD_1 src1_sel:DWORD
	v_mul_u32_u24_sdwa v72, v11, v66 dst_sel:DWORD dst_unused:UNUSED_PAD src0_sel:WORD_0 src1_sel:DWORD
	v_mul_u32_u24_sdwa v11, v11, v66 dst_sel:DWORD dst_unused:UNUSED_PAD src0_sel:WORD_1 src1_sel:DWORD
	s_waitcnt lgkmcnt(1)
	v_pk_fma_f16 v8, v19, v67, v8
	v_pk_fma_f16 v7, v20, v67, v7
	ds_read2_b64 v[67:70], v9 offset0:64 offset1:96
	v_pk_fma_f16 v73, v19, v10, v73
	v_pk_fma_f16 v71, v19, v72, v71
	;; [unrolled: 1-line block ×5, first 2 shown]
	v_mul_u32_u24_sdwa v24, v12, v66 dst_sel:DWORD dst_unused:UNUSED_PAD src0_sel:WORD_0 src1_sel:DWORD
	v_mul_u32_u24_sdwa v12, v12, v66 dst_sel:DWORD dst_unused:UNUSED_PAD src0_sel:WORD_1 src1_sel:DWORD
	v_mul_u32_u24_sdwa v72, v13, v66 dst_sel:DWORD dst_unused:UNUSED_PAD src0_sel:WORD_0 src1_sel:DWORD
	v_mul_u32_u24_sdwa v13, v13, v66 dst_sel:DWORD dst_unused:UNUSED_PAD src0_sel:WORD_1 src1_sel:DWORD
	v_pk_fma_f16 v11, v20, v11, v18
	v_pk_fma_f16 v8, v21, v24, v8
	;; [unrolled: 1-line block ×8, first 2 shown]
	s_waitcnt lgkmcnt(1)
	v_mul_u32_u24_sdwa v24, v14, v66 dst_sel:DWORD dst_unused:UNUSED_PAD src0_sel:WORD_0 src1_sel:DWORD
	v_mul_u32_u24_sdwa v14, v14, v66 dst_sel:DWORD dst_unused:UNUSED_PAD src0_sel:WORD_1 src1_sel:DWORD
	v_pk_fma_f16 v22, v22, v13, v11
	v_mul_u32_u24_sdwa v71, v15, v66 dst_sel:DWORD dst_unused:UNUSED_PAD src0_sel:WORD_0 src1_sel:DWORD
	v_mul_u32_u24_sdwa v15, v15, v66 dst_sel:DWORD dst_unused:UNUSED_PAD src0_sel:WORD_1 src1_sel:DWORD
	ds_read_b128 v[10:13], v60 offset:992
	s_waitcnt lgkmcnt(1)
	v_pk_fma_f16 v8, v67, v24, v8
	v_pk_fma_f16 v72, v67, v14, v18
	v_pk_fma_f16 v73, v67, v71, v20
	v_pk_fma_f16 v67, v67, v15, v19
	v_pk_fma_f16 v14, v68, v14, v21
	ds_read2_b64 v[18:21], v9 offset0:128 offset1:160
	v_pk_fma_f16 v7, v68, v24, v7
	v_pk_fma_f16 v23, v68, v71, v23
	v_mul_u32_u24_sdwa v24, v16, v66 dst_sel:DWORD dst_unused:UNUSED_PAD src0_sel:WORD_0 src1_sel:DWORD
	v_mul_u32_u24_sdwa v16, v16, v66 dst_sel:DWORD dst_unused:UNUSED_PAD src0_sel:WORD_1 src1_sel:DWORD
	v_mul_u32_u24_sdwa v71, v17, v66 dst_sel:DWORD dst_unused:UNUSED_PAD src0_sel:WORD_0 src1_sel:DWORD
	v_mul_u32_u24_sdwa v74, v17, v66 dst_sel:DWORD dst_unused:UNUSED_PAD src0_sel:WORD_1 src1_sel:DWORD
	v_pk_fma_f16 v22, v68, v15, v22
	v_pk_fma_f16 v8, v69, v24, v8
	;; [unrolled: 1-line block ×8, first 2 shown]
	ds_read_b128 v[14:17], v60 offset:1008
	s_waitcnt lgkmcnt(2)
	v_mul_u32_u24_sdwa v69, v10, v66 dst_sel:DWORD dst_unused:UNUSED_PAD src0_sel:WORD_0 src1_sel:DWORD
	v_mul_u32_u24_sdwa v10, v10, v66 dst_sel:DWORD dst_unused:UNUSED_PAD src0_sel:WORD_1 src1_sel:DWORD
	v_mul_u32_u24_sdwa v71, v11, v66 dst_sel:DWORD dst_unused:UNUSED_PAD src0_sel:WORD_0 src1_sel:DWORD
	v_mul_u32_u24_sdwa v11, v11, v66 dst_sel:DWORD dst_unused:UNUSED_PAD src0_sel:WORD_1 src1_sel:DWORD
	v_pk_fma_f16 v22, v70, v74, v22
	s_waitcnt lgkmcnt(1)
	v_pk_fma_f16 v70, v18, v69, v8
	v_pk_fma_f16 v68, v18, v10, v68
	;; [unrolled: 1-line block ×6, first 2 shown]
	ds_read2_b64 v[7:10], v9 offset0:192 offset1:224
	s_waitcnt lgkmcnt(0)
	s_barrier
	buffer_gl0_inv
	s_load_dword s19, s[0:1], 0x4
	v_pk_fma_f16 v23, v19, v71, v23
	v_mul_u32_u24_sdwa v69, v12, v66 dst_sel:DWORD dst_unused:UNUSED_PAD src0_sel:WORD_0 src1_sel:DWORD
	v_mul_u32_u24_sdwa v12, v12, v66 dst_sel:DWORD dst_unused:UNUSED_PAD src0_sel:WORD_1 src1_sel:DWORD
	v_mul_u32_u24_sdwa v71, v13, v66 dst_sel:DWORD dst_unused:UNUSED_PAD src0_sel:WORD_0 src1_sel:DWORD
	v_mul_u32_u24_sdwa v13, v13, v66 dst_sel:DWORD dst_unused:UNUSED_PAD src0_sel:WORD_1 src1_sel:DWORD
	v_pk_fma_f16 v11, v19, v11, v22
	v_pk_fma_f16 v19, v20, v69, v70
	;; [unrolled: 1-line block ×9, first 2 shown]
	v_mul_u32_u24_sdwa v13, v14, v66 dst_sel:DWORD dst_unused:UNUSED_PAD src0_sel:WORD_0 src1_sel:DWORD
	v_mul_u32_u24_sdwa v14, v14, v66 dst_sel:DWORD dst_unused:UNUSED_PAD src0_sel:WORD_1 src1_sel:DWORD
	v_mul_u32_u24_sdwa v21, v15, v66 dst_sel:DWORD dst_unused:UNUSED_PAD src0_sel:WORD_0 src1_sel:DWORD
	v_mul_u32_u24_sdwa v15, v15, v66 dst_sel:DWORD dst_unused:UNUSED_PAD src0_sel:WORD_1 src1_sel:DWORD
	v_pk_fma_f16 v19, v7, v13, v19
	v_pk_fma_f16 v22, v7, v14, v22
	;; [unrolled: 1-line block ×7, first 2 shown]
	v_mul_u32_u24_sdwa v18, v16, v66 dst_sel:DWORD dst_unused:UNUSED_PAD src0_sel:WORD_0 src1_sel:DWORD
	v_mul_u32_u24_sdwa v16, v16, v66 dst_sel:DWORD dst_unused:UNUSED_PAD src0_sel:WORD_1 src1_sel:DWORD
	v_mul_u32_u24_sdwa v20, v17, v66 dst_sel:DWORD dst_unused:UNUSED_PAD src0_sel:WORD_0 src1_sel:DWORD
	v_mul_u32_u24_sdwa v17, v17, v66 dst_sel:DWORD dst_unused:UNUSED_PAD src0_sel:WORD_1 src1_sel:DWORD
	v_pk_fma_f16 v8, v8, v15, v11
	s_waitcnt lgkmcnt(0)
	s_lshl_b32 s19, s19, 7
	v_pk_fma_f16 v71, v9, v18, v19
	v_pk_fma_f16 v69, v9, v16, v22
	;; [unrolled: 1-line block ×8, first 2 shown]
	s_add_i32 s6, s19, s6
	s_cmp_ge_i32 s6, s34
	s_cbranch_scc1 .LBB81_75
; %bb.74:                               ;   in Loop: Header=BB81_9 Depth=1
	v_mov_b32_e32 v9, v1
	v_mov_b32_e32 v76, v2
	;; [unrolled: 1-line block ×8, first 2 shown]
	s_branch .LBB81_9
.LBB81_75:
	v_mov_b32_e32 v7, v49
.LBB81_76:
	v_cmp_lt_i32_e32 vcc_lo, v82, v50
	s_cmp_lg_u64 s[16:17], 0
	s_cselect_b32 s0, -1, 0
	s_cmp_eq_u32 s28, 0
	v_cndmask_b32_e32 v8, v7, v82, vcc_lo
	v_cmp_lt_i32_e32 vcc_lo, v81, v50
	s_cselect_b32 s1, -1, 0
	s_and_b32 s0, s1, s0
	v_lshlrev_b32_e32 v8, 2, v8
	v_cndmask_b32_e32 v12, v7, v81, vcc_lo
	v_cmp_lt_i32_e32 vcc_lo, v80, v50
	ds_bpermute_b32 v9, v8, v83
	ds_bpermute_b32 v10, v8, v84
	;; [unrolled: 1-line block ×4, first 2 shown]
	v_lshlrev_b32_e32 v12, 2, v12
	v_cndmask_b32_e32 v14, v7, v80, vcc_lo
	v_cmp_lt_i32_e32 vcc_lo, v79, v50
	v_lshlrev_b32_e32 v14, 2, v14
	s_waitcnt lgkmcnt(3)
	v_add_f32_e32 v9, v83, v9
	s_waitcnt lgkmcnt(2)
	v_add_f32_e32 v10, v84, v10
	;; [unrolled: 2-line block ×4, first 2 shown]
	ds_bpermute_b32 v8, v12, v9
	ds_bpermute_b32 v11, v12, v10
	;; [unrolled: 1-line block ×4, first 2 shown]
	s_waitcnt lgkmcnt(3)
	v_add_f32_e32 v8, v9, v8
	s_waitcnt lgkmcnt(2)
	v_add_f32_e32 v9, v10, v11
	s_waitcnt lgkmcnt(1)
	v_add_f32_e32 v6, v6, v13
	s_waitcnt lgkmcnt(0)
	v_add_f32_e32 v5, v5, v12
	ds_bpermute_b32 v10, v14, v8
	ds_bpermute_b32 v11, v14, v9
	;; [unrolled: 1-line block ×4, first 2 shown]
	v_cndmask_b32_e32 v14, v7, v79, vcc_lo
	v_cmp_lt_i32_e32 vcc_lo, v78, v50
	v_lshlrev_b32_e32 v14, 2, v14
	v_cndmask_b32_e32 v7, v7, v78, vcc_lo
	s_and_b32 vcc_lo, exec_lo, s0
	v_lshlrev_b32_e32 v7, 2, v7
	s_waitcnt lgkmcnt(3)
	v_add_f32_e32 v8, v8, v10
	s_waitcnt lgkmcnt(2)
	v_add_f32_e32 v9, v9, v11
	;; [unrolled: 2-line block ×4, first 2 shown]
	ds_bpermute_b32 v10, v14, v8
	ds_bpermute_b32 v11, v14, v9
	;; [unrolled: 1-line block ×4, first 2 shown]
	s_waitcnt lgkmcnt(3)
	v_add_f32_e32 v8, v8, v10
	s_waitcnt lgkmcnt(2)
	v_add_f32_e32 v9, v9, v11
	;; [unrolled: 2-line block ×4, first 2 shown]
	ds_bpermute_b32 v5, v7, v8
	ds_bpermute_b32 v6, v7, v9
	;; [unrolled: 1-line block ×4, first 2 shown]
	s_waitcnt lgkmcnt(3)
	v_add_f32_e32 v5, v8, v5
	s_waitcnt lgkmcnt(2)
	v_add_f32_e32 v6, v9, v6
	;; [unrolled: 2-line block ×4, first 2 shown]
	s_cbranch_vccz .LBB81_79
; %bb.77:
	s_ashr_i32 s31, s30, 31
	v_mov_b32_e32 v9, 0
	s_lshl_b64 s[0:1], s[30:31], 2
	v_max_f32_e32 v10, v2, v2
	s_add_u32 s0, s16, s0
	s_addc_u32 s1, s17, s1
	v_max_f32_e32 v15, v3, v3
	global_load_dwordx2 v[13:14], v9, s[0:1]
	v_max_f32_e32 v9, v1, v1
	v_max_f32_e32 v16, v4, v4
	v_mov_b32_e32 v17, 0x10001
	s_waitcnt vmcnt(0)
	v_max_f32_e32 v11, v13, v13
	v_max_f32_e32 v12, v14, v14
	v_max_f32_e32 v9, v9, v11
	v_max_f32_e32 v10, v10, v12
	v_max_f32_e32 v11, v15, v11
	v_max_f32_e32 v12, v16, v12
	v_sub_f32_e32 v15, v1, v9
	v_sub_f32_e32 v18, v2, v10
	;; [unrolled: 1-line block ×4, first 2 shown]
	v_mov_b32_e32 v1, v9
	v_sub_f32_e32 v16, v13, v9
	v_mov_b32_e32 v2, v10
	v_mov_b32_e32 v3, v11
	;; [unrolled: 1-line block ×3, first 2 shown]
	v_mul_f32_e32 v9, 0x3fb8aa3b, v15
	v_sub_f32_e32 v19, v14, v10
	v_mul_f32_e32 v10, 0x3fb8aa3b, v16
	v_sub_f32_e32 v13, v13, v11
	v_mul_f32_e32 v11, 0x3fb8aa3b, v18
	v_fma_f32 v30, 0x3fb8aa3b, v15, -v9
	v_rndne_f32_e32 v31, v9
	v_fma_f32 v32, 0x3fb8aa3b, v16, -v10
	v_rndne_f32_e32 v33, v10
	v_sub_f32_e32 v14, v14, v12
	v_fmac_f32_e32 v30, 0x32a5705f, v15
	v_sub_f32_e32 v9, v9, v31
	v_mul_f32_e32 v12, 0x3fb8aa3b, v19
	v_fma_f32 v34, 0x3fb8aa3b, v18, -v11
	v_rndne_f32_e32 v35, v11
	v_fmac_f32_e32 v32, 0x32a5705f, v16
	v_sub_f32_e32 v10, v10, v33
	v_add_f32_e32 v9, v9, v30
	v_mul_f32_e32 v26, 0x3fb8aa3b, v20
	v_fma_f32 v36, 0x3fb8aa3b, v19, -v12
	v_rndne_f32_e32 v37, v12
	v_fmac_f32_e32 v34, 0x32a5705f, v18
	v_sub_f32_e32 v11, v11, v35
	v_add_f32_e32 v10, v10, v32
	v_exp_f32_e32 v9, v9
	v_mul_f32_e32 v27, 0x3fb8aa3b, v13
	v_fma_f32 v38, 0x3fb8aa3b, v20, -v26
	v_rndne_f32_e32 v39, v26
	v_cvt_i32_f32_e32 v31, v31
	v_fmac_f32_e32 v36, 0x32a5705f, v19
	v_sub_f32_e32 v12, v12, v37
	v_add_f32_e32 v11, v11, v34
	v_exp_f32_e32 v10, v10
	v_mul_f32_e32 v28, 0x3fb8aa3b, v25
	v_fma_f32 v40, 0x3fb8aa3b, v13, -v27
	v_rndne_f32_e32 v48, v27
	v_cvt_i32_f32_e32 v33, v33
	v_fmac_f32_e32 v38, 0x32a5705f, v20
	v_sub_f32_e32 v26, v26, v39
	v_add_f32_e32 v12, v12, v36
	v_exp_f32_e32 v11, v11
	v_ldexp_f32 v9, v9, v31
	v_cmp_ngt_f32_e32 vcc_lo, 0xc2ce8ed0, v15
	v_mul_f32_e32 v29, 0x3fb8aa3b, v14
	v_fma_f32 v49, 0x3fb8aa3b, v25, -v28
	v_rndne_f32_e32 v50, v28
	v_cvt_i32_f32_e32 v35, v35
	v_fmac_f32_e32 v40, 0x32a5705f, v13
	v_sub_f32_e32 v27, v27, v48
	v_add_f32_e32 v26, v26, v38
	v_exp_f32_e32 v12, v12
	v_ldexp_f32 v10, v10, v33
	v_cndmask_b32_e32 v9, 0, v9, vcc_lo
	v_cmp_ngt_f32_e32 vcc_lo, 0xc2ce8ed0, v16
	v_fma_f32 v51, 0x3fb8aa3b, v14, -v29
	v_rndne_f32_e32 v52, v29
	v_cvt_i32_f32_e32 v37, v37
	v_fmac_f32_e32 v49, 0x32a5705f, v25
	v_sub_f32_e32 v28, v28, v50
	v_add_f32_e32 v27, v27, v40
	v_exp_f32_e32 v26, v26
	v_ldexp_f32 v11, v11, v35
	v_cndmask_b32_e32 v10, 0, v10, vcc_lo
	v_cmp_ngt_f32_e32 vcc_lo, 0xc2ce8ed0, v18
	v_cvt_i32_f32_e32 v39, v39
	v_fmac_f32_e32 v51, 0x32a5705f, v14
	v_sub_f32_e32 v29, v29, v52
	v_add_f32_e32 v28, v28, v49
	v_exp_f32_e32 v27, v27
	v_ldexp_f32 v12, v12, v37
	v_cndmask_b32_e32 v11, 0, v11, vcc_lo
	v_cmp_ngt_f32_e32 vcc_lo, 0xc2ce8ed0, v19
	v_cvt_i32_f32_e32 v48, v48
	v_add_f32_e32 v29, v29, v51
	v_exp_f32_e32 v28, v28
	v_ldexp_f32 v26, v26, v39
	v_cndmask_b32_e32 v12, 0, v12, vcc_lo
	v_cmp_ngt_f32_e32 vcc_lo, 0xc2ce8ed0, v20
	v_exp_f32_e32 v29, v29
	v_cvt_i32_f32_e32 v30, v50
	v_ldexp_f32 v27, v27, v48
	v_cvt_i32_f32_e32 v32, v52
	v_cndmask_b32_e32 v26, 0, v26, vcc_lo
	v_cmp_ngt_f32_e32 vcc_lo, 0xc2ce8ed0, v13
	v_ldexp_f32 v28, v28, v30
	v_cndmask_b32_e32 v27, 0, v27, vcc_lo
	v_cmp_ngt_f32_e32 vcc_lo, 0xc2ce8ed0, v25
	v_ldexp_f32 v29, v29, v32
	v_cndmask_b32_e32 v28, 0, v28, vcc_lo
	v_cmp_ngt_f32_e32 vcc_lo, 0xc2ce8ed0, v14
	v_cndmask_b32_e32 v29, 0, v29, vcc_lo
	v_cmp_nlt_f32_e32 vcc_lo, 0x42b17218, v15
	v_cndmask_b32_e32 v15, 0x7f800000, v9, vcc_lo
	v_cmp_nlt_f32_e32 vcc_lo, 0x42b17218, v16
	;; [unrolled: 2-line block ×3, first 2 shown]
	v_fmac_f32_e32 v9, v5, v15
	v_cndmask_b32_e32 v16, 0x7f800000, v11, vcc_lo
	v_cmp_nlt_f32_e32 vcc_lo, 0x42b17218, v19
	v_cvt_f16_f32_e32 v5, v15
	v_cndmask_b32_e32 v10, 0x7f800000, v12, vcc_lo
	v_cmp_nlt_f32_e32 vcc_lo, 0x42b17218, v20
	v_fmac_f32_e32 v10, v6, v16
	v_cndmask_b32_e32 v18, 0x7f800000, v26, vcc_lo
	v_cmp_nlt_f32_e32 vcc_lo, 0x42b17218, v13
	v_cvt_f16_f32_e32 v6, v16
	v_cndmask_b32_e32 v11, 0x7f800000, v27, vcc_lo
	v_cmp_nlt_f32_e32 vcc_lo, 0x42b17218, v25
	v_fmac_f32_e32 v11, v7, v18
	v_cndmask_b32_e32 v13, 0x7f800000, v28, vcc_lo
	v_cmp_nlt_f32_e32 vcc_lo, 0x42b17218, v14
	v_cvt_f16_f32_e32 v7, v18
	v_cvt_f16_f32_e32 v14, v13
	v_cndmask_b32_e32 v12, 0x7f800000, v29, vcc_lo
	v_mul_u32_u24_sdwa v15, v7, v17 dst_sel:DWORD dst_unused:UNUSED_PAD src0_sel:WORD_0 src1_sel:DWORD
	v_mov_b32_e32 v7, v11
	v_mul_u32_u24_sdwa v14, v14, v17 dst_sel:DWORD dst_unused:UNUSED_PAD src0_sel:WORD_0 src1_sel:DWORD
	v_fmac_f32_e32 v12, v8, v13
	v_mul_u32_u24_sdwa v8, v5, v17 dst_sel:DWORD dst_unused:UNUSED_PAD src0_sel:WORD_0 src1_sel:DWORD
	v_mul_u32_u24_sdwa v13, v6, v17 dst_sel:DWORD dst_unused:UNUSED_PAD src0_sel:WORD_0 src1_sel:DWORD
	v_mov_b32_e32 v5, v9
	v_mov_b32_e32 v6, v10
	v_pk_mul_f16 v23, v23, v15
	v_pk_mul_f16 v71, v71, v8
	;; [unrolled: 1-line block ×8, first 2 shown]
	v_mov_b32_e32 v8, v12
	s_mov_b32 s0, exec_lo
	v_cmpx_gt_i32_e64 s2, v46
	s_cbranch_execnz .LBB81_80
.LBB81_78:
	s_endpgm
.LBB81_79:
	v_mov_b32_e32 v12, v8
	v_mov_b32_e32 v11, v7
	;; [unrolled: 1-line block ×4, first 2 shown]
	s_mov_b32 s0, exec_lo
	v_cmpx_gt_i32_e64 s2, v46
	s_cbranch_execz .LBB81_78
.LBB81_80:
	s_load_dword s1, s[4:5], 0xd4
	v_mov_b32_e32 v16, 1.0
	s_waitcnt lgkmcnt(0)
	s_cmp_lg_u32 s1, 1
	s_cselect_b32 s5, -1, 0
	s_cmp_eq_u32 s1, 1
	s_cselect_b32 s6, -1, 0
	s_and_b32 vcc_lo, exec_lo, s5
	s_cbranch_vccnz .LBB81_82
; %bb.81:
	v_div_scale_f32 v13, null, v5, v5, 1.0
	v_rcp_f32_e32 v14, v13
	v_fma_f32 v15, -v13, v14, 1.0
	v_fmac_f32_e32 v14, v15, v14
	v_div_scale_f32 v15, vcc_lo, 1.0, v5, 1.0
	v_mul_f32_e32 v16, v15, v14
	v_fma_f32 v17, -v13, v16, v15
	v_fmac_f32_e32 v16, v17, v14
	v_fma_f32 v13, -v13, v16, v15
	v_div_fmas_f32 v13, v13, v14, v16
	v_div_fixup_f32 v16, v13, v5, 1.0
.LBB81_82:
	s_mul_i32 s4, s7, s2
	v_mov_b32_e32 v18, 0
	s_add_i32 s4, s4, s14
	v_cmp_eq_u32_e32 vcc_lo, 0, v0
	v_add_nc_u32_e32 v5, s4, v45
	v_cvt_f32_f16_e32 v0, v71
	v_cvt_f32_f16_sdwa v20, v72 dst_sel:DWORD dst_unused:UNUSED_PAD src0_sel:WORD_1
	s_and_b32 s5, vcc_lo, s5
	v_mul_lo_u32 v15, v5, s3
	v_mul_f32_e32 v20, v16, v20
	v_add_nc_u32_e32 v5, s30, v15
	v_mad_u64_u32 v[13:14], null, s1, v5, s[28:29]
	v_cvt_f32_f16_sdwa v5, v71 dst_sel:DWORD dst_unused:UNUSED_PAD src0_sel:WORD_1
	v_cvt_f32_f16_e32 v14, v72
	v_mul_f32_e32 v19, v16, v14
	v_lshl_add_u32 v17, v13, 7, v47
	v_lshlrev_b64 v[25:26], 2, v[17:18]
	v_mul_f32_e32 v17, v16, v0
	v_mul_f32_e32 v18, v16, v5
	v_add_co_u32 v25, s0, s20, v25
	v_add_co_ci_u32_e64 v26, null, s21, v26, s0
	global_store_dwordx4 v[25:26], v[17:20], off
	s_and_saveexec_b32 s0, s5
	s_cbranch_execz .LBB81_84
; %bb.83:
	v_ashrrev_i32_e32 v14, 31, v13
	v_mov_b32_e32 v0, v1
	v_mov_b32_e32 v1, v9
	v_lshlrev_b64 v[13:14], 3, v[13:14]
	v_add_co_u32 v13, vcc_lo, s22, v13
	v_add_co_ci_u32_e64 v14, null, s23, v14, vcc_lo
	global_store_dwordx2 v[13:14], v[0:1], off
.LBB81_84:
	s_or_b32 exec_lo, exec_lo, s0
	v_cndmask_b32_e64 v5, 0, 1, s6
	v_mov_b32_e32 v9, 1.0
	s_andn2_b32 vcc_lo, exec_lo, s6
	s_cbranch_vccnz .LBB81_86
; %bb.85:
	v_div_scale_f32 v0, null, v6, v6, 1.0
	v_rcp_f32_e32 v1, v0
	v_fma_f32 v9, -v0, v1, 1.0
	v_fmac_f32_e32 v1, v9, v1
	v_div_scale_f32 v9, vcc_lo, 1.0, v6, 1.0
	v_mul_f32_e32 v13, v9, v1
	v_fma_f32 v14, -v0, v13, v9
	v_fmac_f32_e32 v13, v14, v1
	v_fma_f32 v0, -v0, v13, v9
	v_div_fmas_f32 v0, v0, v1, v13
	v_div_fixup_f32 v9, v0, v6, 1.0
.LBB81_86:
	s_add_i32 s0, s30, 1
	v_mov_b32_e32 v14, 0
	v_add_nc_u32_e32 v0, s0, v15
	v_cvt_f32_f16_sdwa v6, v69 dst_sel:DWORD dst_unused:UNUSED_PAD src0_sel:WORD_1
	v_cvt_f32_f16_e32 v15, v70
	v_cvt_f32_f16_sdwa v16, v70 dst_sel:DWORD dst_unused:UNUSED_PAD src0_sel:WORD_1
	v_mad_u64_u32 v[0:1], null, s1, v0, s[28:29]
	v_cvt_f32_f16_e32 v1, v69
	v_mul_f32_e32 v15, v9, v15
	v_mul_f32_e32 v16, v9, v16
	v_lshl_add_u32 v13, v0, 7, v47
	v_lshlrev_b64 v[17:18], 2, v[13:14]
	v_mul_f32_e32 v13, v9, v1
	v_mul_f32_e32 v14, v9, v6
	v_add_co_u32 v17, vcc_lo, s20, v17
	v_add_co_ci_u32_e64 v18, null, s21, v18, vcc_lo
	global_store_dwordx4 v[17:18], v[13:16], off
	s_and_saveexec_b32 s6, s5
	s_cbranch_execz .LBB81_88
; %bb.87:
	v_ashrrev_i32_e32 v1, 31, v0
	v_mov_b32_e32 v9, v2
	v_lshlrev_b64 v[0:1], 3, v[0:1]
	v_add_co_u32 v0, vcc_lo, s22, v0
	v_add_co_ci_u32_e64 v1, null, s23, v1, vcc_lo
	global_store_dwordx2 v[0:1], v[9:10], off
.LBB81_88:
	s_or_b32 exec_lo, exec_lo, s6
	v_cmp_gt_i32_e32 vcc_lo, s2, v44
	s_and_b32 exec_lo, exec_lo, vcc_lo
	s_cbranch_execz .LBB81_78
; %bb.89:
	v_cmp_ne_u32_e32 vcc_lo, 1, v5
	v_mov_b32_e32 v2, 1.0
	s_cbranch_vccnz .LBB81_91
; %bb.90:
	v_div_scale_f32 v0, null, v7, v7, 1.0
	v_rcp_f32_e32 v1, v0
	v_fma_f32 v2, -v0, v1, 1.0
	v_fmac_f32_e32 v1, v2, v1
	v_div_scale_f32 v2, vcc_lo, 1.0, v7, 1.0
	v_mul_f32_e32 v6, v2, v1
	v_fma_f32 v9, -v0, v6, v2
	v_fmac_f32_e32 v6, v9, v1
	v_fma_f32 v0, -v0, v6, v2
	v_div_fmas_f32 v0, v0, v1, v6
	v_div_fixup_f32 v2, v0, v7, 1.0
.LBB81_91:
	v_add_nc_u32_e32 v0, s4, v43
	v_mov_b32_e32 v7, 0
	v_cvt_f32_f16_sdwa v9, v23 dst_sel:DWORD dst_unused:UNUSED_PAD src0_sel:WORD_1
	v_cvt_f32_f16_e32 v10, v24
	v_cvt_f32_f16_sdwa v16, v24 dst_sel:DWORD dst_unused:UNUSED_PAD src0_sel:WORD_1
	v_mad_u64_u32 v[0:1], null, v0, s3, s[30:31]
	v_mul_f32_e32 v14, v2, v9
	v_mul_f32_e32 v15, v2, v10
	;; [unrolled: 1-line block ×3, first 2 shown]
	v_mad_u64_u32 v[0:1], null, s1, v0, s[28:29]
	v_cvt_f32_f16_e32 v1, v23
	v_mul_f32_e32 v13, v2, v1
	v_lshl_add_u32 v6, v0, 7, v47
	v_lshlrev_b64 v[6:7], 2, v[6:7]
	v_add_co_u32 v1, vcc_lo, s20, v6
	v_add_co_ci_u32_e64 v2, null, s21, v7, vcc_lo
	global_store_dwordx4 v[1:2], v[13:16], off
	s_and_saveexec_b32 s6, s5
	s_cbranch_execz .LBB81_93
; %bb.92:
	v_ashrrev_i32_e32 v1, 31, v0
	v_mov_b32_e32 v10, v3
	v_lshlrev_b64 v[0:1], 3, v[0:1]
	v_add_co_u32 v0, vcc_lo, s22, v0
	v_add_co_ci_u32_e64 v1, null, s23, v1, vcc_lo
	global_store_dwordx2 v[0:1], v[10:11], off
.LBB81_93:
	s_or_b32 exec_lo, exec_lo, s6
	v_cmp_gt_i32_e32 vcc_lo, s2, v42
	s_and_b32 exec_lo, exec_lo, vcc_lo
	s_cbranch_execz .LBB81_78
; %bb.94:
	v_cmp_ne_u32_e32 vcc_lo, 1, v5
	v_mov_b32_e32 v2, 1.0
	s_cbranch_vccnz .LBB81_96
; %bb.95:
	v_div_scale_f32 v0, null, v8, v8, 1.0
	v_rcp_f32_e32 v1, v0
	v_fma_f32 v2, -v0, v1, 1.0
	v_fmac_f32_e32 v1, v2, v1
	v_div_scale_f32 v2, vcc_lo, 1.0, v8, 1.0
	v_mul_f32_e32 v3, v2, v1
	v_fma_f32 v5, -v0, v3, v2
	v_fmac_f32_e32 v3, v5, v1
	v_fma_f32 v0, -v0, v3, v2
	v_div_fmas_f32 v0, v0, v1, v3
	v_div_fixup_f32 v2, v0, v8, 1.0
.LBB81_96:
	v_add_nc_u32_e32 v0, s4, v41
	v_mov_b32_e32 v6, 0
	v_cvt_f32_f16_sdwa v3, v22 dst_sel:DWORD dst_unused:UNUSED_PAD src0_sel:WORD_1
	v_cvt_f32_f16_e32 v7, v21
	v_cvt_f32_f16_sdwa v8, v21 dst_sel:DWORD dst_unused:UNUSED_PAD src0_sel:WORD_1
	v_mad_u64_u32 v[0:1], null, v0, s3, s[0:1]
	v_mul_f32_e32 v7, v2, v7
	v_mul_f32_e32 v8, v2, v8
	v_mad_u64_u32 v[0:1], null, s1, v0, s[28:29]
	v_cvt_f32_f16_e32 v1, v22
	v_lshl_add_u32 v5, v0, 7, v47
	v_lshlrev_b64 v[9:10], 2, v[5:6]
	v_mul_f32_e32 v5, v2, v1
	v_mul_f32_e32 v6, v2, v3
	v_add_co_u32 v1, vcc_lo, s20, v9
	v_add_co_ci_u32_e64 v2, null, s21, v10, vcc_lo
	global_store_dwordx4 v[1:2], v[5:8], off
	s_and_b32 exec_lo, exec_lo, s5
	s_cbranch_execz .LBB81_78
; %bb.97:
	v_ashrrev_i32_e32 v1, 31, v0
	v_mov_b32_e32 v11, v4
	v_lshlrev_b64 v[0:1], 3, v[0:1]
	v_add_co_u32 v0, vcc_lo, s22, v0
	v_add_co_ci_u32_e64 v1, null, s23, v1, vcc_lo
	global_store_dwordx2 v[0:1], v[11:12], off
	s_endpgm
	.section	.rodata,"a",@progbits
	.p2align	6, 0x0
	.amdhsa_kernel _ZL15flash_attn_tileILi128ELi128ELi16ELi2ELb1EEvPKcS1_S1_S1_S1_PKiPfP15HIP_vector_typeIfLj2EEffffjfiS5_IjLj3EEiiiiiiiiiiiliiliiiiil
		.amdhsa_group_segment_fixed_size 34816
		.amdhsa_private_segment_fixed_size 0
		.amdhsa_kernarg_size 464
		.amdhsa_user_sgpr_count 6
		.amdhsa_user_sgpr_private_segment_buffer 1
		.amdhsa_user_sgpr_dispatch_ptr 0
		.amdhsa_user_sgpr_queue_ptr 0
		.amdhsa_user_sgpr_kernarg_segment_ptr 1
		.amdhsa_user_sgpr_dispatch_id 0
		.amdhsa_user_sgpr_flat_scratch_init 0
		.amdhsa_user_sgpr_private_segment_size 0
		.amdhsa_wavefront_size32 1
		.amdhsa_uses_dynamic_stack 0
		.amdhsa_system_sgpr_private_segment_wavefront_offset 0
		.amdhsa_system_sgpr_workgroup_id_x 1
		.amdhsa_system_sgpr_workgroup_id_y 1
		.amdhsa_system_sgpr_workgroup_id_z 1
		.amdhsa_system_sgpr_workgroup_info 0
		.amdhsa_system_vgpr_workitem_id 1
		.amdhsa_next_free_vgpr 207
		.amdhsa_next_free_sgpr 43
		.amdhsa_reserve_vcc 1
		.amdhsa_reserve_flat_scratch 0
		.amdhsa_float_round_mode_32 0
		.amdhsa_float_round_mode_16_64 0
		.amdhsa_float_denorm_mode_32 3
		.amdhsa_float_denorm_mode_16_64 3
		.amdhsa_dx10_clamp 1
		.amdhsa_ieee_mode 1
		.amdhsa_fp16_overflow 0
		.amdhsa_workgroup_processor_mode 1
		.amdhsa_memory_ordered 1
		.amdhsa_forward_progress 1
		.amdhsa_shared_vgpr_count 0
		.amdhsa_exception_fp_ieee_invalid_op 0
		.amdhsa_exception_fp_denorm_src 0
		.amdhsa_exception_fp_ieee_div_zero 0
		.amdhsa_exception_fp_ieee_overflow 0
		.amdhsa_exception_fp_ieee_underflow 0
		.amdhsa_exception_fp_ieee_inexact 0
		.amdhsa_exception_int_div_zero 0
	.end_amdhsa_kernel
	.section	.text._ZL15flash_attn_tileILi128ELi128ELi16ELi2ELb1EEvPKcS1_S1_S1_S1_PKiPfP15HIP_vector_typeIfLj2EEffffjfiS5_IjLj3EEiiiiiiiiiiiliiliiiiil,"axG",@progbits,_ZL15flash_attn_tileILi128ELi128ELi16ELi2ELb1EEvPKcS1_S1_S1_S1_PKiPfP15HIP_vector_typeIfLj2EEffffjfiS5_IjLj3EEiiiiiiiiiiiliiliiiiil,comdat
.Lfunc_end81:
	.size	_ZL15flash_attn_tileILi128ELi128ELi16ELi2ELb1EEvPKcS1_S1_S1_S1_PKiPfP15HIP_vector_typeIfLj2EEffffjfiS5_IjLj3EEiiiiiiiiiiiliiliiiiil, .Lfunc_end81-_ZL15flash_attn_tileILi128ELi128ELi16ELi2ELb1EEvPKcS1_S1_S1_S1_PKiPfP15HIP_vector_typeIfLj2EEffffjfiS5_IjLj3EEiiiiiiiiiiiliiliiiiil
                                        ; -- End function
	.set _ZL15flash_attn_tileILi128ELi128ELi16ELi2ELb1EEvPKcS1_S1_S1_S1_PKiPfP15HIP_vector_typeIfLj2EEffffjfiS5_IjLj3EEiiiiiiiiiiiliiliiiiil.num_vgpr, 207
	.set _ZL15flash_attn_tileILi128ELi128ELi16ELi2ELb1EEvPKcS1_S1_S1_S1_PKiPfP15HIP_vector_typeIfLj2EEffffjfiS5_IjLj3EEiiiiiiiiiiiliiliiiiil.num_agpr, 0
	.set _ZL15flash_attn_tileILi128ELi128ELi16ELi2ELb1EEvPKcS1_S1_S1_S1_PKiPfP15HIP_vector_typeIfLj2EEffffjfiS5_IjLj3EEiiiiiiiiiiiliiliiiiil.numbered_sgpr, 43
	.set _ZL15flash_attn_tileILi128ELi128ELi16ELi2ELb1EEvPKcS1_S1_S1_S1_PKiPfP15HIP_vector_typeIfLj2EEffffjfiS5_IjLj3EEiiiiiiiiiiiliiliiiiil.num_named_barrier, 0
	.set _ZL15flash_attn_tileILi128ELi128ELi16ELi2ELb1EEvPKcS1_S1_S1_S1_PKiPfP15HIP_vector_typeIfLj2EEffffjfiS5_IjLj3EEiiiiiiiiiiiliiliiiiil.private_seg_size, 0
	.set _ZL15flash_attn_tileILi128ELi128ELi16ELi2ELb1EEvPKcS1_S1_S1_S1_PKiPfP15HIP_vector_typeIfLj2EEffffjfiS5_IjLj3EEiiiiiiiiiiiliiliiiiil.uses_vcc, 1
	.set _ZL15flash_attn_tileILi128ELi128ELi16ELi2ELb1EEvPKcS1_S1_S1_S1_PKiPfP15HIP_vector_typeIfLj2EEffffjfiS5_IjLj3EEiiiiiiiiiiiliiliiiiil.uses_flat_scratch, 0
	.set _ZL15flash_attn_tileILi128ELi128ELi16ELi2ELb1EEvPKcS1_S1_S1_S1_PKiPfP15HIP_vector_typeIfLj2EEffffjfiS5_IjLj3EEiiiiiiiiiiiliiliiiiil.has_dyn_sized_stack, 0
	.set _ZL15flash_attn_tileILi128ELi128ELi16ELi2ELb1EEvPKcS1_S1_S1_S1_PKiPfP15HIP_vector_typeIfLj2EEffffjfiS5_IjLj3EEiiiiiiiiiiiliiliiiiil.has_recursion, 0
	.set _ZL15flash_attn_tileILi128ELi128ELi16ELi2ELb1EEvPKcS1_S1_S1_S1_PKiPfP15HIP_vector_typeIfLj2EEffffjfiS5_IjLj3EEiiiiiiiiiiiliiliiiiil.has_indirect_call, 0
	.section	.AMDGPU.csdata,"",@progbits
; Kernel info:
; codeLenInByte = 47760
; TotalNumSgprs: 45
; NumVgprs: 207
; ScratchSize: 0
; MemoryBound: 0
; FloatMode: 240
; IeeeMode: 1
; LDSByteSize: 34816 bytes/workgroup (compile time only)
; SGPRBlocks: 0
; VGPRBlocks: 25
; NumSGPRsForWavesPerEU: 45
; NumVGPRsForWavesPerEU: 207
; Occupancy: 4
; WaveLimiterHint : 1
; COMPUTE_PGM_RSRC2:SCRATCH_EN: 0
; COMPUTE_PGM_RSRC2:USER_SGPR: 6
; COMPUTE_PGM_RSRC2:TRAP_HANDLER: 0
; COMPUTE_PGM_RSRC2:TGID_X_EN: 1
; COMPUTE_PGM_RSRC2:TGID_Y_EN: 1
; COMPUTE_PGM_RSRC2:TGID_Z_EN: 1
; COMPUTE_PGM_RSRC2:TIDIG_COMP_CNT: 1
	.section	.text._ZL15flash_attn_tileILi128ELi128ELi8ELi2ELb1EEvPKcS1_S1_S1_S1_PKiPfP15HIP_vector_typeIfLj2EEffffjfiS5_IjLj3EEiiiiiiiiiiiliiliiiiil,"axG",@progbits,_ZL15flash_attn_tileILi128ELi128ELi8ELi2ELb1EEvPKcS1_S1_S1_S1_PKiPfP15HIP_vector_typeIfLj2EEffffjfiS5_IjLj3EEiiiiiiiiiiiliiliiiiil,comdat
	.globl	_ZL15flash_attn_tileILi128ELi128ELi8ELi2ELb1EEvPKcS1_S1_S1_S1_PKiPfP15HIP_vector_typeIfLj2EEffffjfiS5_IjLj3EEiiiiiiiiiiiliiliiiiil ; -- Begin function _ZL15flash_attn_tileILi128ELi128ELi8ELi2ELb1EEvPKcS1_S1_S1_S1_PKiPfP15HIP_vector_typeIfLj2EEffffjfiS5_IjLj3EEiiiiiiiiiiiliiliiiiil
	.p2align	8
	.type	_ZL15flash_attn_tileILi128ELi128ELi8ELi2ELb1EEvPKcS1_S1_S1_S1_PKiPfP15HIP_vector_typeIfLj2EEffffjfiS5_IjLj3EEiiiiiiiiiiiliiliiiiil,@function
_ZL15flash_attn_tileILi128ELi128ELi8ELi2ELb1EEvPKcS1_S1_S1_S1_PKiPfP15HIP_vector_typeIfLj2EEffffjfiS5_IjLj3EEiiiiiiiiiiiliiliiiiil: ; @_ZL15flash_attn_tileILi128ELi128ELi8ELi2ELb1EEvPKcS1_S1_S1_S1_PKiPfP15HIP_vector_typeIfLj2EEffffjfiS5_IjLj3EEiiiiiiiiiiiliiliiiiil
; %bb.0:
	s_clause 0x1
	s_load_dwordx4 s[0:3], s[4:5], 0x5c
	s_load_dwordx2 s[34:35], s[4:5], 0x80
	s_mov_b32 s28, s7
	s_mov_b64 s[36:37], 0
	s_waitcnt lgkmcnt(0)
	s_lshr_b32 s7, s3, 31
	s_add_i32 s7, s3, s7
	s_ashr_i32 s7, s7, 1
	v_cvt_f32_u32_e32 v2, s7
	s_sub_i32 s10, 0, s7
	v_rcp_iflag_f32_e32 v2, v2
	v_mul_f32_e32 v2, 0x4f7ffffe, v2
	v_cvt_u32_f32_e32 v2, v2
	v_readfirstlane_b32 s9, v2
	s_mul_i32 s10, s10, s9
	s_mul_hi_u32 s10, s9, s10
	s_add_i32 s9, s9, s10
	s_mul_hi_u32 s9, s8, s9
	s_mul_i32 s10, s9, s7
	s_add_i32 s11, s9, 1
	s_sub_i32 s10, s8, s10
	s_sub_i32 s12, s10, s7
	s_cmp_ge_u32 s10, s7
	s_cselect_b32 s9, s11, s9
	s_cselect_b32 s10, s12, s10
	s_add_i32 s11, s9, 1
	s_cmp_ge_u32 s10, s7
	s_cselect_b32 s7, s11, s9
	s_abs_i32 s9, s35
	s_lshl_b32 s8, s8, 1
	v_cvt_f32_u32_e32 v2, s9
	s_sub_i32 s11, 0, s9
	s_mul_i32 s12, s7, s3
	s_abs_i32 s13, s3
	s_sub_i32 s30, s8, s12
	v_rcp_iflag_f32_e32 v2, v2
	v_mul_f32_e32 v2, 0x4f7ffffe, v2
	v_cvt_u32_f32_e32 v2, v2
	v_readfirstlane_b32 s10, v2
	s_mul_i32 s11, s11, s10
	s_mul_hi_u32 s11, s10, s11
	s_add_i32 s10, s10, s11
	s_mul_hi_u32 s8, s13, s10
	s_xor_b32 s10, s3, s35
	s_mul_i32 s11, s8, s9
	s_ashr_i32 s10, s10, 31
	s_sub_i32 s11, s13, s11
	s_add_i32 s12, s8, 1
	s_sub_i32 s13, s11, s9
	s_cmp_ge_u32 s11, s9
	s_cselect_b32 s8, s12, s8
	s_cselect_b32 s11, s13, s11
	s_add_i32 s12, s8, 1
	s_cmp_ge_u32 s11, s9
	s_cselect_b32 s8, s12, s8
	s_xor_b32 s8, s8, s10
	s_sub_i32 s31, s8, s10
	s_clause 0x1
	s_load_dwordx16 s[8:23], s[4:5], 0x0
	s_load_dwordx2 s[38:39], s[4:5], 0xb8
	s_abs_i32 s29, s31
	v_cvt_f32_u32_e32 v2, s29
	v_rcp_iflag_f32_e32 v2, v2
	v_mul_f32_e32 v2, 0x4f7ffffe, v2
	s_waitcnt lgkmcnt(0)
	s_cmp_eq_u64 s[14:15], 0
	v_cvt_u32_f32_e32 v2, v2
	v_readfirstlane_b32 s33, v2
	s_cbranch_scc1 .LBB82_2
; %bb.1:
	s_abs_i32 s26, s38
	s_abs_i32 s27, s7
	v_cvt_f32_u32_e32 v2, s26
	s_sub_i32 s25, 0, s26
	v_rcp_iflag_f32_e32 v2, v2
	v_mul_f32_e32 v2, 0x4f7ffffe, v2
	v_cvt_u32_f32_e32 v2, v2
	v_readfirstlane_b32 s24, v2
	s_mul_i32 s25, s25, s24
	s_mul_hi_u32 s25, s24, s25
	s_add_i32 s24, s24, s25
	s_mul_hi_u32 s35, s27, s24
	s_load_dwordx2 s[24:25], s[4:5], 0xc8
	s_mul_i32 s35, s35, s26
	s_sub_i32 s27, s27, s35
	s_ashr_i32 s35, s7, 31
	s_sub_i32 s36, s27, s26
	s_cmp_ge_u32 s27, s26
	s_cselect_b32 s27, s36, s27
	s_sub_i32 s36, s27, s26
	s_cmp_ge_u32 s27, s26
	s_cselect_b32 s26, s36, s27
	s_xor_b32 s26, s26, s35
	s_sub_i32 s26, s26, s35
	s_ashr_i32 s27, s26, 31
	s_waitcnt lgkmcnt(0)
	s_mul_hi_u32 s35, s24, s26
	s_mul_i32 s27, s24, s27
	s_mul_i32 s25, s25, s26
	s_add_i32 s27, s35, s27
	s_mul_i32 s24, s24, s26
	s_add_i32 s27, s27, s25
	s_add_u32 s36, s14, s24
	s_addc_u32 s37, s15, s27
.LBB82_2:
	v_lshl_add_u32 v33, s6, 3, v1
	s_load_dwordx4 s[24:27], s[4:5], 0x70
	v_lshlrev_b32_e32 v70, 3, v0
	v_mul_hi_u32 v2, s0, v33
	v_add_nc_u32_e32 v2, v33, v2
	v_lshrrev_b32_e32 v2, s1, v2
	s_waitcnt lgkmcnt(0)
	s_mul_i32 s1, s7, s26
	s_mul_i32 s14, s30, s25
	v_mul_lo_u32 v2, v2, s2
	s_ashr_i32 s15, s1, 31
	s_add_u32 s1, s8, s1
	s_addc_u32 s8, s9, s15
	s_ashr_i32 s9, s14, 31
	s_add_u32 s14, s1, s14
	s_mov_b32 s0, s24
	s_addc_u32 s15, s8, s9
	v_sub_nc_u32_e32 v2, v33, v2
	s_ashr_i32 s1, s24, 31
	s_lshr_b64 s[8:9], s[0:1], 2
	s_lshr_b32 s0, s1, 2
	v_mad_u64_u32 v[3:4], null, s8, v2, 0
	s_and_b32 s1, s25, -4
	v_mad_u64_u32 v[4:5], null, s0, v2, v[4:5]
	v_lshlrev_b32_e32 v5, 4, v0
	s_ashr_i32 s0, s25, 31
	s_cmp_eq_u64 s[18:19], 0
	v_lshlrev_b64 v[3:4], 2, v[3:4]
	v_add_co_u32 v3, vcc_lo, s14, v3
	v_add_co_ci_u32_e64 v4, null, s15, v4, vcc_lo
	v_add_co_u32 v8, vcc_lo, v3, v5
	v_add_co_ci_u32_e64 v9, null, 0, v4, vcc_lo
	v_lshlrev_b32_e32 v3, 9, v1
	global_load_dwordx4 v[4:7], v[8:9], off
	v_add_co_u32 v8, vcc_lo, v8, s1
	v_add_co_ci_u32_e64 v9, null, s0, v9, vcc_lo
	s_load_dword s0, s[4:5], 0x40
	v_add_nc_u32_e32 v71, 0x9800, v3
	global_load_dwordx4 v[8:11], v[8:9], off
	s_waitcnt vmcnt(1) lgkmcnt(0)
	v_fma_mixlo_f16 v5, s0, v5, 0
	v_fma_mixlo_f16 v4, s0, v4, 0
	;; [unrolled: 1-line block ×4, first 2 shown]
	v_lshlrev_b32_e32 v5, 16, v5
	v_and_b32_e32 v4, 0xffff, v4
	v_and_b32_e32 v6, 0xffff, v6
	s_waitcnt vmcnt(0)
	v_fma_mixlo_f16 v9, s0, v9, 0
	v_fma_mixlo_f16 v8, s0, v8, 0
	;; [unrolled: 1-line block ×4, first 2 shown]
	v_lshlrev_b32_e32 v7, 16, v7
	v_lshlrev_b32_e32 v9, 16, v9
	v_and_b32_e32 v8, 0xffff, v8
	v_or_b32_e32 v4, v5, v4
	v_lshlrev_b32_e32 v11, 16, v11
	v_and_b32_e32 v10, 0xffff, v10
	v_or3_b32 v5, v7, v6, 0
	v_or_b32_e32 v8, v9, v8
	v_add_nc_u32_e32 v9, v71, v70
	v_or3_b32 v4, 0, 0, v4
	v_or3_b32 v7, v11, v10, 0
	;; [unrolled: 1-line block ×3, first 2 shown]
	ds_write2_b64 v9, v[4:5], v[6:7] offset1:32
	s_waitcnt lgkmcnt(0)
	s_barrier
	buffer_gl0_inv
	s_cbranch_scc1 .LBB82_4
; %bb.3:
	s_load_dword s0, s[4:5], 0xd0
	s_mov_b32 s1, 0
	s_waitcnt lgkmcnt(0)
	s_mul_i32 s0, s0, s7
	s_add_i32 s0, s0, s6
	s_lshl_b64 s[0:1], s[0:1], 2
	s_add_u32 s0, s18, s0
	s_addc_u32 s1, s19, s1
	s_load_dword s34, s[0:1], 0x0
.LBB82_4:
	v_mbcnt_lo_u32_b32 v72, -1, 0
	s_lshl_b32 s6, s28, 7
	s_waitcnt lgkmcnt(0)
	s_cmp_lt_i32 s6, s34
	s_cbranch_scc1 .LBB82_7
; %bb.5:
	v_mbcnt_lo_u32_b32 v4, -1, 0
	v_mov_b32_e32 v73, 32
	v_xor_b32_e32 v106, 16, v4
	v_xor_b32_e32 v102, 8, v4
	v_xor_b32_e32 v103, 4, v4
	v_xor_b32_e32 v104, 2, v4
	v_xor_b32_e32 v105, 1, v4
	v_lshlrev_b32_e32 v69, 2, v0
	s_cbranch_execz .LBB82_8
; %bb.6:
	v_mov_b32_e32 v97, 0
	v_mov_b32_e32 v2, 0
	;; [unrolled: 1-line block ×8, first 2 shown]
	s_branch .LBB82_44
.LBB82_7:
                                        ; implicit-def: $vgpr4
                                        ; implicit-def: $vgpr73
                                        ; implicit-def: $vgpr106
                                        ; implicit-def: $vgpr102
                                        ; implicit-def: $vgpr103
                                        ; implicit-def: $vgpr104
                                        ; implicit-def: $vgpr105
	v_lshlrev_b32_e32 v69, 2, v0
.LBB82_8:
	s_clause 0x1
	s_load_dwordx4 s[24:27], s[4:5], 0x98
	s_load_dwordx2 s[0:1], s[4:5], 0x8c
	s_sub_i32 s8, 0, s29
	s_ashr_i32 s38, s7, 31
	s_mul_i32 s8, s8, s33
	s_abs_i32 s18, s30
	s_mul_hi_u32 s8, s33, s8
	s_ashr_i32 s19, s30, 31
	s_add_i32 s33, s33, s8
	s_ashr_i32 s31, s31, 31
	s_mul_hi_u32 s33, s18, s33
	s_ashr_i32 s35, s39, 1
	s_load_dwordx2 s[14:15], s[4:5], 0xa8
	s_mul_i32 s39, s33, s29
	v_lshrrev_b32_e32 v4, 4, v0
	v_and_b32_e32 v32, 60, v69
	v_mov_b32_e32 v98, 0
	v_mul_u32_u24_e32 v75, 0x110, v0
	v_add_nc_u32_e32 v84, 0x8800, v3
	v_lshl_add_u32 v5, v1, 1, v4
	s_waitcnt lgkmcnt(0)
	s_ashr_i32 s8, s26, 2
	s_ashr_i32 s9, s0, 2
	s_mul_hi_u32 s0, s24, s7
	s_mul_i32 s26, s24, s38
	s_mul_i32 s25, s25, s7
	s_add_i32 s0, s0, s26
	s_mul_i32 s24, s24, s7
	s_add_i32 s0, s0, s25
	s_add_u32 s10, s10, s24
	s_addc_u32 s0, s11, s0
	s_sub_i32 s18, s18, s39
	s_xor_b32 s11, s19, s31
	s_add_i32 s19, s33, 1
	s_sub_i32 s24, s18, s29
	s_cmp_ge_u32 s18, s29
	s_mul_i32 s15, s15, s7
	s_cselect_b32 s19, s19, s33
	s_cselect_b32 s18, s24, s18
	s_add_i32 s24, s19, 1
	s_cmp_ge_u32 s18, s29
	v_mul_lo_u32 v4, s9, v5
	s_cselect_b32 s18, s24, s19
	s_mul_hi_u32 s19, s14, s7
	s_xor_b32 s18, s18, s11
	s_mul_i32 s24, s14, s38
	s_sub_i32 s18, s18, s11
	v_mul_lo_u32 v1, s8, v5
	s_mul_i32 s1, s18, s1
	s_mul_i32 s14, s14, s7
	s_ashr_i32 s11, s1, 31
	s_add_u32 s10, s10, s1
	s_addc_u32 s11, s0, s11
	s_add_i32 s0, s19, s24
	s_mul_i32 s18, s18, s27
	s_add_i32 s0, s0, s15
	s_add_u32 s1, s12, s14
	s_addc_u32 s0, s13, s0
	s_ashr_i32 s13, s18, 31
	s_add_u32 s12, s1, s18
	s_addc_u32 s13, s0, s13
	s_lshl_b32 s0, s9, 4
	s_lshl_b32 s1, s8, 4
	v_add_nc_u32_e32 v6, s0, v4
	v_add_nc_u32_e32 v14, s1, v1
	s_load_dword s14, s[4:5], 0x54
	v_lshlrev_b32_e32 v7, 2, v32
	v_mad_u64_u32 v[34:35], null, v2, s35, v[0:1]
	v_add_nc_u32_e32 v8, s0, v6
	v_add_nc_u32_e32 v18, s1, v14
	v_mad_u32_u24 v74, 0x110, v5, v7
	v_lshl_or_b32 v76, v5, 8, v7
	v_ashrrev_i32_e32 v5, 31, v4
	v_add_nc_u32_e32 v10, s0, v8
	v_add_nc_u32_e32 v22, s1, v18
	v_ashrrev_i32_e32 v7, 31, v6
	v_ashrrev_i32_e32 v9, 31, v8
	v_ashrrev_i32_e32 v2, 31, v1
	v_add_nc_u32_e32 v12, s0, v10
	v_add_nc_u32_e32 v26, s1, v22
	v_ashrrev_i32_e32 v11, 31, v10
	v_ashrrev_i32_e32 v15, 31, v14
	v_ashrrev_i32_e32 v19, 31, v18
	v_add_nc_u32_e32 v16, s0, v12
	v_add_nc_u32_e32 v28, s1, v26
	v_ashrrev_i32_e32 v13, 31, v12
	v_ashrrev_i32_e32 v23, 31, v22
	v_ashrrev_i32_e32 v27, 31, v26
	v_add_nc_u32_e32 v20, s0, v16
	v_add_nc_u32_e32 v30, s1, v28
	v_ashrrev_i32_e32 v17, 31, v16
	v_ashrrev_i32_e32 v29, 31, v28
	v_lshlrev_b64 v[35:36], 2, v[4:5]
	v_add_nc_u32_e32 v24, s0, v20
	v_add_nc_u32_e32 v65, s1, v30
	v_ashrrev_i32_e32 v21, 31, v20
	v_ashrrev_i32_e32 v31, 31, v30
	v_lshlrev_b64 v[37:38], 2, v[6:7]
	v_ashrrev_i32_e32 v25, 31, v24
	v_ashrrev_i32_e32 v66, 31, v65
	v_lshlrev_b64 v[39:40], 2, v[8:9]
	v_lshlrev_b64 v[41:42], 2, v[10:11]
	;; [unrolled: 1-line block ×14, first 2 shown]
	v_add_nc_u32_e32 v77, 0x1100, v74
	v_add_nc_u32_e32 v78, 0x2200, v74
	;; [unrolled: 1-line block ×14, first 2 shown]
	v_mov_b32_e32 v101, 0xfeffffff
	v_lshlrev_b32_e32 v92, 2, v32
	v_mov_b32_e32 v73, 32
	v_mov_b32_e32 v93, 0x10001
	;; [unrolled: 1-line block ×8, first 2 shown]
	s_add_u32 s0, s4, 0xd0
	s_addc_u32 s1, s5, 0
	s_mov_b32 s15, 0xbbbac73d
.LBB82_9:                               ; =>This Inner Loop Header: Depth=1
	s_mul_hi_i32 s19, s6, s9
	s_mul_i32 s18, s6, s9
	v_mov_b32_e32 v67, 0
	s_lshl_b64 s[18:19], s[18:19], 2
	v_mov_b32_e32 v68, 0
	s_add_u32 s18, s10, s18
	s_addc_u32 s19, s11, s19
	v_add_co_u32 v1, vcc_lo, s18, v35
	v_add_co_ci_u32_e64 v2, null, s19, v36, vcc_lo
	v_add_co_u32 v3, vcc_lo, s18, v37
	v_add_co_ci_u32_e64 v4, null, s19, v38, vcc_lo
	;; [unrolled: 2-line block ×16, first 2 shown]
	s_clause 0x7
	global_load_dwordx4 v[1:4], v[1:2], off
	global_load_dwordx4 v[5:8], v[5:6], off
	;; [unrolled: 1-line block ×8, first 2 shown]
	v_mov_b32_e32 v107, 0
	v_mov_b32_e32 v108, 0
	s_waitcnt vmcnt(7)
	ds_write_b128 v74, v[1:4]
	s_waitcnt vmcnt(6)
	ds_write_b128 v77, v[5:8]
	s_waitcnt vmcnt(5)
	ds_write_b128 v78, v[9:12]
	s_waitcnt vmcnt(4)
	ds_write_b128 v79, v[13:16]
	s_waitcnt vmcnt(3)
	ds_write_b128 v80, v[17:20]
	s_waitcnt vmcnt(2)
	ds_write_b128 v81, v[21:24]
	s_waitcnt vmcnt(1)
	ds_write_b128 v82, v[25:28]
	s_waitcnt vmcnt(0)
	ds_write_b128 v83, v[29:32]
	s_waitcnt lgkmcnt(0)
	s_barrier
	buffer_gl0_inv
	ds_read_b128 v[7:10], v75
	ds_read_b128 v[11:14], v71
	ds_read_b128 v[15:18], v71 offset:256
	ds_read_b128 v[19:22], v75 offset:8704
	v_mov_b32_e32 v3, 0
	ds_read_b128 v[23:26], v75 offset:17408
	ds_read_b128 v[27:30], v75 offset:26112
	s_waitcnt lgkmcnt(4)
	;;#ASMSTART
	v_dot2_f32_f16 v3, v7, v11, v3
	;;#ASMEND
	;;#ASMSTART
	v_dot2_f32_f16 v3, v8, v12, v3
	;;#ASMEND
	;; [unrolled: 3-line block ×4, first 2 shown]
	s_waitcnt lgkmcnt(3)
	;;#ASMSTART
	v_dot2_f32_f16 v67, v7, v15, v67
	;;#ASMEND
	;;#ASMSTART
	v_dot2_f32_f16 v67, v8, v16, v67
	;;#ASMEND
	v_mov_b32_e32 v4, 0
	;;#ASMSTART
	v_dot2_f32_f16 v67, v9, v17, v67
	;;#ASMEND
	;;#ASMSTART
	v_dot2_f32_f16 v67, v10, v18, v67
	;;#ASMEND
	s_waitcnt lgkmcnt(2)
	;;#ASMSTART
	v_dot2_f32_f16 v4, v19, v11, v4
	;;#ASMEND
	;;#ASMSTART
	v_dot2_f32_f16 v4, v20, v12, v4
	;;#ASMEND
	;;#ASMSTART
	v_dot2_f32_f16 v4, v21, v13, v4
	;;#ASMEND
	;;#ASMSTART
	v_dot2_f32_f16 v4, v22, v14, v4
	;;#ASMEND
	;;#ASMSTART
	v_dot2_f32_f16 v68, v19, v15, v68
	;;#ASMEND
	;;#ASMSTART
	v_dot2_f32_f16 v68, v20, v16, v68
	;;#ASMEND
	v_mov_b32_e32 v5, 0
	;;#ASMSTART
	v_dot2_f32_f16 v68, v21, v17, v68
	;;#ASMEND
	;;#ASMSTART
	v_dot2_f32_f16 v68, v22, v18, v68
	;;#ASMEND
	s_waitcnt lgkmcnt(1)
	;;#ASMSTART
	v_dot2_f32_f16 v5, v23, v11, v5
	;;#ASMEND
	;;#ASMSTART
	v_dot2_f32_f16 v5, v24, v12, v5
	;;#ASMEND
	;;#ASMSTART
	v_dot2_f32_f16 v5, v25, v13, v5
	;;#ASMEND
	;;#ASMSTART
	v_dot2_f32_f16 v5, v26, v14, v5
	;;#ASMEND
	;; [unrolled: 26-line block ×3, first 2 shown]
	;;#ASMSTART
	v_dot2_f32_f16 v108, v27, v15, v108
	;;#ASMEND
	;;#ASMSTART
	v_dot2_f32_f16 v108, v28, v16, v108
	;;#ASMEND
	;; [unrolled: 3-line block ×4, first 2 shown]
	ds_read_b128 v[7:10], v75 offset:16
	ds_read_b128 v[11:14], v71 offset:16
	;; [unrolled: 1-line block ×6, first 2 shown]
	s_waitcnt lgkmcnt(4)
	;;#ASMSTART
	v_dot2_f32_f16 v3, v7, v11, v3
	;;#ASMEND
	;;#ASMSTART
	v_dot2_f32_f16 v3, v8, v12, v3
	;;#ASMEND
	;;#ASMSTART
	v_dot2_f32_f16 v3, v9, v13, v3
	;;#ASMEND
	;;#ASMSTART
	v_dot2_f32_f16 v3, v10, v14, v3
	;;#ASMEND
	s_waitcnt lgkmcnt(3)
	;;#ASMSTART
	v_dot2_f32_f16 v67, v7, v15, v67
	;;#ASMEND
	;;#ASMSTART
	v_dot2_f32_f16 v67, v8, v16, v67
	;;#ASMEND
	;;#ASMSTART
	v_dot2_f32_f16 v67, v9, v17, v67
	;;#ASMEND
	;;#ASMSTART
	v_dot2_f32_f16 v67, v10, v18, v67
	;;#ASMEND
	;; [unrolled: 13-line block ×3, first 2 shown]
	;;#ASMSTART
	v_dot2_f32_f16 v68, v19, v15, v68
	;;#ASMEND
	;;#ASMSTART
	v_dot2_f32_f16 v68, v20, v16, v68
	;;#ASMEND
	;; [unrolled: 3-line block ×4, first 2 shown]
	s_waitcnt lgkmcnt(1)
	;;#ASMSTART
	v_dot2_f32_f16 v5, v23, v11, v5
	;;#ASMEND
	;;#ASMSTART
	v_dot2_f32_f16 v5, v24, v12, v5
	;;#ASMEND
	;; [unrolled: 3-line block ×8, first 2 shown]
	s_waitcnt lgkmcnt(0)
	;;#ASMSTART
	v_dot2_f32_f16 v6, v27, v11, v6
	;;#ASMEND
	;;#ASMSTART
	v_dot2_f32_f16 v6, v28, v12, v6
	;;#ASMEND
	;; [unrolled: 3-line block ×8, first 2 shown]
	ds_read_b128 v[7:10], v75 offset:32
	ds_read_b128 v[11:14], v71 offset:32
	;; [unrolled: 1-line block ×6, first 2 shown]
	s_waitcnt lgkmcnt(4)
	;;#ASMSTART
	v_dot2_f32_f16 v3, v7, v11, v3
	;;#ASMEND
	;;#ASMSTART
	v_dot2_f32_f16 v3, v8, v12, v3
	;;#ASMEND
	;;#ASMSTART
	v_dot2_f32_f16 v3, v9, v13, v3
	;;#ASMEND
	;;#ASMSTART
	v_dot2_f32_f16 v3, v10, v14, v3
	;;#ASMEND
	s_waitcnt lgkmcnt(3)
	;;#ASMSTART
	v_dot2_f32_f16 v67, v7, v15, v67
	;;#ASMEND
	;;#ASMSTART
	v_dot2_f32_f16 v67, v8, v16, v67
	;;#ASMEND
	;;#ASMSTART
	v_dot2_f32_f16 v67, v9, v17, v67
	;;#ASMEND
	;;#ASMSTART
	v_dot2_f32_f16 v67, v10, v18, v67
	;;#ASMEND
	;; [unrolled: 13-line block ×3, first 2 shown]
	;;#ASMSTART
	v_dot2_f32_f16 v68, v19, v15, v68
	;;#ASMEND
	;;#ASMSTART
	v_dot2_f32_f16 v68, v20, v16, v68
	;;#ASMEND
	;; [unrolled: 3-line block ×4, first 2 shown]
	s_waitcnt lgkmcnt(1)
	;;#ASMSTART
	v_dot2_f32_f16 v5, v23, v11, v5
	;;#ASMEND
	;;#ASMSTART
	v_dot2_f32_f16 v5, v24, v12, v5
	;;#ASMEND
	;; [unrolled: 3-line block ×8, first 2 shown]
	s_waitcnt lgkmcnt(0)
	;;#ASMSTART
	v_dot2_f32_f16 v6, v27, v11, v6
	;;#ASMEND
	;;#ASMSTART
	v_dot2_f32_f16 v6, v28, v12, v6
	;;#ASMEND
	;; [unrolled: 3-line block ×8, first 2 shown]
	ds_read_b128 v[7:10], v75 offset:48
	ds_read_b128 v[11:14], v71 offset:48
	;; [unrolled: 1-line block ×6, first 2 shown]
	s_waitcnt lgkmcnt(4)
	;;#ASMSTART
	v_dot2_f32_f16 v3, v7, v11, v3
	;;#ASMEND
	;;#ASMSTART
	v_dot2_f32_f16 v3, v8, v12, v3
	;;#ASMEND
	;;#ASMSTART
	v_dot2_f32_f16 v3, v9, v13, v3
	;;#ASMEND
	;;#ASMSTART
	v_dot2_f32_f16 v3, v10, v14, v3
	;;#ASMEND
	s_waitcnt lgkmcnt(3)
	;;#ASMSTART
	v_dot2_f32_f16 v67, v7, v15, v67
	;;#ASMEND
	;;#ASMSTART
	v_dot2_f32_f16 v67, v8, v16, v67
	;;#ASMEND
	;;#ASMSTART
	v_dot2_f32_f16 v67, v9, v17, v67
	;;#ASMEND
	;;#ASMSTART
	v_dot2_f32_f16 v67, v10, v18, v67
	;;#ASMEND
	;; [unrolled: 13-line block ×3, first 2 shown]
	;;#ASMSTART
	v_dot2_f32_f16 v68, v19, v15, v68
	;;#ASMEND
	;;#ASMSTART
	v_dot2_f32_f16 v68, v20, v16, v68
	;;#ASMEND
	;; [unrolled: 3-line block ×4, first 2 shown]
	s_waitcnt lgkmcnt(1)
	;;#ASMSTART
	v_dot2_f32_f16 v5, v23, v11, v5
	;;#ASMEND
	;;#ASMSTART
	v_dot2_f32_f16 v5, v24, v12, v5
	;;#ASMEND
	;; [unrolled: 3-line block ×8, first 2 shown]
	s_waitcnt lgkmcnt(0)
	;;#ASMSTART
	v_dot2_f32_f16 v6, v27, v11, v6
	;;#ASMEND
	;;#ASMSTART
	v_dot2_f32_f16 v6, v28, v12, v6
	;;#ASMEND
	;; [unrolled: 3-line block ×8, first 2 shown]
	ds_read_b128 v[7:10], v75 offset:64
	ds_read_b128 v[11:14], v71 offset:64
	;; [unrolled: 1-line block ×6, first 2 shown]
	s_waitcnt lgkmcnt(4)
	;;#ASMSTART
	v_dot2_f32_f16 v3, v7, v11, v3
	;;#ASMEND
	;;#ASMSTART
	v_dot2_f32_f16 v3, v8, v12, v3
	;;#ASMEND
	;;#ASMSTART
	v_dot2_f32_f16 v3, v9, v13, v3
	;;#ASMEND
	;;#ASMSTART
	v_dot2_f32_f16 v3, v10, v14, v3
	;;#ASMEND
	s_waitcnt lgkmcnt(3)
	;;#ASMSTART
	v_dot2_f32_f16 v67, v7, v15, v67
	;;#ASMEND
	;;#ASMSTART
	v_dot2_f32_f16 v67, v8, v16, v67
	;;#ASMEND
	;;#ASMSTART
	v_dot2_f32_f16 v67, v9, v17, v67
	;;#ASMEND
	;;#ASMSTART
	v_dot2_f32_f16 v67, v10, v18, v67
	;;#ASMEND
	;; [unrolled: 13-line block ×3, first 2 shown]
	;;#ASMSTART
	v_dot2_f32_f16 v68, v19, v15, v68
	;;#ASMEND
	;;#ASMSTART
	v_dot2_f32_f16 v68, v20, v16, v68
	;;#ASMEND
	;;#ASMSTART
	v_dot2_f32_f16 v68, v21, v17, v68
	;;#ASMEND
	;;#ASMSTART
	v_dot2_f32_f16 v68, v22, v18, v68
	;;#ASMEND
	s_waitcnt lgkmcnt(1)
	;;#ASMSTART
	v_dot2_f32_f16 v5, v23, v11, v5
	;;#ASMEND
	;;#ASMSTART
	v_dot2_f32_f16 v5, v24, v12, v5
	;;#ASMEND
	;; [unrolled: 3-line block ×8, first 2 shown]
	s_waitcnt lgkmcnt(0)
	;;#ASMSTART
	v_dot2_f32_f16 v6, v27, v11, v6
	;;#ASMEND
	;;#ASMSTART
	v_dot2_f32_f16 v6, v28, v12, v6
	;;#ASMEND
	;; [unrolled: 3-line block ×8, first 2 shown]
	ds_read_b128 v[7:10], v75 offset:80
	ds_read_b128 v[11:14], v71 offset:80
	;; [unrolled: 1-line block ×6, first 2 shown]
	s_waitcnt lgkmcnt(4)
	;;#ASMSTART
	v_dot2_f32_f16 v3, v7, v11, v3
	;;#ASMEND
	;;#ASMSTART
	v_dot2_f32_f16 v3, v8, v12, v3
	;;#ASMEND
	;;#ASMSTART
	v_dot2_f32_f16 v3, v9, v13, v3
	;;#ASMEND
	;;#ASMSTART
	v_dot2_f32_f16 v3, v10, v14, v3
	;;#ASMEND
	s_waitcnt lgkmcnt(3)
	;;#ASMSTART
	v_dot2_f32_f16 v67, v7, v15, v67
	;;#ASMEND
	;;#ASMSTART
	v_dot2_f32_f16 v67, v8, v16, v67
	;;#ASMEND
	;;#ASMSTART
	v_dot2_f32_f16 v67, v9, v17, v67
	;;#ASMEND
	;;#ASMSTART
	v_dot2_f32_f16 v67, v10, v18, v67
	;;#ASMEND
	;; [unrolled: 13-line block ×3, first 2 shown]
	;;#ASMSTART
	v_dot2_f32_f16 v68, v19, v15, v68
	;;#ASMEND
	;;#ASMSTART
	v_dot2_f32_f16 v68, v20, v16, v68
	;;#ASMEND
	;; [unrolled: 3-line block ×4, first 2 shown]
	s_waitcnt lgkmcnt(1)
	;;#ASMSTART
	v_dot2_f32_f16 v5, v23, v11, v5
	;;#ASMEND
	;;#ASMSTART
	v_dot2_f32_f16 v5, v24, v12, v5
	;;#ASMEND
	;; [unrolled: 3-line block ×8, first 2 shown]
	s_waitcnt lgkmcnt(0)
	;;#ASMSTART
	v_dot2_f32_f16 v6, v27, v11, v6
	;;#ASMEND
	;;#ASMSTART
	v_dot2_f32_f16 v6, v28, v12, v6
	;;#ASMEND
	;; [unrolled: 3-line block ×8, first 2 shown]
	ds_read_b128 v[7:10], v75 offset:96
	ds_read_b128 v[11:14], v71 offset:96
	;; [unrolled: 1-line block ×6, first 2 shown]
	s_waitcnt lgkmcnt(4)
	;;#ASMSTART
	v_dot2_f32_f16 v3, v7, v11, v3
	;;#ASMEND
	;;#ASMSTART
	v_dot2_f32_f16 v3, v8, v12, v3
	;;#ASMEND
	;;#ASMSTART
	v_dot2_f32_f16 v3, v9, v13, v3
	;;#ASMEND
	;;#ASMSTART
	v_dot2_f32_f16 v3, v10, v14, v3
	;;#ASMEND
	s_waitcnt lgkmcnt(3)
	;;#ASMSTART
	v_dot2_f32_f16 v67, v7, v15, v67
	;;#ASMEND
	;;#ASMSTART
	v_dot2_f32_f16 v67, v8, v16, v67
	;;#ASMEND
	;;#ASMSTART
	v_dot2_f32_f16 v67, v9, v17, v67
	;;#ASMEND
	;;#ASMSTART
	v_dot2_f32_f16 v67, v10, v18, v67
	;;#ASMEND
	;; [unrolled: 13-line block ×3, first 2 shown]
	;;#ASMSTART
	v_dot2_f32_f16 v68, v19, v15, v68
	;;#ASMEND
	;;#ASMSTART
	v_dot2_f32_f16 v68, v20, v16, v68
	;;#ASMEND
	;; [unrolled: 3-line block ×4, first 2 shown]
	s_waitcnt lgkmcnt(1)
	;;#ASMSTART
	v_dot2_f32_f16 v5, v23, v11, v5
	;;#ASMEND
	;;#ASMSTART
	v_dot2_f32_f16 v5, v24, v12, v5
	;;#ASMEND
	;; [unrolled: 3-line block ×8, first 2 shown]
	s_waitcnt lgkmcnt(0)
	;;#ASMSTART
	v_dot2_f32_f16 v6, v27, v11, v6
	;;#ASMEND
	;;#ASMSTART
	v_dot2_f32_f16 v6, v28, v12, v6
	;;#ASMEND
	;;#ASMSTART
	v_dot2_f32_f16 v6, v29, v13, v6
	;;#ASMEND
	;;#ASMSTART
	v_dot2_f32_f16 v6, v30, v14, v6
	;;#ASMEND
	;;#ASMSTART
	v_dot2_f32_f16 v108, v27, v15, v108
	;;#ASMEND
	;;#ASMSTART
	v_dot2_f32_f16 v108, v28, v16, v108
	;;#ASMEND
	;;#ASMSTART
	v_dot2_f32_f16 v108, v29, v17, v108
	;;#ASMEND
	;;#ASMSTART
	v_dot2_f32_f16 v108, v30, v18, v108
	;;#ASMEND
	ds_read_b128 v[7:10], v75 offset:112
	ds_read_b128 v[11:14], v71 offset:112
	;; [unrolled: 1-line block ×6, first 2 shown]
	s_waitcnt lgkmcnt(4)
	;;#ASMSTART
	v_dot2_f32_f16 v3, v7, v11, v3
	;;#ASMEND
	;;#ASMSTART
	v_dot2_f32_f16 v3, v8, v12, v3
	;;#ASMEND
	;;#ASMSTART
	v_dot2_f32_f16 v3, v9, v13, v3
	;;#ASMEND
	;;#ASMSTART
	v_dot2_f32_f16 v3, v10, v14, v3
	;;#ASMEND
	s_waitcnt lgkmcnt(3)
	;;#ASMSTART
	v_dot2_f32_f16 v67, v7, v15, v67
	;;#ASMEND
	;;#ASMSTART
	v_dot2_f32_f16 v67, v8, v16, v67
	;;#ASMEND
	;;#ASMSTART
	v_dot2_f32_f16 v67, v9, v17, v67
	;;#ASMEND
	;;#ASMSTART
	v_dot2_f32_f16 v67, v10, v18, v67
	;;#ASMEND
	s_waitcnt lgkmcnt(2)
	;;#ASMSTART
	v_dot2_f32_f16 v4, v19, v11, v4
	;;#ASMEND
	;;#ASMSTART
	v_dot2_f32_f16 v4, v20, v12, v4
	;;#ASMEND
	;;#ASMSTART
	v_dot2_f32_f16 v4, v21, v13, v4
	;;#ASMEND
	;;#ASMSTART
	v_dot2_f32_f16 v4, v22, v14, v4
	;;#ASMEND
	;;#ASMSTART
	v_dot2_f32_f16 v68, v19, v15, v68
	;;#ASMEND
	;;#ASMSTART
	v_dot2_f32_f16 v68, v20, v16, v68
	;;#ASMEND
	;; [unrolled: 3-line block ×4, first 2 shown]
	s_waitcnt lgkmcnt(1)
	;;#ASMSTART
	v_dot2_f32_f16 v5, v23, v11, v5
	;;#ASMEND
	;;#ASMSTART
	v_dot2_f32_f16 v5, v24, v12, v5
	;;#ASMEND
	;; [unrolled: 3-line block ×8, first 2 shown]
	s_waitcnt lgkmcnt(0)
	;;#ASMSTART
	v_dot2_f32_f16 v6, v27, v11, v6
	;;#ASMEND
	;;#ASMSTART
	v_dot2_f32_f16 v6, v28, v12, v6
	;;#ASMEND
	;; [unrolled: 3-line block ×8, first 2 shown]
	ds_read_b128 v[7:10], v75 offset:128
	ds_read_b128 v[11:14], v71 offset:128
	;; [unrolled: 1-line block ×6, first 2 shown]
	s_waitcnt lgkmcnt(4)
	;;#ASMSTART
	v_dot2_f32_f16 v3, v7, v11, v3
	;;#ASMEND
	;;#ASMSTART
	v_dot2_f32_f16 v3, v8, v12, v3
	;;#ASMEND
	;;#ASMSTART
	v_dot2_f32_f16 v3, v9, v13, v3
	;;#ASMEND
	;;#ASMSTART
	v_dot2_f32_f16 v3, v10, v14, v3
	;;#ASMEND
	s_waitcnt lgkmcnt(3)
	;;#ASMSTART
	v_dot2_f32_f16 v67, v7, v15, v67
	;;#ASMEND
	;;#ASMSTART
	v_dot2_f32_f16 v67, v8, v16, v67
	;;#ASMEND
	;;#ASMSTART
	v_dot2_f32_f16 v67, v9, v17, v67
	;;#ASMEND
	;;#ASMSTART
	v_dot2_f32_f16 v67, v10, v18, v67
	;;#ASMEND
	s_waitcnt lgkmcnt(2)
	;;#ASMSTART
	v_dot2_f32_f16 v4, v19, v11, v4
	;;#ASMEND
	;;#ASMSTART
	v_dot2_f32_f16 v4, v20, v12, v4
	;;#ASMEND
	;;#ASMSTART
	v_dot2_f32_f16 v4, v21, v13, v4
	;;#ASMEND
	;;#ASMSTART
	v_dot2_f32_f16 v4, v22, v14, v4
	;;#ASMEND
	;;#ASMSTART
	v_dot2_f32_f16 v68, v19, v15, v68
	;;#ASMEND
	;;#ASMSTART
	v_dot2_f32_f16 v68, v20, v16, v68
	;;#ASMEND
	;; [unrolled: 3-line block ×4, first 2 shown]
	s_waitcnt lgkmcnt(1)
	;;#ASMSTART
	v_dot2_f32_f16 v5, v23, v11, v5
	;;#ASMEND
	;;#ASMSTART
	v_dot2_f32_f16 v5, v24, v12, v5
	;;#ASMEND
	;;#ASMSTART
	v_dot2_f32_f16 v5, v25, v13, v5
	;;#ASMEND
	;;#ASMSTART
	v_dot2_f32_f16 v5, v26, v14, v5
	;;#ASMEND
	;;#ASMSTART
	v_dot2_f32_f16 v107, v23, v15, v107
	;;#ASMEND
	;;#ASMSTART
	v_dot2_f32_f16 v107, v24, v16, v107
	;;#ASMEND
	;;#ASMSTART
	v_dot2_f32_f16 v107, v25, v17, v107
	;;#ASMEND
	;;#ASMSTART
	v_dot2_f32_f16 v107, v26, v18, v107
	;;#ASMEND
	s_waitcnt lgkmcnt(0)
	;;#ASMSTART
	v_dot2_f32_f16 v6, v27, v11, v6
	;;#ASMEND
	;;#ASMSTART
	v_dot2_f32_f16 v6, v28, v12, v6
	;;#ASMEND
	;; [unrolled: 3-line block ×8, first 2 shown]
	ds_read_b128 v[7:10], v75 offset:144
	ds_read_b128 v[11:14], v71 offset:144
	;; [unrolled: 1-line block ×6, first 2 shown]
	s_waitcnt lgkmcnt(4)
	;;#ASMSTART
	v_dot2_f32_f16 v3, v7, v11, v3
	;;#ASMEND
	;;#ASMSTART
	v_dot2_f32_f16 v3, v8, v12, v3
	;;#ASMEND
	;;#ASMSTART
	v_dot2_f32_f16 v3, v9, v13, v3
	;;#ASMEND
	;;#ASMSTART
	v_dot2_f32_f16 v3, v10, v14, v3
	;;#ASMEND
	s_waitcnt lgkmcnt(3)
	;;#ASMSTART
	v_dot2_f32_f16 v67, v7, v15, v67
	;;#ASMEND
	;;#ASMSTART
	v_dot2_f32_f16 v67, v8, v16, v67
	;;#ASMEND
	;;#ASMSTART
	v_dot2_f32_f16 v67, v9, v17, v67
	;;#ASMEND
	;;#ASMSTART
	v_dot2_f32_f16 v67, v10, v18, v67
	;;#ASMEND
	s_waitcnt lgkmcnt(2)
	;;#ASMSTART
	v_dot2_f32_f16 v4, v19, v11, v4
	;;#ASMEND
	;;#ASMSTART
	v_dot2_f32_f16 v4, v20, v12, v4
	;;#ASMEND
	;;#ASMSTART
	v_dot2_f32_f16 v4, v21, v13, v4
	;;#ASMEND
	;;#ASMSTART
	v_dot2_f32_f16 v4, v22, v14, v4
	;;#ASMEND
	;;#ASMSTART
	v_dot2_f32_f16 v68, v19, v15, v68
	;;#ASMEND
	;;#ASMSTART
	v_dot2_f32_f16 v68, v20, v16, v68
	;;#ASMEND
	;; [unrolled: 3-line block ×4, first 2 shown]
	s_waitcnt lgkmcnt(1)
	;;#ASMSTART
	v_dot2_f32_f16 v5, v23, v11, v5
	;;#ASMEND
	;;#ASMSTART
	v_dot2_f32_f16 v5, v24, v12, v5
	;;#ASMEND
	;; [unrolled: 3-line block ×8, first 2 shown]
	s_waitcnt lgkmcnt(0)
	;;#ASMSTART
	v_dot2_f32_f16 v6, v27, v11, v6
	;;#ASMEND
	;;#ASMSTART
	v_dot2_f32_f16 v6, v28, v12, v6
	;;#ASMEND
	;; [unrolled: 3-line block ×8, first 2 shown]
	ds_read_b128 v[7:10], v75 offset:160
	ds_read_b128 v[11:14], v71 offset:160
	ds_read_b128 v[15:18], v71 offset:416
	ds_read_b128 v[19:22], v75 offset:8864
	ds_read_b128 v[23:26], v75 offset:17568
	ds_read_b128 v[27:30], v75 offset:26272
	s_waitcnt lgkmcnt(4)
	;;#ASMSTART
	v_dot2_f32_f16 v3, v7, v11, v3
	;;#ASMEND
	;;#ASMSTART
	v_dot2_f32_f16 v3, v8, v12, v3
	;;#ASMEND
	;;#ASMSTART
	v_dot2_f32_f16 v3, v9, v13, v3
	;;#ASMEND
	;;#ASMSTART
	v_dot2_f32_f16 v3, v10, v14, v3
	;;#ASMEND
	s_waitcnt lgkmcnt(3)
	;;#ASMSTART
	v_dot2_f32_f16 v67, v7, v15, v67
	;;#ASMEND
	;;#ASMSTART
	v_dot2_f32_f16 v67, v8, v16, v67
	;;#ASMEND
	;;#ASMSTART
	v_dot2_f32_f16 v67, v9, v17, v67
	;;#ASMEND
	;;#ASMSTART
	v_dot2_f32_f16 v67, v10, v18, v67
	;;#ASMEND
	;; [unrolled: 13-line block ×3, first 2 shown]
	;;#ASMSTART
	v_dot2_f32_f16 v68, v19, v15, v68
	;;#ASMEND
	;;#ASMSTART
	v_dot2_f32_f16 v68, v20, v16, v68
	;;#ASMEND
	;; [unrolled: 3-line block ×4, first 2 shown]
	s_waitcnt lgkmcnt(1)
	;;#ASMSTART
	v_dot2_f32_f16 v5, v23, v11, v5
	;;#ASMEND
	;;#ASMSTART
	v_dot2_f32_f16 v5, v24, v12, v5
	;;#ASMEND
	;; [unrolled: 3-line block ×8, first 2 shown]
	s_waitcnt lgkmcnt(0)
	;;#ASMSTART
	v_dot2_f32_f16 v6, v27, v11, v6
	;;#ASMEND
	;;#ASMSTART
	v_dot2_f32_f16 v6, v28, v12, v6
	;;#ASMEND
	;; [unrolled: 3-line block ×8, first 2 shown]
	ds_read_b128 v[7:10], v75 offset:176
	ds_read_b128 v[11:14], v71 offset:176
	ds_read_b128 v[15:18], v71 offset:432
	ds_read_b128 v[19:22], v75 offset:8880
	ds_read_b128 v[23:26], v75 offset:17584
	ds_read_b128 v[27:30], v75 offset:26288
	s_waitcnt lgkmcnt(4)
	;;#ASMSTART
	v_dot2_f32_f16 v3, v7, v11, v3
	;;#ASMEND
	;;#ASMSTART
	v_dot2_f32_f16 v3, v8, v12, v3
	;;#ASMEND
	;;#ASMSTART
	v_dot2_f32_f16 v3, v9, v13, v3
	;;#ASMEND
	;;#ASMSTART
	v_dot2_f32_f16 v3, v10, v14, v3
	;;#ASMEND
	s_waitcnt lgkmcnt(3)
	;;#ASMSTART
	v_dot2_f32_f16 v67, v7, v15, v67
	;;#ASMEND
	;;#ASMSTART
	v_dot2_f32_f16 v67, v8, v16, v67
	;;#ASMEND
	;;#ASMSTART
	v_dot2_f32_f16 v67, v9, v17, v67
	;;#ASMEND
	;;#ASMSTART
	v_dot2_f32_f16 v67, v10, v18, v67
	;;#ASMEND
	;; [unrolled: 13-line block ×3, first 2 shown]
	;;#ASMSTART
	v_dot2_f32_f16 v68, v19, v15, v68
	;;#ASMEND
	;;#ASMSTART
	v_dot2_f32_f16 v68, v20, v16, v68
	;;#ASMEND
	;; [unrolled: 3-line block ×4, first 2 shown]
	s_waitcnt lgkmcnt(1)
	;;#ASMSTART
	v_dot2_f32_f16 v5, v23, v11, v5
	;;#ASMEND
	;;#ASMSTART
	v_dot2_f32_f16 v5, v24, v12, v5
	;;#ASMEND
	;; [unrolled: 3-line block ×8, first 2 shown]
	s_waitcnt lgkmcnt(0)
	;;#ASMSTART
	v_dot2_f32_f16 v6, v27, v11, v6
	;;#ASMEND
	;;#ASMSTART
	v_dot2_f32_f16 v6, v28, v12, v6
	;;#ASMEND
	;; [unrolled: 3-line block ×8, first 2 shown]
	ds_read_b128 v[7:10], v75 offset:192
	ds_read_b128 v[11:14], v71 offset:192
	;; [unrolled: 1-line block ×6, first 2 shown]
	s_waitcnt lgkmcnt(4)
	;;#ASMSTART
	v_dot2_f32_f16 v3, v7, v11, v3
	;;#ASMEND
	;;#ASMSTART
	v_dot2_f32_f16 v3, v8, v12, v3
	;;#ASMEND
	;;#ASMSTART
	v_dot2_f32_f16 v3, v9, v13, v3
	;;#ASMEND
	;;#ASMSTART
	v_dot2_f32_f16 v3, v10, v14, v3
	;;#ASMEND
	s_waitcnt lgkmcnt(3)
	;;#ASMSTART
	v_dot2_f32_f16 v67, v7, v15, v67
	;;#ASMEND
	;;#ASMSTART
	v_dot2_f32_f16 v67, v8, v16, v67
	;;#ASMEND
	;;#ASMSTART
	v_dot2_f32_f16 v67, v9, v17, v67
	;;#ASMEND
	;;#ASMSTART
	v_dot2_f32_f16 v67, v10, v18, v67
	;;#ASMEND
	;; [unrolled: 13-line block ×3, first 2 shown]
	;;#ASMSTART
	v_dot2_f32_f16 v68, v19, v15, v68
	;;#ASMEND
	;;#ASMSTART
	v_dot2_f32_f16 v68, v20, v16, v68
	;;#ASMEND
	;; [unrolled: 3-line block ×4, first 2 shown]
	s_waitcnt lgkmcnt(1)
	;;#ASMSTART
	v_dot2_f32_f16 v5, v23, v11, v5
	;;#ASMEND
	;;#ASMSTART
	v_dot2_f32_f16 v5, v24, v12, v5
	;;#ASMEND
	;;#ASMSTART
	v_dot2_f32_f16 v5, v25, v13, v5
	;;#ASMEND
	;;#ASMSTART
	v_dot2_f32_f16 v5, v26, v14, v5
	;;#ASMEND
	;;#ASMSTART
	v_dot2_f32_f16 v107, v23, v15, v107
	;;#ASMEND
	;;#ASMSTART
	v_dot2_f32_f16 v107, v24, v16, v107
	;;#ASMEND
	;;#ASMSTART
	v_dot2_f32_f16 v107, v25, v17, v107
	;;#ASMEND
	;;#ASMSTART
	v_dot2_f32_f16 v107, v26, v18, v107
	;;#ASMEND
	s_waitcnt lgkmcnt(0)
	;;#ASMSTART
	v_dot2_f32_f16 v6, v27, v11, v6
	;;#ASMEND
	;;#ASMSTART
	v_dot2_f32_f16 v6, v28, v12, v6
	;;#ASMEND
	;;#ASMSTART
	v_dot2_f32_f16 v6, v29, v13, v6
	;;#ASMEND
	;;#ASMSTART
	v_dot2_f32_f16 v6, v30, v14, v6
	;;#ASMEND
	;;#ASMSTART
	v_dot2_f32_f16 v108, v27, v15, v108
	;;#ASMEND
	;;#ASMSTART
	v_dot2_f32_f16 v108, v28, v16, v108
	;;#ASMEND
	;;#ASMSTART
	v_dot2_f32_f16 v108, v29, v17, v108
	;;#ASMEND
	;;#ASMSTART
	v_dot2_f32_f16 v108, v30, v18, v108
	;;#ASMEND
	ds_read_b128 v[7:10], v75 offset:208
	ds_read_b128 v[11:14], v71 offset:208
	;; [unrolled: 1-line block ×6, first 2 shown]
	s_waitcnt lgkmcnt(4)
	;;#ASMSTART
	v_dot2_f32_f16 v3, v7, v11, v3
	;;#ASMEND
	;;#ASMSTART
	v_dot2_f32_f16 v3, v8, v12, v3
	;;#ASMEND
	;;#ASMSTART
	v_dot2_f32_f16 v3, v9, v13, v3
	;;#ASMEND
	;;#ASMSTART
	v_dot2_f32_f16 v3, v10, v14, v3
	;;#ASMEND
	s_waitcnt lgkmcnt(3)
	;;#ASMSTART
	v_dot2_f32_f16 v67, v7, v15, v67
	;;#ASMEND
	;;#ASMSTART
	v_dot2_f32_f16 v67, v8, v16, v67
	;;#ASMEND
	;;#ASMSTART
	v_dot2_f32_f16 v67, v9, v17, v67
	;;#ASMEND
	;;#ASMSTART
	v_dot2_f32_f16 v67, v10, v18, v67
	;;#ASMEND
	;; [unrolled: 13-line block ×3, first 2 shown]
	;;#ASMSTART
	v_dot2_f32_f16 v68, v19, v15, v68
	;;#ASMEND
	;;#ASMSTART
	v_dot2_f32_f16 v68, v20, v16, v68
	;;#ASMEND
	;; [unrolled: 3-line block ×4, first 2 shown]
	s_waitcnt lgkmcnt(1)
	;;#ASMSTART
	v_dot2_f32_f16 v5, v23, v11, v5
	;;#ASMEND
	;;#ASMSTART
	v_dot2_f32_f16 v5, v24, v12, v5
	;;#ASMEND
	;; [unrolled: 3-line block ×8, first 2 shown]
	s_waitcnt lgkmcnt(0)
	;;#ASMSTART
	v_dot2_f32_f16 v6, v27, v11, v6
	;;#ASMEND
	;;#ASMSTART
	v_dot2_f32_f16 v6, v28, v12, v6
	;;#ASMEND
	;; [unrolled: 3-line block ×8, first 2 shown]
	ds_read_b128 v[7:10], v75 offset:224
	ds_read_b128 v[11:14], v71 offset:224
	;; [unrolled: 1-line block ×6, first 2 shown]
	s_waitcnt lgkmcnt(4)
	;;#ASMSTART
	v_dot2_f32_f16 v3, v7, v11, v3
	;;#ASMEND
	;;#ASMSTART
	v_dot2_f32_f16 v3, v8, v12, v3
	;;#ASMEND
	;;#ASMSTART
	v_dot2_f32_f16 v3, v9, v13, v3
	;;#ASMEND
	;;#ASMSTART
	v_dot2_f32_f16 v3, v10, v14, v3
	;;#ASMEND
	s_waitcnt lgkmcnt(3)
	;;#ASMSTART
	v_dot2_f32_f16 v67, v7, v15, v67
	;;#ASMEND
	;;#ASMSTART
	v_dot2_f32_f16 v67, v8, v16, v67
	;;#ASMEND
	;;#ASMSTART
	v_dot2_f32_f16 v67, v9, v17, v67
	;;#ASMEND
	;;#ASMSTART
	v_dot2_f32_f16 v67, v10, v18, v67
	;;#ASMEND
	s_waitcnt lgkmcnt(2)
	;;#ASMSTART
	v_dot2_f32_f16 v4, v19, v11, v4
	;;#ASMEND
	;;#ASMSTART
	v_dot2_f32_f16 v4, v20, v12, v4
	;;#ASMEND
	;;#ASMSTART
	v_dot2_f32_f16 v4, v21, v13, v4
	;;#ASMEND
	;;#ASMSTART
	v_dot2_f32_f16 v4, v22, v14, v4
	;;#ASMEND
	;;#ASMSTART
	v_dot2_f32_f16 v68, v19, v15, v68
	;;#ASMEND
	;;#ASMSTART
	v_dot2_f32_f16 v68, v20, v16, v68
	;;#ASMEND
	;; [unrolled: 3-line block ×4, first 2 shown]
	s_waitcnt lgkmcnt(1)
	;;#ASMSTART
	v_dot2_f32_f16 v5, v23, v11, v5
	;;#ASMEND
	;;#ASMSTART
	v_dot2_f32_f16 v5, v24, v12, v5
	;;#ASMEND
	;; [unrolled: 3-line block ×8, first 2 shown]
	s_waitcnt lgkmcnt(0)
	;;#ASMSTART
	v_dot2_f32_f16 v6, v27, v11, v6
	;;#ASMEND
	;;#ASMSTART
	v_dot2_f32_f16 v6, v28, v12, v6
	;;#ASMEND
	;; [unrolled: 3-line block ×8, first 2 shown]
	ds_read_b128 v[7:10], v75 offset:240
	ds_read_b128 v[11:14], v71 offset:240
	;; [unrolled: 1-line block ×6, first 2 shown]
	s_waitcnt lgkmcnt(4)
	;;#ASMSTART
	v_dot2_f32_f16 v3, v7, v11, v3
	;;#ASMEND
	;;#ASMSTART
	v_dot2_f32_f16 v3, v8, v12, v3
	;;#ASMEND
	;;#ASMSTART
	v_dot2_f32_f16 v3, v9, v13, v3
	;;#ASMEND
	;;#ASMSTART
	v_dot2_f32_f16 v3, v10, v14, v3
	;;#ASMEND
	s_waitcnt lgkmcnt(3)
	;;#ASMSTART
	v_dot2_f32_f16 v67, v7, v15, v67
	;;#ASMEND
	;;#ASMSTART
	v_dot2_f32_f16 v67, v8, v16, v67
	;;#ASMEND
	;;#ASMSTART
	v_dot2_f32_f16 v67, v9, v17, v67
	;;#ASMEND
	;;#ASMSTART
	v_dot2_f32_f16 v67, v10, v18, v67
	;;#ASMEND
	;; [unrolled: 13-line block ×3, first 2 shown]
	;;#ASMSTART
	v_dot2_f32_f16 v68, v19, v15, v68
	;;#ASMEND
	;;#ASMSTART
	v_dot2_f32_f16 v68, v20, v16, v68
	;;#ASMEND
	;;#ASMSTART
	v_dot2_f32_f16 v68, v21, v17, v68
	;;#ASMEND
	;;#ASMSTART
	v_dot2_f32_f16 v68, v22, v18, v68
	;;#ASMEND
	s_waitcnt lgkmcnt(1)
	;;#ASMSTART
	v_dot2_f32_f16 v5, v23, v11, v5
	;;#ASMEND
	;;#ASMSTART
	v_dot2_f32_f16 v5, v24, v12, v5
	;;#ASMEND
	;; [unrolled: 3-line block ×8, first 2 shown]
	s_waitcnt lgkmcnt(0)
	;;#ASMSTART
	v_dot2_f32_f16 v6, v27, v11, v6
	;;#ASMEND
	v_cmp_ngt_f32_e64 s18, 0x3f200000, |v3|
	;;#ASMSTART
	v_dot2_f32_f16 v6, v28, v12, v6
	;;#ASMEND
	;;#ASMSTART
	v_dot2_f32_f16 v6, v29, v13, v6
	;;#ASMEND
	;;#ASMSTART
	v_dot2_f32_f16 v6, v30, v14, v6
	;;#ASMEND
	;;#ASMSTART
	v_dot2_f32_f16 v108, v27, v15, v108
	;;#ASMEND
	;;#ASMSTART
	v_dot2_f32_f16 v108, v28, v16, v108
	;;#ASMEND
	;;#ASMSTART
	v_dot2_f32_f16 v108, v29, v17, v108
	;;#ASMEND
	;;#ASMSTART
	v_dot2_f32_f16 v108, v30, v18, v108
	;;#ASMEND
                                        ; implicit-def: $vgpr7
	s_and_saveexec_b32 s19, s18
	s_xor_b32 s18, exec_lo, s19
	s_cbranch_execz .LBB82_11
; %bb.10:                               ;   in Loop: Header=BB82_9 Depth=1
	v_add_f32_e64 v1, |v3|, |v3|
	v_mul_f32_e32 v2, 0x3fb8aa3b, v1
	v_cmp_ngt_f32_e32 vcc_lo, 0xc2ce8ed0, v1
	v_rndne_f32_e32 v7, v2
	v_fma_f32 v8, 0x3fb8aa3b, v1, -v2
	v_sub_f32_e32 v2, v2, v7
	v_fmac_f32_e32 v8, 0x32a5705f, v1
	v_cvt_i32_f32_e32 v7, v7
	v_add_f32_e32 v2, v2, v8
	v_exp_f32_e32 v2, v2
	v_ldexp_f32 v2, v2, v7
	v_cndmask_b32_e32 v2, 0, v2, vcc_lo
	v_cmp_nlt_f32_e32 vcc_lo, 0x42b17218, v1
	v_cndmask_b32_e32 v1, 0x7f800000, v2, vcc_lo
	v_add_f32_e32 v1, 1.0, v1
	v_rcp_f32_e32 v1, v1
	v_fma_f32 v7, v1, -2.0, 1.0
.LBB82_11:                              ;   in Loop: Header=BB82_9 Depth=1
	s_andn2_saveexec_b32 s18, s18
	s_cbranch_execz .LBB82_13
; %bb.12:                               ;   in Loop: Header=BB82_9 Depth=1
	v_mul_f32_e32 v1, v3, v3
	v_fmaak_f32 v2, s15, v1, 0x3ca908c9
	v_fmaak_f32 v2, v1, v2, 0xbd5c1c4e
	;; [unrolled: 1-line block ×4, first 2 shown]
	v_mul_f32_e64 v2, |v3|, v2
	v_fma_f32 v7, v1, v2, |v3|
.LBB82_13:                              ;   in Loop: Header=BB82_9 Depth=1
	s_or_b32 exec_lo, exec_lo, s18
	v_add_nc_u32_e32 v1, s6, v34
	v_cmp_ngt_f32_e64 s18, 0x3f200000, |v4|
                                        ; implicit-def: $vgpr8
	v_ashrrev_i32_e32 v2, 31, v1
	v_lshlrev_b64 v[1:2], 1, v[1:2]
	v_add_co_u32 v1, vcc_lo, s36, v1
	v_add_co_ci_u32_e64 v2, null, s37, v2, vcc_lo
	global_load_ushort v115, v[1:2], off
	s_and_saveexec_b32 s19, s18
	s_xor_b32 s18, exec_lo, s19
	s_cbranch_execz .LBB82_15
; %bb.14:                               ;   in Loop: Header=BB82_9 Depth=1
	v_add_f32_e64 v8, |v4|, |v4|
	v_mul_f32_e32 v9, 0x3fb8aa3b, v8
	v_cmp_ngt_f32_e32 vcc_lo, 0xc2ce8ed0, v8
	v_rndne_f32_e32 v10, v9
	v_fma_f32 v11, 0x3fb8aa3b, v8, -v9
	v_sub_f32_e32 v9, v9, v10
	v_fmac_f32_e32 v11, 0x32a5705f, v8
	v_cvt_i32_f32_e32 v10, v10
	v_add_f32_e32 v9, v9, v11
	v_exp_f32_e32 v9, v9
	v_ldexp_f32 v9, v9, v10
	v_cndmask_b32_e32 v9, 0, v9, vcc_lo
	v_cmp_nlt_f32_e32 vcc_lo, 0x42b17218, v8
	v_cndmask_b32_e32 v8, 0x7f800000, v9, vcc_lo
	v_add_f32_e32 v8, 1.0, v8
	v_rcp_f32_e32 v8, v8
	v_fma_f32 v8, v8, -2.0, 1.0
.LBB82_15:                              ;   in Loop: Header=BB82_9 Depth=1
	s_andn2_saveexec_b32 s18, s18
	s_cbranch_execz .LBB82_17
; %bb.16:                               ;   in Loop: Header=BB82_9 Depth=1
	v_mul_f32_e32 v8, v4, v4
	v_fmaak_f32 v9, s15, v8, 0x3ca908c9
	v_fmaak_f32 v9, v8, v9, 0xbd5c1c4e
	;; [unrolled: 1-line block ×4, first 2 shown]
	v_mul_f32_e64 v9, |v4|, v9
	v_fma_f32 v8, v8, v9, |v4|
.LBB82_17:                              ;   in Loop: Header=BB82_9 Depth=1
	s_or_b32 exec_lo, exec_lo, s18
	global_load_ushort v116, v[1:2], off offset:64
	v_cmp_ngt_f32_e64 s18, 0x3f200000, |v5|
                                        ; implicit-def: $vgpr9
	s_and_saveexec_b32 s19, s18
	s_xor_b32 s18, exec_lo, s19
	s_cbranch_execz .LBB82_19
; %bb.18:                               ;   in Loop: Header=BB82_9 Depth=1
	v_add_f32_e64 v9, |v5|, |v5|
	v_mul_f32_e32 v10, 0x3fb8aa3b, v9
	v_cmp_ngt_f32_e32 vcc_lo, 0xc2ce8ed0, v9
	v_rndne_f32_e32 v11, v10
	v_fma_f32 v12, 0x3fb8aa3b, v9, -v10
	v_sub_f32_e32 v10, v10, v11
	v_fmac_f32_e32 v12, 0x32a5705f, v9
	v_cvt_i32_f32_e32 v11, v11
	v_add_f32_e32 v10, v10, v12
	v_exp_f32_e32 v10, v10
	v_ldexp_f32 v10, v10, v11
	v_cndmask_b32_e32 v10, 0, v10, vcc_lo
	v_cmp_nlt_f32_e32 vcc_lo, 0x42b17218, v9
	v_cndmask_b32_e32 v9, 0x7f800000, v10, vcc_lo
	v_add_f32_e32 v9, 1.0, v9
	v_rcp_f32_e32 v9, v9
	v_fma_f32 v9, v9, -2.0, 1.0
.LBB82_19:                              ;   in Loop: Header=BB82_9 Depth=1
	s_andn2_saveexec_b32 s18, s18
	s_cbranch_execz .LBB82_21
; %bb.20:                               ;   in Loop: Header=BB82_9 Depth=1
	v_mul_f32_e32 v9, v5, v5
	v_fmaak_f32 v10, s15, v9, 0x3ca908c9
	v_fmaak_f32 v10, v9, v10, 0xbd5c1c4e
	;; [unrolled: 1-line block ×4, first 2 shown]
	v_mul_f32_e64 v10, |v5|, v10
	v_fma_f32 v9, v9, v10, |v5|
.LBB82_21:                              ;   in Loop: Header=BB82_9 Depth=1
	s_or_b32 exec_lo, exec_lo, s18
	global_load_ushort v117, v[1:2], off offset:128
	v_cmp_ngt_f32_e64 s18, 0x3f200000, |v6|
                                        ; implicit-def: $vgpr10
	s_and_saveexec_b32 s19, s18
	s_xor_b32 s18, exec_lo, s19
	s_cbranch_execz .LBB82_23
; %bb.22:                               ;   in Loop: Header=BB82_9 Depth=1
	v_add_f32_e64 v10, |v6|, |v6|
	v_mul_f32_e32 v11, 0x3fb8aa3b, v10
	v_cmp_ngt_f32_e32 vcc_lo, 0xc2ce8ed0, v10
	v_rndne_f32_e32 v12, v11
	v_fma_f32 v13, 0x3fb8aa3b, v10, -v11
	v_sub_f32_e32 v11, v11, v12
	v_fmac_f32_e32 v13, 0x32a5705f, v10
	v_cvt_i32_f32_e32 v12, v12
	v_add_f32_e32 v11, v11, v13
	v_exp_f32_e32 v11, v11
	v_ldexp_f32 v11, v11, v12
	v_cndmask_b32_e32 v11, 0, v11, vcc_lo
	v_cmp_nlt_f32_e32 vcc_lo, 0x42b17218, v10
	v_cndmask_b32_e32 v10, 0x7f800000, v11, vcc_lo
	v_add_f32_e32 v10, 1.0, v10
	v_rcp_f32_e32 v10, v10
	v_fma_f32 v10, v10, -2.0, 1.0
.LBB82_23:                              ;   in Loop: Header=BB82_9 Depth=1
	s_andn2_saveexec_b32 s18, s18
	s_cbranch_execz .LBB82_25
; %bb.24:                               ;   in Loop: Header=BB82_9 Depth=1
	v_mul_f32_e32 v10, v6, v6
	v_fmaak_f32 v11, s15, v10, 0x3ca908c9
	v_fmaak_f32 v11, v10, v11, 0xbd5c1c4e
	;; [unrolled: 1-line block ×4, first 2 shown]
	v_mul_f32_e64 v11, |v6|, v11
	v_fma_f32 v10, v10, v11, |v6|
.LBB82_25:                              ;   in Loop: Header=BB82_9 Depth=1
	s_or_b32 exec_lo, exec_lo, s18
	global_load_ushort v118, v[1:2], off offset:192
	v_bfi_b32 v1, 0x7fffffff, v7, v3
	v_bfi_b32 v2, 0x7fffffff, v8, v4
	;; [unrolled: 1-line block ×3, first 2 shown]
	v_xor_b32_e32 v106, 16, v72
	v_xor_b32_e32 v102, 8, v72
	s_waitcnt vmcnt(3)
	v_fma_mix_f32 v111, s14, v1, v115 op_sel_hi:[0,0,1]
	s_waitcnt vmcnt(2)
	v_fma_mix_f32 v112, s14, v2, v116 op_sel_hi:[0,0,1]
	v_bfi_b32 v1, 0x7fffffff, v9, v5
	v_cmp_gt_i32_e32 vcc_lo, 32, v106
	v_xor_b32_e32 v103, 4, v72
	v_add_f32_e32 v2, 0x40051340, v111
	v_add_f32_e32 v4, 0x40051340, v112
	s_waitcnt vmcnt(1)
	v_fma_mix_f32 v113, s14, v1, v117 op_sel_hi:[0,0,1]
	v_xor_b32_e32 v104, 2, v72
	v_xor_b32_e32 v105, 1, v72
	v_cmp_ngt_f32_e64 s18, 0x3f200000, |v67|
	v_max3_f32 v1, v101, v2, v4
	v_add_f32_e32 v2, 0x40051340, v113
                                        ; implicit-def: $vgpr124
	s_waitcnt vmcnt(0)
	v_fma_mix_f32 v114, s14, v3, v118 op_sel_hi:[0,0,1]
	v_cndmask_b32_e32 v3, v72, v106, vcc_lo
	v_cmp_gt_i32_e32 vcc_lo, 32, v102
	v_add_f32_e32 v4, 0x40051340, v114
	v_lshlrev_b32_e32 v119, 2, v3
	v_cndmask_b32_e32 v3, v72, v102, vcc_lo
	v_cmp_gt_i32_e32 vcc_lo, 32, v103
	v_max3_f32 v1, v1, v2, v4
	v_lshlrev_b32_e32 v120, 2, v3
	v_cndmask_b32_e32 v3, v72, v103, vcc_lo
	v_cmp_gt_i32_e32 vcc_lo, 32, v104
	ds_bpermute_b32 v2, v119, v1
	v_lshlrev_b32_e32 v121, 2, v3
	v_cndmask_b32_e32 v3, v72, v104, vcc_lo
	v_cmp_gt_i32_e32 vcc_lo, 32, v105
	v_lshlrev_b32_e32 v110, 2, v3
	v_cndmask_b32_e32 v3, v72, v105, vcc_lo
	v_lshlrev_b32_e32 v109, 2, v3
	s_waitcnt lgkmcnt(0)
	v_max_f32_e32 v2, v2, v2
	v_max_f32_e32 v1, v1, v2
	ds_bpermute_b32 v2, v120, v1
	s_waitcnt lgkmcnt(0)
	v_max_f32_e32 v2, v2, v2
	v_max_f32_e32 v1, v1, v2
	ds_bpermute_b32 v2, v121, v1
	;; [unrolled: 4-line block ×4, first 2 shown]
	s_and_saveexec_b32 s19, s18
	s_xor_b32 s18, exec_lo, s19
	s_cbranch_execz .LBB82_27
; %bb.26:                               ;   in Loop: Header=BB82_9 Depth=1
	v_add_f32_e64 v1, |v67|, |v67|
	v_mul_f32_e32 v2, 0x3fb8aa3b, v1
	v_cmp_ngt_f32_e32 vcc_lo, 0xc2ce8ed0, v1
	v_rndne_f32_e32 v3, v2
	v_fma_f32 v4, 0x3fb8aa3b, v1, -v2
	v_sub_f32_e32 v2, v2, v3
	v_fmac_f32_e32 v4, 0x32a5705f, v1
	v_cvt_i32_f32_e32 v3, v3
	v_add_f32_e32 v2, v2, v4
	v_exp_f32_e32 v2, v2
	v_ldexp_f32 v2, v2, v3
	v_cndmask_b32_e32 v2, 0, v2, vcc_lo
	v_cmp_nlt_f32_e32 vcc_lo, 0x42b17218, v1
	v_cndmask_b32_e32 v1, 0x7f800000, v2, vcc_lo
	v_add_f32_e32 v1, 1.0, v1
	v_rcp_f32_e32 v1, v1
	v_fma_f32 v124, v1, -2.0, 1.0
.LBB82_27:                              ;   in Loop: Header=BB82_9 Depth=1
	s_andn2_saveexec_b32 s18, s18
	s_cbranch_execz .LBB82_29
; %bb.28:                               ;   in Loop: Header=BB82_9 Depth=1
	v_mul_f32_e32 v1, v67, v67
	v_fmaak_f32 v2, s15, v1, 0x3ca908c9
	v_fmaak_f32 v2, v1, v2, 0xbd5c1c4e
	;; [unrolled: 1-line block ×4, first 2 shown]
	v_mul_f32_e64 v2, |v67|, v2
	v_fma_f32 v124, v1, v2, |v67|
.LBB82_29:                              ;   in Loop: Header=BB82_9 Depth=1
	s_or_b32 exec_lo, exec_lo, s18
	v_cmp_ngt_f32_e64 s18, 0x3f200000, |v68|
                                        ; implicit-def: $vgpr125
	s_and_saveexec_b32 s19, s18
	s_xor_b32 s18, exec_lo, s19
	s_cbranch_execz .LBB82_31
; %bb.30:                               ;   in Loop: Header=BB82_9 Depth=1
	v_add_f32_e64 v1, |v68|, |v68|
	v_mul_f32_e32 v2, 0x3fb8aa3b, v1
	v_cmp_ngt_f32_e32 vcc_lo, 0xc2ce8ed0, v1
	v_rndne_f32_e32 v3, v2
	v_fma_f32 v4, 0x3fb8aa3b, v1, -v2
	v_sub_f32_e32 v2, v2, v3
	v_fmac_f32_e32 v4, 0x32a5705f, v1
	v_cvt_i32_f32_e32 v3, v3
	v_add_f32_e32 v2, v2, v4
	v_exp_f32_e32 v2, v2
	v_ldexp_f32 v2, v2, v3
	v_cndmask_b32_e32 v2, 0, v2, vcc_lo
	v_cmp_nlt_f32_e32 vcc_lo, 0x42b17218, v1
	v_cndmask_b32_e32 v1, 0x7f800000, v2, vcc_lo
	v_add_f32_e32 v1, 1.0, v1
	v_rcp_f32_e32 v1, v1
	v_fma_f32 v125, v1, -2.0, 1.0
.LBB82_31:                              ;   in Loop: Header=BB82_9 Depth=1
	s_andn2_saveexec_b32 s18, s18
	s_cbranch_execz .LBB82_33
; %bb.32:                               ;   in Loop: Header=BB82_9 Depth=1
	v_mul_f32_e32 v1, v68, v68
	v_fmaak_f32 v2, s15, v1, 0x3ca908c9
	v_fmaak_f32 v2, v1, v2, 0xbd5c1c4e
	;; [unrolled: 1-line block ×4, first 2 shown]
	v_mul_f32_e64 v2, |v68|, v2
	v_fma_f32 v125, v1, v2, |v68|
.LBB82_33:                              ;   in Loop: Header=BB82_9 Depth=1
	s_or_b32 exec_lo, exec_lo, s18
	v_cmp_ngt_f32_e64 s18, 0x3f200000, |v107|
                                        ; implicit-def: $vgpr126
	s_and_saveexec_b32 s19, s18
	s_xor_b32 s18, exec_lo, s19
	s_cbranch_execz .LBB82_35
; %bb.34:                               ;   in Loop: Header=BB82_9 Depth=1
	v_add_f32_e64 v1, |v107|, |v107|
	v_mul_f32_e32 v2, 0x3fb8aa3b, v1
	v_cmp_ngt_f32_e32 vcc_lo, 0xc2ce8ed0, v1
	v_rndne_f32_e32 v3, v2
	v_fma_f32 v4, 0x3fb8aa3b, v1, -v2
	v_sub_f32_e32 v2, v2, v3
	v_fmac_f32_e32 v4, 0x32a5705f, v1
	v_cvt_i32_f32_e32 v3, v3
	v_add_f32_e32 v2, v2, v4
	v_exp_f32_e32 v2, v2
	v_ldexp_f32 v2, v2, v3
	v_cndmask_b32_e32 v2, 0, v2, vcc_lo
	v_cmp_nlt_f32_e32 vcc_lo, 0x42b17218, v1
	v_cndmask_b32_e32 v1, 0x7f800000, v2, vcc_lo
	v_add_f32_e32 v1, 1.0, v1
	v_rcp_f32_e32 v1, v1
	v_fma_f32 v126, v1, -2.0, 1.0
.LBB82_35:                              ;   in Loop: Header=BB82_9 Depth=1
	s_andn2_saveexec_b32 s18, s18
	s_cbranch_execz .LBB82_37
; %bb.36:                               ;   in Loop: Header=BB82_9 Depth=1
	v_mul_f32_e32 v1, v107, v107
	v_fmaak_f32 v2, s15, v1, 0x3ca908c9
	v_fmaak_f32 v2, v1, v2, 0xbd5c1c4e
	;; [unrolled: 1-line block ×4, first 2 shown]
	v_mul_f32_e64 v2, |v107|, v2
	v_fma_f32 v126, v1, v2, |v107|
.LBB82_37:                              ;   in Loop: Header=BB82_9 Depth=1
	s_or_b32 exec_lo, exec_lo, s18
	v_cmp_ngt_f32_e64 s18, 0x3f200000, |v108|
                                        ; implicit-def: $vgpr127
	s_and_saveexec_b32 s19, s18
	s_xor_b32 s18, exec_lo, s19
	s_cbranch_execz .LBB82_39
; %bb.38:                               ;   in Loop: Header=BB82_9 Depth=1
	v_add_f32_e64 v1, |v108|, |v108|
	v_mul_f32_e32 v2, 0x3fb8aa3b, v1
	v_cmp_ngt_f32_e32 vcc_lo, 0xc2ce8ed0, v1
	v_rndne_f32_e32 v3, v2
	v_fma_f32 v4, 0x3fb8aa3b, v1, -v2
	v_sub_f32_e32 v2, v2, v3
	v_fmac_f32_e32 v4, 0x32a5705f, v1
	v_cvt_i32_f32_e32 v3, v3
	v_add_f32_e32 v2, v2, v4
	v_exp_f32_e32 v2, v2
	v_ldexp_f32 v2, v2, v3
	v_cndmask_b32_e32 v2, 0, v2, vcc_lo
	v_cmp_nlt_f32_e32 vcc_lo, 0x42b17218, v1
	v_cndmask_b32_e32 v1, 0x7f800000, v2, vcc_lo
	v_add_f32_e32 v1, 1.0, v1
	v_rcp_f32_e32 v1, v1
	v_fma_f32 v127, v1, -2.0, 1.0
.LBB82_39:                              ;   in Loop: Header=BB82_9 Depth=1
	s_andn2_saveexec_b32 s18, s18
	s_cbranch_execz .LBB82_41
; %bb.40:                               ;   in Loop: Header=BB82_9 Depth=1
	v_mul_f32_e32 v1, v108, v108
	v_fmaak_f32 v2, s15, v1, 0x3ca908c9
	v_fmaak_f32 v2, v1, v2, 0xbd5c1c4e
	;; [unrolled: 1-line block ×4, first 2 shown]
	v_mul_f32_e64 v2, |v108|, v2
	v_fma_f32 v127, v1, v2, |v108|
.LBB82_41:                              ;   in Loop: Header=BB82_9 Depth=1
	s_or_b32 exec_lo, exec_lo, s18
	s_mul_hi_i32 s19, s6, s8
	s_mul_i32 s18, s6, s8
	s_waitcnt lgkmcnt(0)
	s_lshl_b64 s[18:19], s[18:19], 2
	s_barrier
	s_add_u32 s18, s12, s18
	s_addc_u32 s19, s13, s19
	v_add_co_u32 v1, vcc_lo, s18, v51
	v_add_co_ci_u32_e64 v2, null, s19, v52, vcc_lo
	v_add_co_u32 v3, vcc_lo, s18, v53
	v_add_co_ci_u32_e64 v4, null, s19, v54, vcc_lo
	;; [unrolled: 2-line block ×16, first 2 shown]
	buffer_gl0_inv
	s_clause 0x7
	global_load_dwordx4 v[1:4], v[1:2], off
	global_load_dwordx4 v[5:8], v[5:6], off
	;; [unrolled: 1-line block ×8, first 2 shown]
	v_cvt_f32_f16_e32 v115, v115
	v_bfi_b32 v67, 0x7fffffff, v124, v67
	v_cvt_f32_f16_e32 v124, v116
	v_bfi_b32 v68, 0x7fffffff, v125, v68
	v_cvt_f32_f16_e32 v128, v117
	v_cvt_f32_f16_e32 v125, v118
	v_fmac_f32_e32 v115, s14, v67
	v_bfi_b32 v67, 0x7fffffff, v126, v107
	v_bfi_b32 v107, 0x7fffffff, v127, v108
	v_fmac_f32_e32 v124, s14, v68
	v_add_nc_u32_e32 v116, v84, v69
	v_add_f32_e32 v68, 0x40051340, v115
	v_fmac_f32_e32 v128, s14, v67
	v_fmac_f32_e32 v125, s14, v107
	v_add_f32_e32 v67, 0x40051340, v124
	v_add_nc_u32_e32 v181, 0x1800, v70
	v_add_nc_u32_e32 v117, 0x800, v70
	v_add_f32_e32 v107, 0x40051340, v128
	v_add_f32_e32 v108, 0x40051340, v125
	v_max3_f32 v67, v100, v68, v67
	v_max3_f32 v67, v67, v107, v108
	v_max_f32_e32 v107, v123, v123
	ds_bpermute_b32 v68, v119, v67
	v_add_nc_u32_e32 v119, 0x2000, v70
	s_waitcnt lgkmcnt(0)
	v_max_f32_e32 v68, v68, v68
	v_max_f32_e32 v67, v67, v68
	ds_bpermute_b32 v68, v120, v67
	v_add_nc_u32_e32 v120, 0x1000, v70
	s_waitcnt lgkmcnt(0)
	v_max_f32_e32 v68, v68, v68
	v_max_f32_e32 v68, v67, v68
	;; [unrolled: 1-line block ×3, first 2 shown]
	ds_bpermute_b32 v108, v121, v68
	v_max_f32_e32 v67, v67, v107
	v_sub_f32_e32 v107, v111, v67
	v_sub_f32_e32 v111, v112, v67
	;; [unrolled: 1-line block ×5, first 2 shown]
	v_mul_f32_e32 v114, 0x3fb8aa3b, v107
	v_mul_f32_e32 v118, 0x3fb8aa3b, v111
	;; [unrolled: 1-line block ×5, first 2 shown]
	v_fma_f32 v126, 0x3fb8aa3b, v107, -v114
	v_rndne_f32_e32 v127, v114
	v_fma_f32 v129, 0x3fb8aa3b, v111, -v118
	v_rndne_f32_e32 v130, v118
	s_waitcnt lgkmcnt(0)
	v_max_f32_e32 v108, v108, v108
	v_fmac_f32_e32 v126, 0x32a5705f, v107
	v_sub_f32_e32 v114, v114, v127
	v_fma_f32 v131, 0x3fb8aa3b, v112, -v121
	v_rndne_f32_e32 v132, v121
	v_max_f32_e32 v68, v68, v108
	v_fma_f32 v108, 0x3fb8aa3b, v101, -v123
	v_rndne_f32_e32 v135, v123
	v_fmac_f32_e32 v129, 0x32a5705f, v111
	v_sub_f32_e32 v118, v118, v130
	ds_bpermute_b32 v110, v110, v68
	v_add_f32_e32 v114, v114, v126
	v_fma_f32 v133, 0x3fb8aa3b, v113, -v122
	v_rndne_f32_e32 v134, v122
	v_fmac_f32_e32 v131, 0x32a5705f, v112
	v_sub_f32_e32 v121, v121, v132
	v_fmac_f32_e32 v108, 0x32a5705f, v101
	v_sub_f32_e32 v123, v123, v135
	v_add_f32_e32 v118, v118, v129
	v_exp_f32_e32 v114, v114
	v_fmac_f32_e32 v133, 0x32a5705f, v113
	v_sub_f32_e32 v122, v122, v134
	v_cvt_i32_f32_e32 v127, v127
	v_add_f32_e32 v108, v123, v108
	v_add_f32_e32 v121, v121, v131
	v_exp_f32_e32 v118, v118
	v_cvt_i32_f32_e32 v130, v130
	v_add_f32_e32 v122, v122, v133
	v_exp_f32_e32 v108, v108
	v_exp_f32_e32 v121, v121
	s_waitcnt lgkmcnt(0)
	v_max_f32_e32 v110, v110, v110
	v_cmp_ngt_f32_e32 vcc_lo, 0xc2ce8ed0, v107
	v_exp_f32_e32 v122, v122
	v_cvt_i32_f32_e32 v123, v135
	v_cvt_i32_f32_e32 v126, v132
	v_max_f32_e32 v68, v68, v110
	v_ldexp_f32 v110, v114, v127
	v_ldexp_f32 v114, v118, v130
	v_cvt_i32_f32_e32 v129, v134
	v_ldexp_f32 v108, v108, v123
	v_ldexp_f32 v118, v121, v126
	v_cndmask_b32_e32 v110, 0, v110, vcc_lo
	v_cmp_ngt_f32_e32 vcc_lo, 0xc2ce8ed0, v111
	ds_bpermute_b32 v121, v109, v68
	v_ldexp_f32 v109, v122, v129
	v_cndmask_b32_e32 v114, 0, v114, vcc_lo
	v_cmp_ngt_f32_e32 vcc_lo, 0xc2ce8ed0, v101
	v_cndmask_b32_e32 v122, 0, v108, vcc_lo
	v_cmp_ngt_f32_e32 vcc_lo, 0xc2ce8ed0, v112
	;; [unrolled: 2-line block ×3, first 2 shown]
	v_cndmask_b32_e32 v123, 0, v109, vcc_lo
	v_cmp_nlt_f32_e32 vcc_lo, 0x42b17218, v107
	v_cndmask_b32_e32 v108, 0x7f800000, v110, vcc_lo
	v_cmp_nlt_f32_e32 vcc_lo, 0x42b17218, v111
	s_waitcnt lgkmcnt(0)
	v_max_f32_e32 v111, v121, v121
	v_cvt_f16_f32_e32 v121, v108
	v_cndmask_b32_e32 v110, 0x7f800000, v114, vcc_lo
	v_cmp_nlt_f32_e32 vcc_lo, 0x42b17218, v101
	v_max_f32_e32 v68, v68, v111
	v_cndmask_b32_e32 v101, 0x7f800000, v122, vcc_lo
	v_sub_f32_e32 v100, v100, v68
	v_cmp_nlt_f32_e32 vcc_lo, 0x42b17218, v112
	v_sub_f32_e32 v111, v115, v68
	v_sub_f32_e32 v115, v128, v68
	v_cvt_f16_f32_e32 v112, v101
	v_mul_f32_e32 v128, 0x3fb8aa3b, v100
	v_cndmask_b32_e32 v109, 0x7f800000, v118, vcc_lo
	v_cmp_nlt_f32_e32 vcc_lo, 0x42b17218, v113
	v_mul_f32_e32 v113, 0x3fb8aa3b, v111
	v_mul_u32_u24_sdwa v118, v112, v93 dst_sel:DWORD dst_unused:UNUSED_PAD src0_sel:WORD_0 src1_sel:DWORD
	v_sub_f32_e32 v112, v124, v68
	v_fma_f32 v137, 0x3fb8aa3b, v100, -v128
	v_rndne_f32_e32 v138, v128
	v_fma_f32 v129, 0x3fb8aa3b, v111, -v113
	v_rndne_f32_e32 v130, v113
	v_mul_f32_e32 v114, 0x3fb8aa3b, v112
	v_fmac_f32_e32 v137, 0x32a5705f, v100
	v_sub_f32_e32 v128, v128, v138
	v_sub_f32_e32 v124, v125, v68
	v_mul_f32_e32 v125, 0x3fb8aa3b, v115
	v_fma_f32 v131, 0x3fb8aa3b, v112, -v114
	v_rndne_f32_e32 v132, v114
	v_fmac_f32_e32 v129, 0x32a5705f, v111
	v_sub_f32_e32 v113, v113, v130
	v_add_f32_e32 v128, v128, v137
	v_mul_f32_e32 v127, 0x3fb8aa3b, v124
	v_fma_f32 v133, 0x3fb8aa3b, v115, -v125
	v_rndne_f32_e32 v134, v125
	v_fmac_f32_e32 v131, 0x32a5705f, v112
	v_sub_f32_e32 v114, v114, v132
	v_add_f32_e32 v113, v113, v129
	v_exp_f32_e32 v128, v128
	v_fma_f32 v135, 0x3fb8aa3b, v124, -v127
	v_rndne_f32_e32 v136, v127
	v_fmac_f32_e32 v133, 0x32a5705f, v115
	v_sub_f32_e32 v125, v125, v134
	v_add_f32_e32 v114, v114, v131
	v_exp_f32_e32 v113, v113
	v_cvt_i32_f32_e32 v129, v138
	v_cndmask_b32_e32 v107, 0x7f800000, v123, vcc_lo
	v_fmac_f32_e32 v135, 0x32a5705f, v124
	v_sub_f32_e32 v127, v127, v136
	v_add_f32_e32 v125, v125, v133
	v_exp_f32_e32 v114, v114
	v_cvt_i32_f32_e32 v130, v130
	v_ldexp_f32 v128, v128, v129
	v_cmp_ngt_f32_e32 vcc_lo, 0xc2ce8ed0, v100
	v_add_f32_e32 v127, v127, v135
	v_exp_f32_e32 v125, v125
	v_cvt_i32_f32_e32 v131, v132
	v_ldexp_f32 v113, v113, v130
	v_cndmask_b32_e32 v128, 0, v128, vcc_lo
	v_cmp_ngt_f32_e32 vcc_lo, 0xc2ce8ed0, v111
	v_exp_f32_e32 v127, v127
	v_cvt_i32_f32_e32 v132, v134
	v_ldexp_f32 v114, v114, v131
	v_cvt_i32_f32_e32 v133, v136
	v_cndmask_b32_e32 v113, 0, v113, vcc_lo
	v_cmp_ngt_f32_e32 vcc_lo, 0xc2ce8ed0, v112
	v_ldexp_f32 v125, v125, v132
	v_cvt_f16_f32_e32 v122, v110
	v_cvt_f16_f32_e32 v123, v109
	;; [unrolled: 1-line block ×3, first 2 shown]
	v_cndmask_b32_e32 v114, 0, v114, vcc_lo
	v_cmp_ngt_f32_e32 vcc_lo, 0xc2ce8ed0, v115
	v_ldexp_f32 v127, v127, v133
	v_pk_mul_f16 v99, v99, v118
	v_cndmask_b32_e32 v125, 0, v125, vcc_lo
	v_cmp_ngt_f32_e32 vcc_lo, 0xc2ce8ed0, v124
	v_cndmask_b32_e32 v127, 0, v127, vcc_lo
	v_cmp_nlt_f32_e32 vcc_lo, 0x42b17218, v100
	v_cndmask_b32_e32 v100, 0x7f800000, v128, vcc_lo
	v_cmp_nlt_f32_e32 vcc_lo, 0x42b17218, v111
	;; [unrolled: 2-line block ×4, first 2 shown]
	v_cvt_f16_f32_e32 v115, v100
	v_cndmask_b32_e32 v112, 0x7f800000, v125, vcc_lo
	v_cmp_nlt_f32_e32 vcc_lo, 0x42b17218, v124
	v_cvt_f16_f32_e32 v124, v113
	v_cvt_f16_f32_e32 v125, v114
	v_mul_u32_u24_sdwa v217, v115, v93 dst_sel:DWORD dst_unused:UNUSED_PAD src0_sel:WORD_0 src1_sel:DWORD
	v_add_nc_u32_e32 v115, 0x2800, v70
	v_cndmask_b32_e32 v111, 0x7f800000, v127, vcc_lo
	v_cvt_f16_f32_e32 v127, v112
	v_pack_b32_f16 v121, v121, v124
	v_pack_b32_f16 v122, v122, v125
	v_pk_mul_f16 v98, v98, v217
	v_cvt_f16_f32_e32 v128, v111
	v_pack_b32_f16 v123, v123, v127
	v_pack_b32_f16 v124, v126, v128
	ds_write2_b32 v116, v121, v122 offset1:32
	ds_write2_b32 v116, v123, v124 offset0:64 offset1:96
	s_waitcnt vmcnt(7)
	ds_write_b128 v76, v[1:4]
	s_waitcnt vmcnt(6)
	ds_write_b128 v85, v[5:8]
	;; [unrolled: 2-line block ×8, first 2 shown]
	s_waitcnt lgkmcnt(0)
	s_barrier
	buffer_gl0_inv
	ds_read2_b64 v[1:4], v70 offset1:32
	ds_read2_b64 v[5:8], v70 offset0:64 offset1:96
	ds_read2_b64 v[9:12], v70 offset0:128 offset1:160
	ds_read_b128 v[13:16], v84
	ds_read_b128 v[17:20], v84 offset:16
	ds_read2_b64 v[21:24], v70 offset0:192 offset1:224
	ds_read2_b64 v[25:28], v117 offset1:32
	ds_read2_b64 v[29:32], v117 offset0:64 offset1:96
	ds_read2_b64 v[121:124], v117 offset0:128 offset1:160
	ds_read_b128 v[125:128], v84 offset:32
	ds_read_b128 v[129:132], v84 offset:48
	ds_read2_b64 v[133:136], v117 offset0:192 offset1:224
	ds_read2_b64 v[137:140], v120 offset1:32
	ds_read2_b64 v[141:144], v120 offset0:64 offset1:96
	ds_read2_b64 v[145:148], v120 offset0:128 offset1:160
	ds_read_b128 v[149:152], v84 offset:64
	;; [unrolled: 6-line block ×4, first 2 shown]
	ds_read_b128 v[201:204], v84 offset:144
	ds_read2_b64 v[205:208], v119 offset0:192 offset1:224
	ds_read_b128 v[209:212], v84 offset:160
	ds_read2_b64 v[213:216], v115 offset1:32
	s_waitcnt lgkmcnt(28)
	v_mul_u32_u24_sdwa v116, v13, v93 dst_sel:DWORD dst_unused:UNUSED_PAD src0_sel:WORD_0 src1_sel:DWORD
	v_mul_u32_u24_sdwa v13, v13, v93 dst_sel:DWORD dst_unused:UNUSED_PAD src0_sel:WORD_1 src1_sel:DWORD
	v_mul_u32_u24_sdwa v117, v14, v93 dst_sel:DWORD dst_unused:UNUSED_PAD src0_sel:WORD_0 src1_sel:DWORD
	v_mul_u32_u24_sdwa v14, v14, v93 dst_sel:DWORD dst_unused:UNUSED_PAD src0_sel:WORD_1 src1_sel:DWORD
	v_mul_u32_u24_sdwa v119, v15, v93 dst_sel:DWORD dst_unused:UNUSED_PAD src0_sel:WORD_0 src1_sel:DWORD
	v_pk_mul_f16 v233, v1, v116
	v_pk_mul_f16 v1, v1, v13
	v_mul_u32_u24_sdwa v15, v15, v93 dst_sel:DWORD dst_unused:UNUSED_PAD src0_sel:WORD_1 src1_sel:DWORD
	v_pk_fma_f16 v99, v2, v116, v99
	v_pk_fma_f16 v2, v2, v13, v98
	v_pk_fma_f16 v97, v97, v118, v233
	v_pk_fma_f16 v1, v96, v217, v1
	v_mul_u32_u24_sdwa v120, v16, v93 dst_sel:DWORD dst_unused:UNUSED_PAD src0_sel:WORD_0 src1_sel:DWORD
	v_mul_u32_u24_sdwa v16, v16, v93 dst_sel:DWORD dst_unused:UNUSED_PAD src0_sel:WORD_1 src1_sel:DWORD
	v_pk_fma_f16 v96, v4, v117, v99
	v_pk_fma_f16 v97, v3, v117, v97
	;; [unrolled: 1-line block ×4, first 2 shown]
	s_waitcnt lgkmcnt(27)
	v_mul_u32_u24_sdwa v218, v17, v93 dst_sel:DWORD dst_unused:UNUSED_PAD src0_sel:WORD_0 src1_sel:DWORD
	v_mul_u32_u24_sdwa v17, v17, v93 dst_sel:DWORD dst_unused:UNUSED_PAD src0_sel:WORD_1 src1_sel:DWORD
	v_pk_fma_f16 v14, v5, v119, v97
	v_pk_fma_f16 v1, v5, v15, v1
	;; [unrolled: 1-line block ×4, first 2 shown]
	v_mul_u32_u24_sdwa v219, v18, v93 dst_sel:DWORD dst_unused:UNUSED_PAD src0_sel:WORD_0 src1_sel:DWORD
	v_pk_fma_f16 v6, v7, v120, v14
	v_pk_fma_f16 v1, v7, v16, v1
	v_mul_u32_u24_sdwa v18, v18, v93 dst_sel:DWORD dst_unused:UNUSED_PAD src0_sel:WORD_1 src1_sel:DWORD
	v_pk_fma_f16 v4, v8, v120, v4
	v_pk_fma_f16 v2, v8, v16, v2
	v_pk_fma_f16 v6, v9, v218, v6
	v_pk_fma_f16 v1, v9, v17, v1
	v_mul_u32_u24_sdwa v220, v19, v93 dst_sel:DWORD dst_unused:UNUSED_PAD src0_sel:WORD_0 src1_sel:DWORD
	v_mul_u32_u24_sdwa v19, v19, v93 dst_sel:DWORD dst_unused:UNUSED_PAD src0_sel:WORD_1 src1_sel:DWORD
	v_pk_fma_f16 v4, v10, v218, v4
	v_pk_fma_f16 v2, v10, v17, v2
	v_pk_fma_f16 v6, v11, v219, v6
	v_pk_fma_f16 v1, v11, v18, v1
	v_mul_u32_u24_sdwa v221, v20, v93 dst_sel:DWORD dst_unused:UNUSED_PAD src0_sel:WORD_0 src1_sel:DWORD
	v_mul_u32_u24_sdwa v20, v20, v93 dst_sel:DWORD dst_unused:UNUSED_PAD src0_sel:WORD_1 src1_sel:DWORD
	v_pk_fma_f16 v4, v12, v219, v4
	v_pk_fma_f16 v2, v12, v18, v2
	s_waitcnt lgkmcnt(26)
	v_pk_fma_f16 v6, v21, v220, v6
	v_pk_fma_f16 v1, v21, v19, v1
	s_waitcnt lgkmcnt(22)
	v_mul_u32_u24_sdwa v222, v125, v93 dst_sel:DWORD dst_unused:UNUSED_PAD src0_sel:WORD_0 src1_sel:DWORD
	v_mul_u32_u24_sdwa v125, v125, v93 dst_sel:DWORD dst_unused:UNUSED_PAD src0_sel:WORD_1 src1_sel:DWORD
	v_pk_fma_f16 v4, v22, v220, v4
	v_pk_fma_f16 v2, v22, v19, v2
	v_pk_fma_f16 v6, v23, v221, v6
	v_pk_fma_f16 v1, v23, v20, v1
	v_mul_u32_u24_sdwa v223, v126, v93 dst_sel:DWORD dst_unused:UNUSED_PAD src0_sel:WORD_0 src1_sel:DWORD
	v_mul_u32_u24_sdwa v126, v126, v93 dst_sel:DWORD dst_unused:UNUSED_PAD src0_sel:WORD_1 src1_sel:DWORD
	v_pk_fma_f16 v4, v24, v221, v4
	v_pk_fma_f16 v2, v24, v20, v2
	v_pk_fma_f16 v6, v25, v222, v6
	v_pk_fma_f16 v1, v25, v125, v1
	v_mul_u32_u24_sdwa v224, v127, v93 dst_sel:DWORD dst_unused:UNUSED_PAD src0_sel:WORD_0 src1_sel:DWORD
	v_mul_u32_u24_sdwa v127, v127, v93 dst_sel:DWORD dst_unused:UNUSED_PAD src0_sel:WORD_1 src1_sel:DWORD
	v_pk_fma_f16 v4, v26, v222, v4
	v_pk_fma_f16 v2, v26, v125, v2
	v_pk_fma_f16 v6, v27, v223, v6
	v_pk_fma_f16 v1, v27, v126, v1
	v_mul_u32_u24_sdwa v225, v128, v93 dst_sel:DWORD dst_unused:UNUSED_PAD src0_sel:WORD_0 src1_sel:DWORD
	v_mul_u32_u24_sdwa v128, v128, v93 dst_sel:DWORD dst_unused:UNUSED_PAD src0_sel:WORD_1 src1_sel:DWORD
	v_pk_fma_f16 v4, v28, v223, v4
	v_pk_fma_f16 v2, v28, v126, v2
	v_pk_fma_f16 v6, v29, v224, v6
	v_pk_fma_f16 v1, v29, v127, v1
	s_waitcnt lgkmcnt(21)
	v_mul_u32_u24_sdwa v226, v129, v93 dst_sel:DWORD dst_unused:UNUSED_PAD src0_sel:WORD_0 src1_sel:DWORD
	v_mul_u32_u24_sdwa v129, v129, v93 dst_sel:DWORD dst_unused:UNUSED_PAD src0_sel:WORD_1 src1_sel:DWORD
	v_pk_fma_f16 v4, v30, v224, v4
	v_pk_fma_f16 v2, v30, v127, v2
	v_pk_fma_f16 v6, v31, v225, v6
	v_pk_fma_f16 v1, v31, v128, v1
	v_mul_u32_u24_sdwa v227, v130, v93 dst_sel:DWORD dst_unused:UNUSED_PAD src0_sel:WORD_0 src1_sel:DWORD
	v_mul_u32_u24_sdwa v130, v130, v93 dst_sel:DWORD dst_unused:UNUSED_PAD src0_sel:WORD_1 src1_sel:DWORD
	v_pk_fma_f16 v4, v32, v225, v4
	v_pk_fma_f16 v2, v32, v128, v2
	v_pk_fma_f16 v6, v121, v226, v6
	v_pk_fma_f16 v1, v121, v129, v1
	v_mul_u32_u24_sdwa v228, v131, v93 dst_sel:DWORD dst_unused:UNUSED_PAD src0_sel:WORD_0 src1_sel:DWORD
	v_mul_u32_u24_sdwa v131, v131, v93 dst_sel:DWORD dst_unused:UNUSED_PAD src0_sel:WORD_1 src1_sel:DWORD
	v_pk_fma_f16 v4, v122, v226, v4
	v_pk_fma_f16 v2, v122, v129, v2
	v_pk_fma_f16 v6, v123, v227, v6
	v_pk_fma_f16 v1, v123, v130, v1
	v_mul_u32_u24_sdwa v229, v132, v93 dst_sel:DWORD dst_unused:UNUSED_PAD src0_sel:WORD_0 src1_sel:DWORD
	v_mul_u32_u24_sdwa v132, v132, v93 dst_sel:DWORD dst_unused:UNUSED_PAD src0_sel:WORD_1 src1_sel:DWORD
	v_pk_fma_f16 v4, v124, v227, v4
	v_pk_fma_f16 v2, v124, v130, v2
	s_waitcnt lgkmcnt(20)
	v_pk_fma_f16 v6, v133, v228, v6
	v_pk_fma_f16 v1, v133, v131, v1
	s_waitcnt lgkmcnt(16)
	v_mul_u32_u24_sdwa v230, v149, v93 dst_sel:DWORD dst_unused:UNUSED_PAD src0_sel:WORD_0 src1_sel:DWORD
	v_mul_u32_u24_sdwa v149, v149, v93 dst_sel:DWORD dst_unused:UNUSED_PAD src0_sel:WORD_1 src1_sel:DWORD
	v_pk_fma_f16 v4, v134, v228, v4
	v_pk_fma_f16 v2, v134, v131, v2
	v_pk_fma_f16 v6, v135, v229, v6
	v_pk_fma_f16 v1, v135, v132, v1
	v_mul_u32_u24_sdwa v231, v150, v93 dst_sel:DWORD dst_unused:UNUSED_PAD src0_sel:WORD_0 src1_sel:DWORD
	v_mul_u32_u24_sdwa v150, v150, v93 dst_sel:DWORD dst_unused:UNUSED_PAD src0_sel:WORD_1 src1_sel:DWORD
	v_pk_fma_f16 v4, v136, v229, v4
	v_pk_fma_f16 v2, v136, v132, v2
	v_pk_fma_f16 v6, v137, v230, v6
	v_pk_fma_f16 v1, v137, v149, v1
	v_mul_u32_u24_sdwa v232, v151, v93 dst_sel:DWORD dst_unused:UNUSED_PAD src0_sel:WORD_0 src1_sel:DWORD
	v_mul_u32_u24_sdwa v151, v151, v93 dst_sel:DWORD dst_unused:UNUSED_PAD src0_sel:WORD_1 src1_sel:DWORD
	v_pk_fma_f16 v4, v138, v230, v4
	v_pk_fma_f16 v2, v138, v149, v2
	v_pk_fma_f16 v6, v139, v231, v6
	v_pk_fma_f16 v1, v139, v150, v1
	v_mul_u32_u24_sdwa v234, v152, v93 dst_sel:DWORD dst_unused:UNUSED_PAD src0_sel:WORD_0 src1_sel:DWORD
	v_mul_u32_u24_sdwa v13, v152, v93 dst_sel:DWORD dst_unused:UNUSED_PAD src0_sel:WORD_1 src1_sel:DWORD
	v_pk_fma_f16 v4, v140, v231, v4
	v_pk_fma_f16 v2, v140, v150, v2
	v_pk_fma_f16 v6, v141, v232, v6
	v_pk_fma_f16 v1, v141, v151, v1
	s_waitcnt lgkmcnt(15)
	v_mul_u32_u24_sdwa v3, v153, v93 dst_sel:DWORD dst_unused:UNUSED_PAD src0_sel:WORD_0 src1_sel:DWORD
	v_mul_u32_u24_sdwa v5, v153, v93 dst_sel:DWORD dst_unused:UNUSED_PAD src0_sel:WORD_1 src1_sel:DWORD
	v_pk_fma_f16 v4, v142, v232, v4
	v_pk_fma_f16 v2, v142, v151, v2
	v_pk_fma_f16 v6, v143, v234, v6
	v_pk_fma_f16 v1, v143, v13, v1
	v_mul_u32_u24_sdwa v7, v154, v93 dst_sel:DWORD dst_unused:UNUSED_PAD src0_sel:WORD_0 src1_sel:DWORD
	;; [unrolled: 51-line block ×4, first 2 shown]
	v_mul_u32_u24_sdwa v7, v202, v93 dst_sel:DWORD dst_unused:UNUSED_PAD src0_sel:WORD_1 src1_sel:DWORD
	v_pk_fma_f16 v3, v192, v14, v3
	v_pk_fma_f16 v2, v192, v15, v2
	;; [unrolled: 1-line block ×4, first 2 shown]
	v_mul_u32_u24_sdwa v8, v203, v93 dst_sel:DWORD dst_unused:UNUSED_PAD src0_sel:WORD_0 src1_sel:DWORD
	v_mul_u32_u24_sdwa v9, v203, v93 dst_sel:DWORD dst_unused:UNUSED_PAD src0_sel:WORD_1 src1_sel:DWORD
	v_pk_fma_f16 v3, v194, v13, v3
	v_pk_fma_f16 v2, v194, v5, v2
	;; [unrolled: 1-line block ×4, first 2 shown]
	v_mul_u32_u24_sdwa v10, v204, v93 dst_sel:DWORD dst_unused:UNUSED_PAD src0_sel:WORD_0 src1_sel:DWORD
	v_pk_fma_f16 v3, v196, v6, v3
	v_pk_fma_f16 v2, v196, v7, v2
	s_waitcnt lgkmcnt(2)
	v_pk_fma_f16 v4, v205, v8, v4
	v_mul_u32_u24_sdwa v11, v204, v93 dst_sel:DWORD dst_unused:UNUSED_PAD src0_sel:WORD_1 src1_sel:DWORD
	v_pk_fma_f16 v1, v205, v9, v1
	v_pk_fma_f16 v12, v206, v8, v3
	;; [unrolled: 1-line block ×4, first 2 shown]
	s_waitcnt lgkmcnt(1)
	v_mul_u32_u24_sdwa v15, v209, v93 dst_sel:DWORD dst_unused:UNUSED_PAD src0_sel:WORD_0 src1_sel:DWORD
	v_pk_fma_f16 v14, v207, v11, v1
	ds_read2_b64 v[5:8], v115 offset0:64 offset1:96
	v_mul_u32_u24_sdwa v16, v209, v93 dst_sel:DWORD dst_unused:UNUSED_PAD src0_sel:WORD_1 src1_sel:DWORD
	ds_read_b128 v[1:4], v84 offset:176
	v_pk_fma_f16 v10, v208, v10, v12
	v_pk_fma_f16 v9, v208, v11, v9
	s_waitcnt lgkmcnt(2)
	v_pk_fma_f16 v11, v213, v15, v13
	v_pk_fma_f16 v12, v213, v16, v14
	v_mul_u32_u24_sdwa v13, v210, v93 dst_sel:DWORD dst_unused:UNUSED_PAD src0_sel:WORD_0 src1_sel:DWORD
	v_mul_u32_u24_sdwa v14, v210, v93 dst_sel:DWORD dst_unused:UNUSED_PAD src0_sel:WORD_1 src1_sel:DWORD
	v_pk_fma_f16 v15, v214, v15, v10
	v_pk_fma_f16 v16, v214, v16, v9
	v_mul_u32_u24_sdwa v19, v211, v93 dst_sel:DWORD dst_unused:UNUSED_PAD src0_sel:WORD_0 src1_sel:DWORD
	v_pk_fma_f16 v17, v215, v13, v11
	v_pk_fma_f16 v18, v215, v14, v12
	ds_read2_b64 v[9:12], v115 offset0:128 offset1:160
	v_mul_u32_u24_sdwa v20, v211, v93 dst_sel:DWORD dst_unused:UNUSED_PAD src0_sel:WORD_1 src1_sel:DWORD
	v_pk_fma_f16 v13, v216, v13, v15
	v_pk_fma_f16 v14, v216, v14, v16
	v_add_nc_u32_e32 v23, 0x3000, v70
	s_waitcnt lgkmcnt(2)
	v_pk_fma_f16 v15, v5, v19, v17
	v_pk_fma_f16 v5, v5, v20, v18
	v_mul_u32_u24_sdwa v17, v212, v93 dst_sel:DWORD dst_unused:UNUSED_PAD src0_sel:WORD_0 src1_sel:DWORD
	v_mul_u32_u24_sdwa v18, v212, v93 dst_sel:DWORD dst_unused:UNUSED_PAD src0_sel:WORD_1 src1_sel:DWORD
	v_pk_fma_f16 v19, v6, v19, v13
	v_pk_fma_f16 v6, v6, v20, v14
	s_waitcnt lgkmcnt(1)
	v_mul_u32_u24_sdwa v22, v2, v93 dst_sel:DWORD dst_unused:UNUSED_PAD src0_sel:WORD_0 src1_sel:DWORD
	v_pk_fma_f16 v20, v7, v17, v15
	v_pk_fma_f16 v5, v7, v18, v5
	v_mul_u32_u24_sdwa v7, v1, v93 dst_sel:DWORD dst_unused:UNUSED_PAD src0_sel:WORD_0 src1_sel:DWORD
	v_mul_u32_u24_sdwa v1, v1, v93 dst_sel:DWORD dst_unused:UNUSED_PAD src0_sel:WORD_1 src1_sel:DWORD
	ds_read2_b64 v[13:16], v115 offset0:192 offset1:224
	v_pk_fma_f16 v17, v8, v17, v19
	v_pk_fma_f16 v18, v8, v18, v6
	s_waitcnt lgkmcnt(1)
	v_pk_fma_f16 v19, v9, v7, v20
	v_pk_fma_f16 v9, v9, v1, v5
	v_mul_u32_u24_sdwa v2, v2, v93 dst_sel:DWORD dst_unused:UNUSED_PAD src0_sel:WORD_1 src1_sel:DWORD
	v_pk_fma_f16 v21, v10, v7, v17
	ds_read_b128 v[5:8], v84 offset:192
	v_pk_fma_f16 v1, v10, v1, v18
	v_pk_fma_f16 v10, v11, v22, v19
	ds_read2_b64 v[17:20], v23 offset1:32
	v_pk_fma_f16 v9, v11, v2, v9
	v_mul_u32_u24_sdwa v11, v3, v93 dst_sel:DWORD dst_unused:UNUSED_PAD src0_sel:WORD_0 src1_sel:DWORD
	v_mul_u32_u24_sdwa v3, v3, v93 dst_sel:DWORD dst_unused:UNUSED_PAD src0_sel:WORD_1 src1_sel:DWORD
	v_pk_fma_f16 v21, v12, v22, v21
	v_pk_fma_f16 v1, v12, v2, v1
	v_mul_u32_u24_sdwa v22, v4, v93 dst_sel:DWORD dst_unused:UNUSED_PAD src0_sel:WORD_1 src1_sel:DWORD
	s_waitcnt lgkmcnt(2)
	v_pk_fma_f16 v2, v13, v11, v10
	v_pk_fma_f16 v9, v13, v3, v9
	v_mul_u32_u24_sdwa v13, v4, v93 dst_sel:DWORD dst_unused:UNUSED_PAD src0_sel:WORD_0 src1_sel:DWORD
	v_pk_fma_f16 v21, v14, v11, v21
	v_pk_fma_f16 v14, v14, v3, v1
	;; [unrolled: 1-line block ×4, first 2 shown]
	ds_read_b128 v[1:4], v84 offset:208
	s_waitcnt lgkmcnt(2)
	v_mul_u32_u24_sdwa v25, v5, v93 dst_sel:DWORD dst_unused:UNUSED_PAD src0_sel:WORD_0 src1_sel:DWORD
	ds_read2_b64 v[9:12], v23 offset0:64 offset1:96
	v_mul_u32_u24_sdwa v5, v5, v93 dst_sel:DWORD dst_unused:UNUSED_PAD src0_sel:WORD_1 src1_sel:DWORD
	v_pk_fma_f16 v13, v16, v13, v21
	v_pk_fma_f16 v14, v16, v22, v14
	s_waitcnt lgkmcnt(2)
	v_pk_fma_f16 v16, v17, v25, v24
	v_mul_u32_u24_sdwa v22, v7, v93 dst_sel:DWORD dst_unused:UNUSED_PAD src0_sel:WORD_0 src1_sel:DWORD
	v_pk_fma_f16 v15, v17, v5, v15
	v_mul_u32_u24_sdwa v17, v6, v93 dst_sel:DWORD dst_unused:UNUSED_PAD src0_sel:WORD_0 src1_sel:DWORD
	v_mul_u32_u24_sdwa v6, v6, v93 dst_sel:DWORD dst_unused:UNUSED_PAD src0_sel:WORD_1 src1_sel:DWORD
	v_pk_fma_f16 v21, v18, v25, v13
	v_pk_fma_f16 v5, v18, v5, v14
	v_mul_u32_u24_sdwa v7, v7, v93 dst_sel:DWORD dst_unused:UNUSED_PAD src0_sel:WORD_1 src1_sel:DWORD
	v_pk_fma_f16 v18, v19, v17, v16
	v_pk_fma_f16 v19, v19, v6, v15
	ds_read2_b64 v[13:16], v23 offset0:128 offset1:160
	v_pk_fma_f16 v17, v20, v17, v21
	v_pk_fma_f16 v5, v20, v6, v5
	s_waitcnt lgkmcnt(2)
	v_mul_u32_u24_sdwa v24, v4, v93 dst_sel:DWORD dst_unused:UNUSED_PAD src0_sel:WORD_1 src1_sel:DWORD
	s_waitcnt lgkmcnt(1)
	v_pk_fma_f16 v6, v9, v22, v18
	v_pk_fma_f16 v9, v9, v7, v19
	v_mul_u32_u24_sdwa v18, v8, v93 dst_sel:DWORD dst_unused:UNUSED_PAD src0_sel:WORD_0 src1_sel:DWORD
	v_mul_u32_u24_sdwa v19, v8, v93 dst_sel:DWORD dst_unused:UNUSED_PAD src0_sel:WORD_1 src1_sel:DWORD
	v_pk_fma_f16 v17, v10, v22, v17
	v_pk_fma_f16 v10, v10, v7, v5
	v_mul_u32_u24_sdwa v22, v2, v93 dst_sel:DWORD dst_unused:UNUSED_PAD src0_sel:WORD_0 src1_sel:DWORD
	v_pk_fma_f16 v20, v11, v18, v6
	v_pk_fma_f16 v9, v11, v19, v9
	v_mul_u32_u24_sdwa v11, v1, v93 dst_sel:DWORD dst_unused:UNUSED_PAD src0_sel:WORD_0 src1_sel:DWORD
	v_mul_u32_u24_sdwa v1, v1, v93 dst_sel:DWORD dst_unused:UNUSED_PAD src0_sel:WORD_1 src1_sel:DWORD
	ds_read2_b64 v[5:8], v23 offset0:192 offset1:224
	v_pk_fma_f16 v17, v12, v18, v17
	v_pk_fma_f16 v18, v12, v19, v10
	s_waitcnt lgkmcnt(1)
	v_pk_fma_f16 v19, v13, v11, v20
	v_pk_fma_f16 v13, v13, v1, v9
	v_add_nc_u32_e32 v23, 0x3800, v70
	v_pk_fma_f16 v21, v14, v11, v17
	ds_read_b128 v[9:12], v84 offset:224
	v_mul_u32_u24_sdwa v2, v2, v93 dst_sel:DWORD dst_unused:UNUSED_PAD src0_sel:WORD_1 src1_sel:DWORD
	v_pk_fma_f16 v1, v14, v1, v18
	v_pk_fma_f16 v14, v15, v22, v19
	ds_read2_b64 v[17:20], v23 offset1:32
	v_pk_fma_f16 v21, v16, v22, v21
	v_pk_fma_f16 v13, v15, v2, v13
	v_mul_u32_u24_sdwa v15, v3, v93 dst_sel:DWORD dst_unused:UNUSED_PAD src0_sel:WORD_0 src1_sel:DWORD
	v_mul_u32_u24_sdwa v3, v3, v93 dst_sel:DWORD dst_unused:UNUSED_PAD src0_sel:WORD_1 src1_sel:DWORD
	v_pk_fma_f16 v1, v16, v2, v1
	v_mul_u32_u24_sdwa v22, v4, v93 dst_sel:DWORD dst_unused:UNUSED_PAD src0_sel:WORD_0 src1_sel:DWORD
	s_waitcnt lgkmcnt(2)
	v_pk_fma_f16 v2, v5, v15, v14
	v_pk_fma_f16 v5, v5, v3, v13
	;; [unrolled: 1-line block ×4, first 2 shown]
	ds_read2_b64 v[13:16], v23 offset0:64 offset1:96
	v_pk_fma_f16 v25, v7, v22, v2
	v_pk_fma_f16 v5, v7, v24, v5
	ds_read_b128 v[1:4], v84 offset:240
	s_waitcnt lgkmcnt(3)
	v_mul_u32_u24_sdwa v7, v9, v93 dst_sel:DWORD dst_unused:UNUSED_PAD src0_sel:WORD_0 src1_sel:DWORD
	v_mul_u32_u24_sdwa v9, v9, v93 dst_sel:DWORD dst_unused:UNUSED_PAD src0_sel:WORD_1 src1_sel:DWORD
	v_pk_fma_f16 v21, v8, v22, v21
	v_pk_fma_f16 v6, v8, v24, v6
	v_mul_u32_u24_sdwa v22, v11, v93 dst_sel:DWORD dst_unused:UNUSED_PAD src0_sel:WORD_0 src1_sel:DWORD
	s_waitcnt lgkmcnt(2)
	v_pk_fma_f16 v8, v17, v7, v25
	v_pk_fma_f16 v5, v17, v9, v5
	v_mul_u32_u24_sdwa v17, v10, v93 dst_sel:DWORD dst_unused:UNUSED_PAD src0_sel:WORD_0 src1_sel:DWORD
	v_mul_u32_u24_sdwa v10, v10, v93 dst_sel:DWORD dst_unused:UNUSED_PAD src0_sel:WORD_1 src1_sel:DWORD
	v_pk_fma_f16 v21, v18, v7, v21
	v_pk_fma_f16 v9, v18, v9, v6
	v_mul_u32_u24_sdwa v11, v11, v93 dst_sel:DWORD dst_unused:UNUSED_PAD src0_sel:WORD_1 src1_sel:DWORD
	v_pk_fma_f16 v18, v19, v17, v8
	v_pk_fma_f16 v19, v19, v10, v5
	ds_read2_b64 v[5:8], v23 offset0:128 offset1:160
	v_pk_fma_f16 v17, v20, v17, v21
	v_pk_fma_f16 v9, v20, v10, v9
	s_waitcnt lgkmcnt(2)
	v_pk_fma_f16 v10, v13, v22, v18
	v_pk_fma_f16 v13, v13, v11, v19
	v_mul_u32_u24_sdwa v18, v12, v93 dst_sel:DWORD dst_unused:UNUSED_PAD src0_sel:WORD_0 src1_sel:DWORD
	v_mul_u32_u24_sdwa v19, v12, v93 dst_sel:DWORD dst_unused:UNUSED_PAD src0_sel:WORD_1 src1_sel:DWORD
	v_pk_fma_f16 v17, v14, v22, v17
	v_pk_fma_f16 v14, v14, v11, v9
	s_waitcnt lgkmcnt(1)
	v_mul_u32_u24_sdwa v22, v2, v93 dst_sel:DWORD dst_unused:UNUSED_PAD src0_sel:WORD_0 src1_sel:DWORD
	v_pk_fma_f16 v20, v15, v18, v10
	v_pk_fma_f16 v13, v15, v19, v13
	v_mul_u32_u24_sdwa v15, v1, v93 dst_sel:DWORD dst_unused:UNUSED_PAD src0_sel:WORD_0 src1_sel:DWORD
	v_mul_u32_u24_sdwa v1, v1, v93 dst_sel:DWORD dst_unused:UNUSED_PAD src0_sel:WORD_1 src1_sel:DWORD
	ds_read2_b64 v[9:12], v23 offset0:192 offset1:224
	v_pk_fma_f16 v17, v16, v18, v17
	v_pk_fma_f16 v18, v16, v19, v14
	v_add_nc_u32_e32 v23, 0x4000, v70
	v_mul_u32_u24_sdwa v2, v2, v93 dst_sel:DWORD dst_unused:UNUSED_PAD src0_sel:WORD_1 src1_sel:DWORD
	s_waitcnt lgkmcnt(1)
	v_pk_fma_f16 v19, v5, v15, v20
	v_pk_fma_f16 v5, v5, v1, v13
	;; [unrolled: 1-line block ×3, first 2 shown]
	ds_read_b128 v[13:16], v84 offset:256
	v_pk_fma_f16 v1, v6, v1, v18
	v_pk_fma_f16 v6, v7, v22, v19
	ds_read2_b64 v[17:20], v23 offset1:32
	v_pk_fma_f16 v5, v7, v2, v5
	v_mul_u32_u24_sdwa v7, v3, v93 dst_sel:DWORD dst_unused:UNUSED_PAD src0_sel:WORD_0 src1_sel:DWORD
	v_mul_u32_u24_sdwa v3, v3, v93 dst_sel:DWORD dst_unused:UNUSED_PAD src0_sel:WORD_1 src1_sel:DWORD
	v_pk_fma_f16 v21, v8, v22, v21
	v_pk_fma_f16 v1, v8, v2, v1
	v_mul_u32_u24_sdwa v22, v4, v93 dst_sel:DWORD dst_unused:UNUSED_PAD src0_sel:WORD_1 src1_sel:DWORD
	s_waitcnt lgkmcnt(2)
	v_pk_fma_f16 v2, v9, v7, v6
	v_pk_fma_f16 v5, v9, v3, v5
	v_mul_u32_u24_sdwa v9, v4, v93 dst_sel:DWORD dst_unused:UNUSED_PAD src0_sel:WORD_0 src1_sel:DWORD
	v_pk_fma_f16 v21, v10, v7, v21
	v_pk_fma_f16 v10, v10, v3, v1
	;; [unrolled: 1-line block ×4, first 2 shown]
	ds_read_b128 v[1:4], v84 offset:272
	s_waitcnt lgkmcnt(2)
	v_mul_u32_u24_sdwa v25, v13, v93 dst_sel:DWORD dst_unused:UNUSED_PAD src0_sel:WORD_0 src1_sel:DWORD
	ds_read2_b64 v[5:8], v23 offset0:64 offset1:96
	v_mul_u32_u24_sdwa v13, v13, v93 dst_sel:DWORD dst_unused:UNUSED_PAD src0_sel:WORD_1 src1_sel:DWORD
	v_pk_fma_f16 v9, v12, v9, v21
	v_pk_fma_f16 v10, v12, v22, v10
	s_waitcnt lgkmcnt(2)
	v_pk_fma_f16 v12, v17, v25, v24
	v_mul_u32_u24_sdwa v22, v15, v93 dst_sel:DWORD dst_unused:UNUSED_PAD src0_sel:WORD_0 src1_sel:DWORD
	v_pk_fma_f16 v11, v17, v13, v11
	v_mul_u32_u24_sdwa v17, v14, v93 dst_sel:DWORD dst_unused:UNUSED_PAD src0_sel:WORD_0 src1_sel:DWORD
	v_mul_u32_u24_sdwa v14, v14, v93 dst_sel:DWORD dst_unused:UNUSED_PAD src0_sel:WORD_1 src1_sel:DWORD
	v_pk_fma_f16 v21, v18, v25, v9
	v_pk_fma_f16 v13, v18, v13, v10
	v_mul_u32_u24_sdwa v15, v15, v93 dst_sel:DWORD dst_unused:UNUSED_PAD src0_sel:WORD_1 src1_sel:DWORD
	v_pk_fma_f16 v18, v19, v17, v12
	v_pk_fma_f16 v19, v19, v14, v11
	ds_read2_b64 v[9:12], v23 offset0:128 offset1:160
	v_pk_fma_f16 v17, v20, v17, v21
	v_pk_fma_f16 v13, v20, v14, v13
	s_waitcnt lgkmcnt(1)
	v_pk_fma_f16 v14, v5, v22, v18
	v_pk_fma_f16 v5, v5, v15, v19
	v_mul_u32_u24_sdwa v18, v16, v93 dst_sel:DWORD dst_unused:UNUSED_PAD src0_sel:WORD_0 src1_sel:DWORD
	v_mul_u32_u24_sdwa v19, v16, v93 dst_sel:DWORD dst_unused:UNUSED_PAD src0_sel:WORD_1 src1_sel:DWORD
	v_pk_fma_f16 v17, v6, v22, v17
	v_pk_fma_f16 v6, v6, v15, v13
	v_mul_u32_u24_sdwa v22, v2, v93 dst_sel:DWORD dst_unused:UNUSED_PAD src0_sel:WORD_0 src1_sel:DWORD
	v_pk_fma_f16 v20, v7, v18, v14
	v_pk_fma_f16 v5, v7, v19, v5
	v_mul_u32_u24_sdwa v7, v1, v93 dst_sel:DWORD dst_unused:UNUSED_PAD src0_sel:WORD_0 src1_sel:DWORD
	v_mul_u32_u24_sdwa v1, v1, v93 dst_sel:DWORD dst_unused:UNUSED_PAD src0_sel:WORD_1 src1_sel:DWORD
	ds_read2_b64 v[13:16], v23 offset0:192 offset1:224
	v_pk_fma_f16 v17, v8, v18, v17
	v_pk_fma_f16 v18, v8, v19, v6
	s_waitcnt lgkmcnt(1)
	v_pk_fma_f16 v19, v9, v7, v20
	v_pk_fma_f16 v9, v9, v1, v5
	v_add_nc_u32_e32 v23, 0x4800, v70
	v_pk_fma_f16 v21, v10, v7, v17
	ds_read_b128 v[5:8], v84 offset:288
	v_mul_u32_u24_sdwa v2, v2, v93 dst_sel:DWORD dst_unused:UNUSED_PAD src0_sel:WORD_1 src1_sel:DWORD
	v_pk_fma_f16 v1, v10, v1, v18
	v_pk_fma_f16 v10, v11, v22, v19
	ds_read2_b64 v[17:20], v23 offset1:32
	v_pk_fma_f16 v21, v12, v22, v21
	v_pk_fma_f16 v9, v11, v2, v9
	v_mul_u32_u24_sdwa v11, v3, v93 dst_sel:DWORD dst_unused:UNUSED_PAD src0_sel:WORD_0 src1_sel:DWORD
	v_mul_u32_u24_sdwa v3, v3, v93 dst_sel:DWORD dst_unused:UNUSED_PAD src0_sel:WORD_1 src1_sel:DWORD
	v_pk_fma_f16 v1, v12, v2, v1
	v_mul_u32_u24_sdwa v22, v4, v93 dst_sel:DWORD dst_unused:UNUSED_PAD src0_sel:WORD_1 src1_sel:DWORD
	s_waitcnt lgkmcnt(2)
	v_pk_fma_f16 v2, v13, v11, v10
	v_pk_fma_f16 v9, v13, v3, v9
	v_mul_u32_u24_sdwa v13, v4, v93 dst_sel:DWORD dst_unused:UNUSED_PAD src0_sel:WORD_0 src1_sel:DWORD
	v_pk_fma_f16 v21, v14, v11, v21
	v_pk_fma_f16 v14, v14, v3, v1
	;; [unrolled: 1-line block ×4, first 2 shown]
	ds_read_b128 v[1:4], v84 offset:304
	s_waitcnt lgkmcnt(2)
	v_mul_u32_u24_sdwa v25, v5, v93 dst_sel:DWORD dst_unused:UNUSED_PAD src0_sel:WORD_0 src1_sel:DWORD
	ds_read2_b64 v[9:12], v23 offset0:64 offset1:96
	v_mul_u32_u24_sdwa v5, v5, v93 dst_sel:DWORD dst_unused:UNUSED_PAD src0_sel:WORD_1 src1_sel:DWORD
	v_pk_fma_f16 v13, v16, v13, v21
	v_pk_fma_f16 v14, v16, v22, v14
	s_waitcnt lgkmcnt(2)
	v_pk_fma_f16 v16, v17, v25, v24
	v_mul_u32_u24_sdwa v22, v7, v93 dst_sel:DWORD dst_unused:UNUSED_PAD src0_sel:WORD_0 src1_sel:DWORD
	v_pk_fma_f16 v15, v17, v5, v15
	v_mul_u32_u24_sdwa v17, v6, v93 dst_sel:DWORD dst_unused:UNUSED_PAD src0_sel:WORD_0 src1_sel:DWORD
	v_mul_u32_u24_sdwa v6, v6, v93 dst_sel:DWORD dst_unused:UNUSED_PAD src0_sel:WORD_1 src1_sel:DWORD
	v_pk_fma_f16 v21, v18, v25, v13
	v_pk_fma_f16 v5, v18, v5, v14
	v_mul_u32_u24_sdwa v7, v7, v93 dst_sel:DWORD dst_unused:UNUSED_PAD src0_sel:WORD_1 src1_sel:DWORD
	v_pk_fma_f16 v18, v19, v17, v16
	v_pk_fma_f16 v19, v19, v6, v15
	ds_read2_b64 v[13:16], v23 offset0:128 offset1:160
	v_pk_fma_f16 v17, v20, v17, v21
	v_pk_fma_f16 v5, v20, v6, v5
	s_waitcnt lgkmcnt(2)
	v_mul_u32_u24_sdwa v24, v4, v93 dst_sel:DWORD dst_unused:UNUSED_PAD src0_sel:WORD_1 src1_sel:DWORD
	s_waitcnt lgkmcnt(1)
	v_pk_fma_f16 v6, v9, v22, v18
	v_pk_fma_f16 v9, v9, v7, v19
	v_mul_u32_u24_sdwa v18, v8, v93 dst_sel:DWORD dst_unused:UNUSED_PAD src0_sel:WORD_0 src1_sel:DWORD
	v_mul_u32_u24_sdwa v19, v8, v93 dst_sel:DWORD dst_unused:UNUSED_PAD src0_sel:WORD_1 src1_sel:DWORD
	v_pk_fma_f16 v17, v10, v22, v17
	v_pk_fma_f16 v10, v10, v7, v5
	v_mul_u32_u24_sdwa v22, v2, v93 dst_sel:DWORD dst_unused:UNUSED_PAD src0_sel:WORD_0 src1_sel:DWORD
	v_pk_fma_f16 v20, v11, v18, v6
	v_pk_fma_f16 v9, v11, v19, v9
	v_mul_u32_u24_sdwa v11, v1, v93 dst_sel:DWORD dst_unused:UNUSED_PAD src0_sel:WORD_0 src1_sel:DWORD
	v_mul_u32_u24_sdwa v1, v1, v93 dst_sel:DWORD dst_unused:UNUSED_PAD src0_sel:WORD_1 src1_sel:DWORD
	ds_read2_b64 v[5:8], v23 offset0:192 offset1:224
	v_pk_fma_f16 v17, v12, v18, v17
	v_pk_fma_f16 v18, v12, v19, v10
	s_waitcnt lgkmcnt(1)
	v_pk_fma_f16 v19, v13, v11, v20
	v_pk_fma_f16 v13, v13, v1, v9
	v_add_nc_u32_e32 v23, 0x5000, v70
	v_pk_fma_f16 v21, v14, v11, v17
	ds_read_b128 v[9:12], v84 offset:320
	v_mul_u32_u24_sdwa v2, v2, v93 dst_sel:DWORD dst_unused:UNUSED_PAD src0_sel:WORD_1 src1_sel:DWORD
	v_pk_fma_f16 v1, v14, v1, v18
	v_pk_fma_f16 v14, v15, v22, v19
	ds_read2_b64 v[17:20], v23 offset1:32
	v_pk_fma_f16 v21, v16, v22, v21
	v_pk_fma_f16 v13, v15, v2, v13
	v_mul_u32_u24_sdwa v15, v3, v93 dst_sel:DWORD dst_unused:UNUSED_PAD src0_sel:WORD_0 src1_sel:DWORD
	v_mul_u32_u24_sdwa v3, v3, v93 dst_sel:DWORD dst_unused:UNUSED_PAD src0_sel:WORD_1 src1_sel:DWORD
	v_pk_fma_f16 v1, v16, v2, v1
	v_mul_u32_u24_sdwa v22, v4, v93 dst_sel:DWORD dst_unused:UNUSED_PAD src0_sel:WORD_0 src1_sel:DWORD
	s_waitcnt lgkmcnt(2)
	v_pk_fma_f16 v2, v5, v15, v14
	v_pk_fma_f16 v5, v5, v3, v13
	;; [unrolled: 1-line block ×4, first 2 shown]
	ds_read2_b64 v[13:16], v23 offset0:64 offset1:96
	v_pk_fma_f16 v25, v7, v22, v2
	v_pk_fma_f16 v5, v7, v24, v5
	ds_read_b128 v[1:4], v84 offset:336
	s_waitcnt lgkmcnt(3)
	v_mul_u32_u24_sdwa v7, v9, v93 dst_sel:DWORD dst_unused:UNUSED_PAD src0_sel:WORD_0 src1_sel:DWORD
	v_mul_u32_u24_sdwa v9, v9, v93 dst_sel:DWORD dst_unused:UNUSED_PAD src0_sel:WORD_1 src1_sel:DWORD
	v_pk_fma_f16 v21, v8, v22, v21
	v_pk_fma_f16 v6, v8, v24, v6
	v_mul_u32_u24_sdwa v22, v11, v93 dst_sel:DWORD dst_unused:UNUSED_PAD src0_sel:WORD_0 src1_sel:DWORD
	s_waitcnt lgkmcnt(2)
	v_pk_fma_f16 v8, v17, v7, v25
	v_pk_fma_f16 v5, v17, v9, v5
	v_mul_u32_u24_sdwa v17, v10, v93 dst_sel:DWORD dst_unused:UNUSED_PAD src0_sel:WORD_0 src1_sel:DWORD
	v_mul_u32_u24_sdwa v10, v10, v93 dst_sel:DWORD dst_unused:UNUSED_PAD src0_sel:WORD_1 src1_sel:DWORD
	v_pk_fma_f16 v21, v18, v7, v21
	v_pk_fma_f16 v9, v18, v9, v6
	v_mul_u32_u24_sdwa v11, v11, v93 dst_sel:DWORD dst_unused:UNUSED_PAD src0_sel:WORD_1 src1_sel:DWORD
	v_pk_fma_f16 v18, v19, v17, v8
	v_pk_fma_f16 v19, v19, v10, v5
	ds_read2_b64 v[5:8], v23 offset0:128 offset1:160
	v_pk_fma_f16 v17, v20, v17, v21
	v_pk_fma_f16 v9, v20, v10, v9
	s_waitcnt lgkmcnt(2)
	v_pk_fma_f16 v10, v13, v22, v18
	v_pk_fma_f16 v13, v13, v11, v19
	v_mul_u32_u24_sdwa v18, v12, v93 dst_sel:DWORD dst_unused:UNUSED_PAD src0_sel:WORD_0 src1_sel:DWORD
	v_mul_u32_u24_sdwa v19, v12, v93 dst_sel:DWORD dst_unused:UNUSED_PAD src0_sel:WORD_1 src1_sel:DWORD
	v_pk_fma_f16 v17, v14, v22, v17
	v_pk_fma_f16 v14, v14, v11, v9
	s_waitcnt lgkmcnt(1)
	v_mul_u32_u24_sdwa v22, v2, v93 dst_sel:DWORD dst_unused:UNUSED_PAD src0_sel:WORD_0 src1_sel:DWORD
	v_pk_fma_f16 v20, v15, v18, v10
	v_pk_fma_f16 v13, v15, v19, v13
	v_mul_u32_u24_sdwa v15, v1, v93 dst_sel:DWORD dst_unused:UNUSED_PAD src0_sel:WORD_0 src1_sel:DWORD
	v_mul_u32_u24_sdwa v1, v1, v93 dst_sel:DWORD dst_unused:UNUSED_PAD src0_sel:WORD_1 src1_sel:DWORD
	ds_read2_b64 v[9:12], v23 offset0:192 offset1:224
	v_pk_fma_f16 v17, v16, v18, v17
	v_pk_fma_f16 v18, v16, v19, v14
	v_add_nc_u32_e32 v23, 0x5800, v70
	v_mul_u32_u24_sdwa v2, v2, v93 dst_sel:DWORD dst_unused:UNUSED_PAD src0_sel:WORD_1 src1_sel:DWORD
	s_waitcnt lgkmcnt(1)
	v_pk_fma_f16 v19, v5, v15, v20
	v_pk_fma_f16 v5, v5, v1, v13
	;; [unrolled: 1-line block ×3, first 2 shown]
	ds_read_b128 v[13:16], v84 offset:352
	v_pk_fma_f16 v1, v6, v1, v18
	v_pk_fma_f16 v6, v7, v22, v19
	ds_read2_b64 v[17:20], v23 offset1:32
	v_pk_fma_f16 v5, v7, v2, v5
	v_mul_u32_u24_sdwa v7, v3, v93 dst_sel:DWORD dst_unused:UNUSED_PAD src0_sel:WORD_0 src1_sel:DWORD
	v_mul_u32_u24_sdwa v3, v3, v93 dst_sel:DWORD dst_unused:UNUSED_PAD src0_sel:WORD_1 src1_sel:DWORD
	v_pk_fma_f16 v21, v8, v22, v21
	v_pk_fma_f16 v1, v8, v2, v1
	v_mul_u32_u24_sdwa v22, v4, v93 dst_sel:DWORD dst_unused:UNUSED_PAD src0_sel:WORD_1 src1_sel:DWORD
	s_waitcnt lgkmcnt(2)
	v_pk_fma_f16 v2, v9, v7, v6
	v_pk_fma_f16 v5, v9, v3, v5
	v_mul_u32_u24_sdwa v9, v4, v93 dst_sel:DWORD dst_unused:UNUSED_PAD src0_sel:WORD_0 src1_sel:DWORD
	v_pk_fma_f16 v21, v10, v7, v21
	v_pk_fma_f16 v10, v10, v3, v1
	;; [unrolled: 1-line block ×4, first 2 shown]
	ds_read_b128 v[1:4], v84 offset:368
	s_waitcnt lgkmcnt(2)
	v_mul_u32_u24_sdwa v25, v13, v93 dst_sel:DWORD dst_unused:UNUSED_PAD src0_sel:WORD_0 src1_sel:DWORD
	ds_read2_b64 v[5:8], v23 offset0:64 offset1:96
	v_mul_u32_u24_sdwa v13, v13, v93 dst_sel:DWORD dst_unused:UNUSED_PAD src0_sel:WORD_1 src1_sel:DWORD
	v_pk_fma_f16 v9, v12, v9, v21
	v_pk_fma_f16 v10, v12, v22, v10
	s_waitcnt lgkmcnt(2)
	v_pk_fma_f16 v12, v17, v25, v24
	v_mul_u32_u24_sdwa v22, v15, v93 dst_sel:DWORD dst_unused:UNUSED_PAD src0_sel:WORD_0 src1_sel:DWORD
	v_pk_fma_f16 v11, v17, v13, v11
	v_mul_u32_u24_sdwa v17, v14, v93 dst_sel:DWORD dst_unused:UNUSED_PAD src0_sel:WORD_0 src1_sel:DWORD
	v_mul_u32_u24_sdwa v14, v14, v93 dst_sel:DWORD dst_unused:UNUSED_PAD src0_sel:WORD_1 src1_sel:DWORD
	v_pk_fma_f16 v21, v18, v25, v9
	v_pk_fma_f16 v13, v18, v13, v10
	v_mul_u32_u24_sdwa v15, v15, v93 dst_sel:DWORD dst_unused:UNUSED_PAD src0_sel:WORD_1 src1_sel:DWORD
	v_pk_fma_f16 v18, v19, v17, v12
	v_pk_fma_f16 v19, v19, v14, v11
	ds_read2_b64 v[9:12], v23 offset0:128 offset1:160
	v_pk_fma_f16 v17, v20, v17, v21
	v_pk_fma_f16 v13, v20, v14, v13
	s_waitcnt lgkmcnt(1)
	v_pk_fma_f16 v14, v5, v22, v18
	v_pk_fma_f16 v5, v5, v15, v19
	v_mul_u32_u24_sdwa v18, v16, v93 dst_sel:DWORD dst_unused:UNUSED_PAD src0_sel:WORD_0 src1_sel:DWORD
	v_mul_u32_u24_sdwa v19, v16, v93 dst_sel:DWORD dst_unused:UNUSED_PAD src0_sel:WORD_1 src1_sel:DWORD
	v_pk_fma_f16 v17, v6, v22, v17
	v_pk_fma_f16 v6, v6, v15, v13
	v_mul_u32_u24_sdwa v22, v2, v93 dst_sel:DWORD dst_unused:UNUSED_PAD src0_sel:WORD_0 src1_sel:DWORD
	v_pk_fma_f16 v20, v7, v18, v14
	v_pk_fma_f16 v5, v7, v19, v5
	v_mul_u32_u24_sdwa v7, v1, v93 dst_sel:DWORD dst_unused:UNUSED_PAD src0_sel:WORD_0 src1_sel:DWORD
	v_mul_u32_u24_sdwa v1, v1, v93 dst_sel:DWORD dst_unused:UNUSED_PAD src0_sel:WORD_1 src1_sel:DWORD
	ds_read2_b64 v[13:16], v23 offset0:192 offset1:224
	v_pk_fma_f16 v17, v8, v18, v17
	v_pk_fma_f16 v18, v8, v19, v6
	s_waitcnt lgkmcnt(1)
	v_pk_fma_f16 v19, v9, v7, v20
	v_pk_fma_f16 v9, v9, v1, v5
	v_add_nc_u32_e32 v23, 0x6000, v70
	v_pk_fma_f16 v21, v10, v7, v17
	ds_read_b128 v[5:8], v84 offset:384
	v_mul_u32_u24_sdwa v2, v2, v93 dst_sel:DWORD dst_unused:UNUSED_PAD src0_sel:WORD_1 src1_sel:DWORD
	v_pk_fma_f16 v1, v10, v1, v18
	v_pk_fma_f16 v10, v11, v22, v19
	ds_read2_b64 v[17:20], v23 offset1:32
	v_pk_fma_f16 v21, v12, v22, v21
	v_pk_fma_f16 v9, v11, v2, v9
	v_mul_u32_u24_sdwa v11, v3, v93 dst_sel:DWORD dst_unused:UNUSED_PAD src0_sel:WORD_0 src1_sel:DWORD
	v_mul_u32_u24_sdwa v3, v3, v93 dst_sel:DWORD dst_unused:UNUSED_PAD src0_sel:WORD_1 src1_sel:DWORD
	v_pk_fma_f16 v1, v12, v2, v1
	v_mul_u32_u24_sdwa v22, v4, v93 dst_sel:DWORD dst_unused:UNUSED_PAD src0_sel:WORD_1 src1_sel:DWORD
	s_waitcnt lgkmcnt(2)
	v_pk_fma_f16 v2, v13, v11, v10
	v_pk_fma_f16 v9, v13, v3, v9
	v_mul_u32_u24_sdwa v13, v4, v93 dst_sel:DWORD dst_unused:UNUSED_PAD src0_sel:WORD_0 src1_sel:DWORD
	v_pk_fma_f16 v21, v14, v11, v21
	v_pk_fma_f16 v14, v14, v3, v1
	;; [unrolled: 1-line block ×4, first 2 shown]
	ds_read_b128 v[1:4], v84 offset:400
	s_waitcnt lgkmcnt(2)
	v_mul_u32_u24_sdwa v25, v5, v93 dst_sel:DWORD dst_unused:UNUSED_PAD src0_sel:WORD_0 src1_sel:DWORD
	ds_read2_b64 v[9:12], v23 offset0:64 offset1:96
	v_mul_u32_u24_sdwa v5, v5, v93 dst_sel:DWORD dst_unused:UNUSED_PAD src0_sel:WORD_1 src1_sel:DWORD
	v_pk_fma_f16 v13, v16, v13, v21
	v_pk_fma_f16 v14, v16, v22, v14
	s_waitcnt lgkmcnt(2)
	v_pk_fma_f16 v16, v17, v25, v24
	v_mul_u32_u24_sdwa v22, v7, v93 dst_sel:DWORD dst_unused:UNUSED_PAD src0_sel:WORD_0 src1_sel:DWORD
	v_pk_fma_f16 v15, v17, v5, v15
	v_mul_u32_u24_sdwa v17, v6, v93 dst_sel:DWORD dst_unused:UNUSED_PAD src0_sel:WORD_0 src1_sel:DWORD
	v_mul_u32_u24_sdwa v6, v6, v93 dst_sel:DWORD dst_unused:UNUSED_PAD src0_sel:WORD_1 src1_sel:DWORD
	v_pk_fma_f16 v21, v18, v25, v13
	v_pk_fma_f16 v5, v18, v5, v14
	v_mul_u32_u24_sdwa v7, v7, v93 dst_sel:DWORD dst_unused:UNUSED_PAD src0_sel:WORD_1 src1_sel:DWORD
	v_pk_fma_f16 v18, v19, v17, v16
	v_pk_fma_f16 v19, v19, v6, v15
	ds_read2_b64 v[13:16], v23 offset0:128 offset1:160
	v_pk_fma_f16 v17, v20, v17, v21
	v_pk_fma_f16 v5, v20, v6, v5
	s_waitcnt lgkmcnt(2)
	v_mul_u32_u24_sdwa v24, v4, v93 dst_sel:DWORD dst_unused:UNUSED_PAD src0_sel:WORD_1 src1_sel:DWORD
	s_waitcnt lgkmcnt(1)
	v_pk_fma_f16 v6, v9, v22, v18
	v_pk_fma_f16 v9, v9, v7, v19
	v_mul_u32_u24_sdwa v18, v8, v93 dst_sel:DWORD dst_unused:UNUSED_PAD src0_sel:WORD_0 src1_sel:DWORD
	v_mul_u32_u24_sdwa v19, v8, v93 dst_sel:DWORD dst_unused:UNUSED_PAD src0_sel:WORD_1 src1_sel:DWORD
	v_pk_fma_f16 v17, v10, v22, v17
	v_pk_fma_f16 v10, v10, v7, v5
	v_mul_u32_u24_sdwa v22, v2, v93 dst_sel:DWORD dst_unused:UNUSED_PAD src0_sel:WORD_0 src1_sel:DWORD
	v_pk_fma_f16 v20, v11, v18, v6
	v_pk_fma_f16 v9, v11, v19, v9
	v_mul_u32_u24_sdwa v11, v1, v93 dst_sel:DWORD dst_unused:UNUSED_PAD src0_sel:WORD_0 src1_sel:DWORD
	v_mul_u32_u24_sdwa v1, v1, v93 dst_sel:DWORD dst_unused:UNUSED_PAD src0_sel:WORD_1 src1_sel:DWORD
	ds_read2_b64 v[5:8], v23 offset0:192 offset1:224
	v_pk_fma_f16 v17, v12, v18, v17
	v_pk_fma_f16 v18, v12, v19, v10
	s_waitcnt lgkmcnt(1)
	v_pk_fma_f16 v19, v13, v11, v20
	v_pk_fma_f16 v13, v13, v1, v9
	v_add_nc_u32_e32 v23, 0x6800, v70
	v_pk_fma_f16 v21, v14, v11, v17
	ds_read_b128 v[9:12], v84 offset:416
	v_mul_u32_u24_sdwa v2, v2, v93 dst_sel:DWORD dst_unused:UNUSED_PAD src0_sel:WORD_1 src1_sel:DWORD
	v_pk_fma_f16 v1, v14, v1, v18
	v_pk_fma_f16 v14, v15, v22, v19
	ds_read2_b64 v[17:20], v23 offset1:32
	v_pk_fma_f16 v21, v16, v22, v21
	v_pk_fma_f16 v13, v15, v2, v13
	v_mul_u32_u24_sdwa v15, v3, v93 dst_sel:DWORD dst_unused:UNUSED_PAD src0_sel:WORD_0 src1_sel:DWORD
	v_mul_u32_u24_sdwa v3, v3, v93 dst_sel:DWORD dst_unused:UNUSED_PAD src0_sel:WORD_1 src1_sel:DWORD
	v_pk_fma_f16 v1, v16, v2, v1
	v_mul_u32_u24_sdwa v22, v4, v93 dst_sel:DWORD dst_unused:UNUSED_PAD src0_sel:WORD_0 src1_sel:DWORD
	s_waitcnt lgkmcnt(2)
	v_pk_fma_f16 v2, v5, v15, v14
	v_pk_fma_f16 v5, v5, v3, v13
	;; [unrolled: 1-line block ×4, first 2 shown]
	ds_read2_b64 v[13:16], v23 offset0:64 offset1:96
	v_pk_fma_f16 v25, v7, v22, v2
	v_pk_fma_f16 v5, v7, v24, v5
	ds_read_b128 v[1:4], v84 offset:432
	s_waitcnt lgkmcnt(3)
	v_mul_u32_u24_sdwa v7, v9, v93 dst_sel:DWORD dst_unused:UNUSED_PAD src0_sel:WORD_0 src1_sel:DWORD
	v_mul_u32_u24_sdwa v9, v9, v93 dst_sel:DWORD dst_unused:UNUSED_PAD src0_sel:WORD_1 src1_sel:DWORD
	v_pk_fma_f16 v21, v8, v22, v21
	v_pk_fma_f16 v6, v8, v24, v6
	v_mul_u32_u24_sdwa v22, v11, v93 dst_sel:DWORD dst_unused:UNUSED_PAD src0_sel:WORD_0 src1_sel:DWORD
	s_waitcnt lgkmcnt(2)
	v_pk_fma_f16 v8, v17, v7, v25
	v_pk_fma_f16 v5, v17, v9, v5
	v_mul_u32_u24_sdwa v17, v10, v93 dst_sel:DWORD dst_unused:UNUSED_PAD src0_sel:WORD_0 src1_sel:DWORD
	v_mul_u32_u24_sdwa v10, v10, v93 dst_sel:DWORD dst_unused:UNUSED_PAD src0_sel:WORD_1 src1_sel:DWORD
	v_pk_fma_f16 v21, v18, v7, v21
	v_pk_fma_f16 v9, v18, v9, v6
	v_mul_u32_u24_sdwa v11, v11, v93 dst_sel:DWORD dst_unused:UNUSED_PAD src0_sel:WORD_1 src1_sel:DWORD
	v_pk_fma_f16 v18, v19, v17, v8
	v_pk_fma_f16 v19, v19, v10, v5
	ds_read2_b64 v[5:8], v23 offset0:128 offset1:160
	v_pk_fma_f16 v17, v20, v17, v21
	v_pk_fma_f16 v9, v20, v10, v9
	s_waitcnt lgkmcnt(2)
	v_pk_fma_f16 v10, v13, v22, v18
	v_pk_fma_f16 v13, v13, v11, v19
	v_mul_u32_u24_sdwa v18, v12, v93 dst_sel:DWORD dst_unused:UNUSED_PAD src0_sel:WORD_0 src1_sel:DWORD
	v_mul_u32_u24_sdwa v19, v12, v93 dst_sel:DWORD dst_unused:UNUSED_PAD src0_sel:WORD_1 src1_sel:DWORD
	v_pk_fma_f16 v17, v14, v22, v17
	v_pk_fma_f16 v14, v14, v11, v9
	s_waitcnt lgkmcnt(1)
	v_mul_u32_u24_sdwa v22, v2, v93 dst_sel:DWORD dst_unused:UNUSED_PAD src0_sel:WORD_0 src1_sel:DWORD
	v_pk_fma_f16 v20, v15, v18, v10
	v_pk_fma_f16 v13, v15, v19, v13
	v_mul_u32_u24_sdwa v15, v1, v93 dst_sel:DWORD dst_unused:UNUSED_PAD src0_sel:WORD_0 src1_sel:DWORD
	v_mul_u32_u24_sdwa v1, v1, v93 dst_sel:DWORD dst_unused:UNUSED_PAD src0_sel:WORD_1 src1_sel:DWORD
	ds_read2_b64 v[9:12], v23 offset0:192 offset1:224
	v_pk_fma_f16 v17, v16, v18, v17
	v_pk_fma_f16 v18, v16, v19, v14
	v_add_nc_u32_e32 v23, 0x7000, v70
	v_mul_u32_u24_sdwa v2, v2, v93 dst_sel:DWORD dst_unused:UNUSED_PAD src0_sel:WORD_1 src1_sel:DWORD
	s_waitcnt lgkmcnt(1)
	v_pk_fma_f16 v19, v5, v15, v20
	v_pk_fma_f16 v5, v5, v1, v13
	;; [unrolled: 1-line block ×3, first 2 shown]
	ds_read_b128 v[13:16], v84 offset:448
	v_pk_fma_f16 v1, v6, v1, v18
	v_pk_fma_f16 v6, v7, v22, v19
	ds_read2_b64 v[17:20], v23 offset1:32
	v_pk_fma_f16 v5, v7, v2, v5
	v_mul_u32_u24_sdwa v7, v3, v93 dst_sel:DWORD dst_unused:UNUSED_PAD src0_sel:WORD_0 src1_sel:DWORD
	v_mul_u32_u24_sdwa v3, v3, v93 dst_sel:DWORD dst_unused:UNUSED_PAD src0_sel:WORD_1 src1_sel:DWORD
	v_pk_fma_f16 v21, v8, v22, v21
	v_pk_fma_f16 v1, v8, v2, v1
	v_mul_u32_u24_sdwa v22, v4, v93 dst_sel:DWORD dst_unused:UNUSED_PAD src0_sel:WORD_1 src1_sel:DWORD
	s_waitcnt lgkmcnt(2)
	v_pk_fma_f16 v2, v9, v7, v6
	v_pk_fma_f16 v5, v9, v3, v5
	v_mul_u32_u24_sdwa v9, v4, v93 dst_sel:DWORD dst_unused:UNUSED_PAD src0_sel:WORD_0 src1_sel:DWORD
	v_pk_fma_f16 v21, v10, v7, v21
	v_pk_fma_f16 v10, v10, v3, v1
	;; [unrolled: 1-line block ×4, first 2 shown]
	ds_read_b128 v[1:4], v84 offset:464
	s_waitcnt lgkmcnt(2)
	v_mul_u32_u24_sdwa v25, v13, v93 dst_sel:DWORD dst_unused:UNUSED_PAD src0_sel:WORD_0 src1_sel:DWORD
	ds_read2_b64 v[5:8], v23 offset0:64 offset1:96
	v_mul_u32_u24_sdwa v13, v13, v93 dst_sel:DWORD dst_unused:UNUSED_PAD src0_sel:WORD_1 src1_sel:DWORD
	v_pk_fma_f16 v9, v12, v9, v21
	v_pk_fma_f16 v10, v12, v22, v10
	s_waitcnt lgkmcnt(2)
	v_pk_fma_f16 v12, v17, v25, v24
	v_mul_u32_u24_sdwa v22, v15, v93 dst_sel:DWORD dst_unused:UNUSED_PAD src0_sel:WORD_0 src1_sel:DWORD
	v_pk_fma_f16 v11, v17, v13, v11
	v_mul_u32_u24_sdwa v17, v14, v93 dst_sel:DWORD dst_unused:UNUSED_PAD src0_sel:WORD_0 src1_sel:DWORD
	v_mul_u32_u24_sdwa v14, v14, v93 dst_sel:DWORD dst_unused:UNUSED_PAD src0_sel:WORD_1 src1_sel:DWORD
	v_pk_fma_f16 v21, v18, v25, v9
	v_pk_fma_f16 v13, v18, v13, v10
	v_mul_u32_u24_sdwa v15, v15, v93 dst_sel:DWORD dst_unused:UNUSED_PAD src0_sel:WORD_1 src1_sel:DWORD
	v_pk_fma_f16 v18, v19, v17, v12
	v_pk_fma_f16 v19, v19, v14, v11
	ds_read2_b64 v[9:12], v23 offset0:128 offset1:160
	v_pk_fma_f16 v17, v20, v17, v21
	v_pk_fma_f16 v13, v20, v14, v13
	v_add_nc_u32_e32 v25, 0x7800, v70
	s_waitcnt lgkmcnt(1)
	v_pk_fma_f16 v14, v5, v22, v18
	v_pk_fma_f16 v5, v5, v15, v19
	v_mul_u32_u24_sdwa v18, v16, v93 dst_sel:DWORD dst_unused:UNUSED_PAD src0_sel:WORD_0 src1_sel:DWORD
	v_mul_u32_u24_sdwa v19, v16, v93 dst_sel:DWORD dst_unused:UNUSED_PAD src0_sel:WORD_1 src1_sel:DWORD
	v_pk_fma_f16 v17, v6, v22, v17
	v_pk_fma_f16 v6, v6, v15, v13
	v_mul_u32_u24_sdwa v22, v2, v93 dst_sel:DWORD dst_unused:UNUSED_PAD src0_sel:WORD_0 src1_sel:DWORD
	v_pk_fma_f16 v20, v7, v18, v14
	v_pk_fma_f16 v5, v7, v19, v5
	v_mul_u32_u24_sdwa v7, v1, v93 dst_sel:DWORD dst_unused:UNUSED_PAD src0_sel:WORD_0 src1_sel:DWORD
	v_mul_u32_u24_sdwa v1, v1, v93 dst_sel:DWORD dst_unused:UNUSED_PAD src0_sel:WORD_1 src1_sel:DWORD
	ds_read2_b64 v[13:16], v23 offset0:192 offset1:224
	v_pk_fma_f16 v17, v8, v18, v17
	v_pk_fma_f16 v6, v8, v19, v6
	s_waitcnt lgkmcnt(1)
	v_pk_fma_f16 v18, v9, v7, v20
	v_pk_fma_f16 v9, v9, v1, v5
	v_mul_u32_u24_sdwa v2, v2, v93 dst_sel:DWORD dst_unused:UNUSED_PAD src0_sel:WORD_1 src1_sel:DWORD
	v_pk_fma_f16 v21, v10, v7, v17
	v_pk_fma_f16 v1, v10, v1, v6
	ds_read_b128 v[5:8], v84 offset:480
	v_pk_fma_f16 v10, v11, v22, v18
	ds_read2_b64 v[17:20], v25 offset1:32
	v_pk_fma_f16 v9, v11, v2, v9
	v_mul_u32_u24_sdwa v11, v3, v93 dst_sel:DWORD dst_unused:UNUSED_PAD src0_sel:WORD_0 src1_sel:DWORD
	v_mul_u32_u24_sdwa v3, v3, v93 dst_sel:DWORD dst_unused:UNUSED_PAD src0_sel:WORD_1 src1_sel:DWORD
	v_add_f32_e32 v23, v108, v110
	v_pk_fma_f16 v21, v12, v22, v21
	v_pk_fma_f16 v1, v12, v2, v1
	v_add_f32_e32 v26, v109, v23
	s_waitcnt lgkmcnt(2)
	v_pk_fma_f16 v2, v13, v11, v10
	v_pk_fma_f16 v9, v13, v3, v9
	v_mul_u32_u24_sdwa v13, v4, v93 dst_sel:DWORD dst_unused:UNUSED_PAD src0_sel:WORD_0 src1_sel:DWORD
	v_mul_u32_u24_sdwa v4, v4, v93 dst_sel:DWORD dst_unused:UNUSED_PAD src0_sel:WORD_1 src1_sel:DWORD
	v_pk_fma_f16 v27, v14, v11, v21
	v_pk_fma_f16 v3, v14, v3, v1
	ds_read2_b64 v[21:24], v25 offset0:64 offset1:96
	v_pk_fma_f16 v2, v15, v13, v2
	v_pk_fma_f16 v14, v15, v4, v9
	ds_read_b128 v[9:12], v84 offset:496
	s_waitcnt lgkmcnt(3)
	v_mul_u32_u24_sdwa v15, v5, v93 dst_sel:DWORD dst_unused:UNUSED_PAD src0_sel:WORD_0 src1_sel:DWORD
	v_mul_u32_u24_sdwa v5, v5, v93 dst_sel:DWORD dst_unused:UNUSED_PAD src0_sel:WORD_1 src1_sel:DWORD
	v_pk_fma_f16 v13, v16, v13, v27
	v_pk_fma_f16 v3, v16, v4, v3
	v_add_f32_e32 v1, v107, v26
	s_waitcnt lgkmcnt(2)
	v_pk_fma_f16 v2, v17, v15, v2
	v_pk_fma_f16 v4, v17, v5, v14
	v_mul_u32_u24_sdwa v14, v6, v93 dst_sel:DWORD dst_unused:UNUSED_PAD src0_sel:WORD_0 src1_sel:DWORD
	v_mul_u32_u24_sdwa v6, v6, v93 dst_sel:DWORD dst_unused:UNUSED_PAD src0_sel:WORD_1 src1_sel:DWORD
	v_pk_fma_f16 v13, v18, v15, v13
	v_pk_fma_f16 v15, v18, v5, v3
	v_mul_u32_u24_sdwa v18, v7, v93 dst_sel:DWORD dst_unused:UNUSED_PAD src0_sel:WORD_0 src1_sel:DWORD
	v_pk_fma_f16 v16, v19, v14, v2
	v_pk_fma_f16 v17, v19, v6, v4
	ds_read2_b64 v[2:5], v25 offset0:128 offset1:160
	v_mul_u32_u24_sdwa v7, v7, v93 dst_sel:DWORD dst_unused:UNUSED_PAD src0_sel:WORD_1 src1_sel:DWORD
	v_pk_fma_f16 v13, v20, v14, v13
	v_pk_fma_f16 v6, v20, v6, v15
	s_waitcnt lgkmcnt(2)
	v_pk_fma_f16 v14, v21, v18, v16
	v_mul_u32_u24_sdwa v16, v8, v93 dst_sel:DWORD dst_unused:UNUSED_PAD src0_sel:WORD_0 src1_sel:DWORD
	v_pk_fma_f16 v15, v21, v7, v17
	v_mul_u32_u24_sdwa v17, v8, v93 dst_sel:DWORD dst_unused:UNUSED_PAD src0_sel:WORD_1 src1_sel:DWORD
	v_pk_fma_f16 v13, v22, v18, v13
	v_pk_fma_f16 v18, v22, v7, v6
	s_waitcnt lgkmcnt(1)
	v_mul_u32_u24_sdwa v20, v9, v93 dst_sel:DWORD dst_unused:UNUSED_PAD src0_sel:WORD_0 src1_sel:DWORD
	v_mul_u32_u24_sdwa v21, v9, v93 dst_sel:DWORD dst_unused:UNUSED_PAD src0_sel:WORD_1 src1_sel:DWORD
	ds_read2_b64 v[6:9], v25 offset0:192 offset1:224
	s_waitcnt lgkmcnt(0)
	s_barrier
	buffer_gl0_inv
	s_load_dword s18, s[0:1], 0x4
	v_pk_fma_f16 v14, v23, v16, v14
	v_pk_fma_f16 v15, v23, v17, v15
	;; [unrolled: 1-line block ×4, first 2 shown]
	v_add_f32_e32 v19, v113, v114
	v_pk_fma_f16 v14, v2, v20, v14
	v_pk_fma_f16 v2, v2, v21, v15
	v_mul_u32_u24_sdwa v15, v10, v93 dst_sel:DWORD dst_unused:UNUSED_PAD src0_sel:WORD_0 src1_sel:DWORD
	v_mul_u32_u24_sdwa v10, v10, v93 dst_sel:DWORD dst_unused:UNUSED_PAD src0_sel:WORD_1 src1_sel:DWORD
	v_pk_fma_f16 v13, v3, v20, v13
	v_pk_fma_f16 v3, v3, v21, v16
	v_add_f32_e32 v19, v112, v19
	v_pk_fma_f16 v14, v4, v15, v14
	v_pk_fma_f16 v4, v4, v10, v2
	v_mul_u32_u24_sdwa v16, v11, v93 dst_sel:DWORD dst_unused:UNUSED_PAD src0_sel:WORD_0 src1_sel:DWORD
	v_mul_u32_u24_sdwa v11, v11, v93 dst_sel:DWORD dst_unused:UNUSED_PAD src0_sel:WORD_1 src1_sel:DWORD
	v_pk_fma_f16 v13, v5, v15, v13
	v_pk_fma_f16 v3, v5, v10, v3
	;; [unrolled: 7-line block ×3, first 2 shown]
	s_waitcnt lgkmcnt(0)
	s_lshl_b32 s18, s18, 7
	v_fmac_f32_e32 v1, v95, v101
	v_fmac_f32_e32 v2, v94, v100
	v_pk_fma_f16 v97, v8, v6, v5
	v_pk_fma_f16 v96, v8, v10, v4
	;; [unrolled: 1-line block ×4, first 2 shown]
	s_add_i32 s6, s18, s6
	s_cmp_ge_i32 s6, s34
	s_cbranch_scc1 .LBB82_43
; %bb.42:                               ;   in Loop: Header=BB82_9 Depth=1
	v_mov_b32_e32 v101, v67
	v_mov_b32_e32 v100, v68
	;; [unrolled: 1-line block ×4, first 2 shown]
	s_branch .LBB82_9
.LBB82_43:
	v_mov_b32_e32 v4, v72
.LBB82_44:
	v_cmp_lt_i32_e32 vcc_lo, v106, v73
	s_cmp_lg_u64 s[16:17], 0
	s_cselect_b32 s0, -1, 0
	s_cmp_eq_u32 s28, 0
	v_cndmask_b32_e32 v3, v4, v106, vcc_lo
	v_cmp_lt_i32_e32 vcc_lo, v102, v73
	s_cselect_b32 s1, -1, 0
	s_and_b32 s0, s1, s0
	v_lshlrev_b32_e32 v3, 2, v3
	v_cndmask_b32_e32 v6, v4, v102, vcc_lo
	v_cmp_lt_i32_e32 vcc_lo, v103, v73
	ds_bpermute_b32 v5, v3, v1
	ds_bpermute_b32 v3, v3, v2
	v_lshlrev_b32_e32 v6, 2, v6
	s_waitcnt lgkmcnt(1)
	v_add_f32_e32 v1, v1, v5
	s_waitcnt lgkmcnt(0)
	v_add_f32_e32 v2, v2, v3
	ds_bpermute_b32 v3, v6, v1
	ds_bpermute_b32 v5, v6, v2
	v_cndmask_b32_e32 v6, v4, v103, vcc_lo
	v_cmp_lt_i32_e32 vcc_lo, v104, v73
	v_lshlrev_b32_e32 v6, 2, v6
	s_waitcnt lgkmcnt(1)
	v_add_f32_e32 v1, v1, v3
	s_waitcnt lgkmcnt(0)
	v_add_f32_e32 v2, v2, v5
	ds_bpermute_b32 v3, v6, v1
	ds_bpermute_b32 v5, v6, v2
	v_cndmask_b32_e32 v6, v4, v104, vcc_lo
	v_cmp_lt_i32_e32 vcc_lo, v105, v73
	v_lshlrev_b32_e32 v6, 2, v6
	v_cndmask_b32_e32 v4, v4, v105, vcc_lo
	s_and_b32 vcc_lo, exec_lo, s0
	v_lshlrev_b32_e32 v4, 2, v4
	s_waitcnt lgkmcnt(1)
	v_add_f32_e32 v1, v1, v3
	s_waitcnt lgkmcnt(0)
	v_add_f32_e32 v2, v2, v5
	ds_bpermute_b32 v3, v6, v1
	ds_bpermute_b32 v5, v6, v2
	s_waitcnt lgkmcnt(1)
	v_add_f32_e32 v1, v1, v3
	s_waitcnt lgkmcnt(0)
	v_add_f32_e32 v2, v2, v5
	ds_bpermute_b32 v3, v4, v1
	ds_bpermute_b32 v4, v4, v2
	s_waitcnt lgkmcnt(1)
	v_add_f32_e32 v1, v1, v3
	s_waitcnt lgkmcnt(0)
	v_add_f32_e32 v2, v2, v4
	s_cbranch_vccz .LBB82_47
; %bb.45:
	s_ashr_i32 s31, s30, 31
	v_mov_b32_e32 v3, 0
	s_lshl_b64 s[0:1], s[30:31], 2
	v_max_f32_e32 v5, v67, v67
	s_add_u32 s0, s16, s0
	s_addc_u32 s1, s17, s1
	v_max_f32_e32 v7, v68, v68
	global_load_dwordx2 v[3:4], v3, s[0:1]
	s_waitcnt vmcnt(0)
	v_max_f32_e32 v6, v3, v3
	v_max_f32_e32 v8, v4, v4
	;; [unrolled: 1-line block ×4, first 2 shown]
	v_sub_f32_e32 v7, v67, v5
	v_sub_f32_e32 v8, v68, v6
	;; [unrolled: 1-line block ×4, first 2 shown]
	v_mov_b32_e32 v68, v6
	v_mul_f32_e32 v9, 0x3fb8aa3b, v7
	v_mul_f32_e32 v11, 0x3fb8aa3b, v8
	;; [unrolled: 1-line block ×4, first 2 shown]
	v_cmp_ngt_f32_e32 vcc_lo, 0xc2ce8ed0, v7
	v_fma_f32 v13, 0x3fb8aa3b, v7, -v9
	v_rndne_f32_e32 v14, v9
	v_fma_f32 v17, 0x3fb8aa3b, v8, -v11
	v_rndne_f32_e32 v18, v11
	v_fma_f32 v15, 0x3fb8aa3b, v3, -v10
	v_fmac_f32_e32 v13, 0x32a5705f, v7
	v_sub_f32_e32 v9, v9, v14
	v_rndne_f32_e32 v16, v10
	v_fmac_f32_e32 v17, 0x32a5705f, v8
	v_sub_f32_e32 v11, v11, v18
	v_fmac_f32_e32 v15, 0x32a5705f, v3
	v_add_f32_e32 v9, v9, v13
	v_sub_f32_e32 v10, v10, v16
	v_cvt_i32_f32_e32 v13, v14
	v_add_f32_e32 v11, v11, v17
	v_fma_f32 v19, 0x3fb8aa3b, v4, -v12
	v_exp_f32_e32 v9, v9
	v_add_f32_e32 v10, v10, v15
	v_rndne_f32_e32 v20, v12
	v_exp_f32_e32 v11, v11
	v_cvt_i32_f32_e32 v15, v18
	v_fmac_f32_e32 v19, 0x32a5705f, v4
	v_exp_f32_e32 v10, v10
	v_sub_f32_e32 v12, v12, v20
	v_cvt_i32_f32_e32 v14, v16
	v_cvt_i32_f32_e32 v16, v20
	v_ldexp_f32 v9, v9, v13
	v_mov_b32_e32 v17, 0x10001
	v_add_f32_e32 v12, v12, v19
	v_ldexp_f32 v11, v11, v15
	v_mov_b32_e32 v67, v5
	v_cndmask_b32_e32 v9, 0, v9, vcc_lo
	v_cmp_ngt_f32_e32 vcc_lo, 0xc2ce8ed0, v8
	v_ldexp_f32 v10, v10, v14
	v_exp_f32_e32 v12, v12
	v_cndmask_b32_e32 v11, 0, v11, vcc_lo
	v_cmp_ngt_f32_e32 vcc_lo, 0xc2ce8ed0, v3
	v_cndmask_b32_e32 v10, 0, v10, vcc_lo
	v_cmp_nlt_f32_e32 vcc_lo, 0x42b17218, v7
	v_ldexp_f32 v12, v12, v16
	v_cndmask_b32_e32 v7, 0x7f800000, v9, vcc_lo
	v_cmp_nlt_f32_e32 vcc_lo, 0x42b17218, v8
	v_cndmask_b32_e32 v8, 0x7f800000, v11, vcc_lo
	v_cmp_ngt_f32_e32 vcc_lo, 0xc2ce8ed0, v4
	v_cvt_f16_f32_e32 v11, v8
	v_cndmask_b32_e32 v9, 0, v12, vcc_lo
	v_cmp_nlt_f32_e32 vcc_lo, 0x42b17218, v3
	v_mul_u32_u24_sdwa v5, v11, v17 dst_sel:DWORD dst_unused:UNUSED_PAD src0_sel:WORD_0 src1_sel:DWORD
	v_cndmask_b32_e32 v3, 0x7f800000, v10, vcc_lo
	v_cmp_nlt_f32_e32 vcc_lo, 0x42b17218, v4
	v_cvt_f16_f32_e32 v10, v7
	v_pk_mul_f16 v96, v96, v5
	v_pk_mul_f16 v98, v98, v5
	v_fmac_f32_e32 v3, v1, v7
	v_cndmask_b32_e32 v4, 0x7f800000, v9, vcc_lo
	v_mul_u32_u24_sdwa v7, v10, v17 dst_sel:DWORD dst_unused:UNUSED_PAD src0_sel:WORD_0 src1_sel:DWORD
	v_mov_b32_e32 v1, v3
	v_fmac_f32_e32 v4, v2, v8
	v_pk_mul_f16 v97, v97, v7
	v_pk_mul_f16 v99, v99, v7
	v_mov_b32_e32 v2, v4
	s_mov_b32 s0, exec_lo
	v_cmpx_gt_i32_e64 s2, v33
	s_cbranch_execnz .LBB82_48
.LBB82_46:
	s_endpgm
.LBB82_47:
	v_mov_b32_e32 v4, v2
	v_mov_b32_e32 v3, v1
	s_mov_b32 s0, exec_lo
	v_cmpx_gt_i32_e64 s2, v33
	s_cbranch_execz .LBB82_46
.LBB82_48:
	s_load_dword s1, s[4:5], 0xd4
	v_mov_b32_e32 v7, 1.0
	s_waitcnt lgkmcnt(0)
	s_cmp_lg_u32 s1, 1
	s_cselect_b32 s5, -1, 0
	s_cmp_eq_u32 s1, 1
	s_cselect_b32 s4, -1, 0
	s_and_b32 vcc_lo, exec_lo, s5
	s_cbranch_vccnz .LBB82_50
; %bb.49:
	v_div_scale_f32 v5, null, v1, v1, 1.0
	v_rcp_f32_e32 v6, v5
	v_fma_f32 v7, -v5, v6, 1.0
	v_fmac_f32_e32 v6, v7, v6
	v_div_scale_f32 v7, vcc_lo, 1.0, v1, 1.0
	v_mul_f32_e32 v8, v7, v6
	v_fma_f32 v9, -v5, v8, v7
	v_fmac_f32_e32 v8, v9, v6
	v_fma_f32 v5, -v5, v8, v7
	v_div_fmas_f32 v5, v5, v6, v8
	v_div_fixup_f32 v7, v5, v1, 1.0
.LBB82_50:
	v_mad_u64_u32 v[5:6], null, s7, s2, v[33:34]
	v_cmp_eq_u32_e32 vcc_lo, 0, v0
	v_mov_b32_e32 v1, 0
	v_cvt_f32_f16_sdwa v9, v97 dst_sel:DWORD dst_unused:UNUSED_PAD src0_sel:WORD_1
	v_cvt_f32_f16_e32 v10, v99
	v_cvt_f32_f16_sdwa v11, v99 dst_sel:DWORD dst_unused:UNUSED_PAD src0_sel:WORD_1
	v_mad_u64_u32 v[5:6], null, v5, s3, s[30:31]
	v_mul_f32_e32 v9, v7, v9
	v_mul_f32_e32 v10, v7, v10
	;; [unrolled: 1-line block ×3, first 2 shown]
	v_mad_u64_u32 v[5:6], null, s1, v5, s[28:29]
	v_cvt_f32_f16_e32 v6, v97
	v_mul_f32_e32 v8, v7, v6
	v_lshl_add_u32 v0, v5, 7, v69
	v_lshlrev_b64 v[0:1], 2, v[0:1]
	v_add_co_u32 v0, s0, s20, v0
	v_add_co_ci_u32_e64 v1, null, s21, v1, s0
	s_and_b32 s0, vcc_lo, s5
	global_store_dwordx4 v[0:1], v[8:11], off
	s_and_saveexec_b32 s2, s0
	s_cbranch_execz .LBB82_52
; %bb.51:
	v_ashrrev_i32_e32 v6, 31, v5
	v_mov_b32_e32 v7, v3
	v_lshlrev_b64 v[0:1], 3, v[5:6]
	v_mov_b32_e32 v6, v67
	v_add_co_u32 v0, vcc_lo, s22, v0
	v_add_co_ci_u32_e64 v1, null, s23, v1, vcc_lo
	global_store_dwordx2 v[0:1], v[6:7], off
.LBB82_52:
	s_or_b32 exec_lo, exec_lo, s2
	v_mov_b32_e32 v1, 1.0
	s_andn2_b32 vcc_lo, exec_lo, s4
	s_cbranch_vccnz .LBB82_54
; %bb.53:
	v_div_scale_f32 v0, null, v2, v2, 1.0
	v_rcp_f32_e32 v1, v0
	v_fma_f32 v3, -v0, v1, 1.0
	v_fmac_f32_e32 v1, v3, v1
	v_div_scale_f32 v3, vcc_lo, 1.0, v2, 1.0
	v_mul_f32_e32 v6, v3, v1
	v_fma_f32 v7, -v0, v6, v3
	v_fmac_f32_e32 v6, v7, v1
	v_fma_f32 v0, -v0, v6, v3
	v_div_fmas_f32 v0, v0, v1, v6
	v_div_fixup_f32 v1, v0, v2, 1.0
.LBB82_54:
	v_add_nc_u32_e32 v0, s1, v5
	v_mov_b32_e32 v3, 0
	v_cvt_f32_f16_e32 v5, v96
	v_cvt_f32_f16_sdwa v6, v96 dst_sel:DWORD dst_unused:UNUSED_PAD src0_sel:WORD_1
	v_cvt_f32_f16_e32 v7, v98
	v_lshl_add_u32 v2, v0, 7, v69
	v_cvt_f32_f16_sdwa v8, v98 dst_sel:DWORD dst_unused:UNUSED_PAD src0_sel:WORD_1
	v_mul_f32_e32 v5, v1, v5
	v_mul_f32_e32 v6, v1, v6
	;; [unrolled: 1-line block ×3, first 2 shown]
	v_lshlrev_b64 v[2:3], 2, v[2:3]
	v_mul_f32_e32 v8, v1, v8
	v_add_co_u32 v1, vcc_lo, s20, v2
	v_add_co_ci_u32_e64 v2, null, s21, v3, vcc_lo
	global_store_dwordx4 v[1:2], v[5:8], off
	s_and_b32 exec_lo, exec_lo, s0
	s_cbranch_execz .LBB82_46
; %bb.55:
	v_ashrrev_i32_e32 v1, 31, v0
	v_mov_b32_e32 v3, v68
	v_lshlrev_b64 v[0:1], 3, v[0:1]
	v_add_co_u32 v0, vcc_lo, s22, v0
	v_add_co_ci_u32_e64 v1, null, s23, v1, vcc_lo
	global_store_dwordx2 v[0:1], v[3:4], off
	s_endpgm
	.section	.rodata,"a",@progbits
	.p2align	6, 0x0
	.amdhsa_kernel _ZL15flash_attn_tileILi128ELi128ELi8ELi2ELb1EEvPKcS1_S1_S1_S1_PKiPfP15HIP_vector_typeIfLj2EEffffjfiS5_IjLj3EEiiiiiiiiiiiliiliiiiil
		.amdhsa_group_segment_fixed_size 43008
		.amdhsa_private_segment_fixed_size 0
		.amdhsa_kernarg_size 464
		.amdhsa_user_sgpr_count 6
		.amdhsa_user_sgpr_private_segment_buffer 1
		.amdhsa_user_sgpr_dispatch_ptr 0
		.amdhsa_user_sgpr_queue_ptr 0
		.amdhsa_user_sgpr_kernarg_segment_ptr 1
		.amdhsa_user_sgpr_dispatch_id 0
		.amdhsa_user_sgpr_flat_scratch_init 0
		.amdhsa_user_sgpr_private_segment_size 0
		.amdhsa_wavefront_size32 1
		.amdhsa_uses_dynamic_stack 0
		.amdhsa_system_sgpr_private_segment_wavefront_offset 0
		.amdhsa_system_sgpr_workgroup_id_x 1
		.amdhsa_system_sgpr_workgroup_id_y 1
		.amdhsa_system_sgpr_workgroup_id_z 1
		.amdhsa_system_sgpr_workgroup_info 0
		.amdhsa_system_vgpr_workitem_id 1
		.amdhsa_next_free_vgpr 235
		.amdhsa_next_free_sgpr 40
		.amdhsa_reserve_vcc 1
		.amdhsa_reserve_flat_scratch 0
		.amdhsa_float_round_mode_32 0
		.amdhsa_float_round_mode_16_64 0
		.amdhsa_float_denorm_mode_32 3
		.amdhsa_float_denorm_mode_16_64 3
		.amdhsa_dx10_clamp 1
		.amdhsa_ieee_mode 1
		.amdhsa_fp16_overflow 0
		.amdhsa_workgroup_processor_mode 1
		.amdhsa_memory_ordered 1
		.amdhsa_forward_progress 1
		.amdhsa_shared_vgpr_count 0
		.amdhsa_exception_fp_ieee_invalid_op 0
		.amdhsa_exception_fp_denorm_src 0
		.amdhsa_exception_fp_ieee_div_zero 0
		.amdhsa_exception_fp_ieee_overflow 0
		.amdhsa_exception_fp_ieee_underflow 0
		.amdhsa_exception_fp_ieee_inexact 0
		.amdhsa_exception_int_div_zero 0
	.end_amdhsa_kernel
	.section	.text._ZL15flash_attn_tileILi128ELi128ELi8ELi2ELb1EEvPKcS1_S1_S1_S1_PKiPfP15HIP_vector_typeIfLj2EEffffjfiS5_IjLj3EEiiiiiiiiiiiliiliiiiil,"axG",@progbits,_ZL15flash_attn_tileILi128ELi128ELi8ELi2ELb1EEvPKcS1_S1_S1_S1_PKiPfP15HIP_vector_typeIfLj2EEffffjfiS5_IjLj3EEiiiiiiiiiiiliiliiiiil,comdat
.Lfunc_end82:
	.size	_ZL15flash_attn_tileILi128ELi128ELi8ELi2ELb1EEvPKcS1_S1_S1_S1_PKiPfP15HIP_vector_typeIfLj2EEffffjfiS5_IjLj3EEiiiiiiiiiiiliiliiiiil, .Lfunc_end82-_ZL15flash_attn_tileILi128ELi128ELi8ELi2ELb1EEvPKcS1_S1_S1_S1_PKiPfP15HIP_vector_typeIfLj2EEffffjfiS5_IjLj3EEiiiiiiiiiiiliiliiiiil
                                        ; -- End function
	.set _ZL15flash_attn_tileILi128ELi128ELi8ELi2ELb1EEvPKcS1_S1_S1_S1_PKiPfP15HIP_vector_typeIfLj2EEffffjfiS5_IjLj3EEiiiiiiiiiiiliiliiiiil.num_vgpr, 235
	.set _ZL15flash_attn_tileILi128ELi128ELi8ELi2ELb1EEvPKcS1_S1_S1_S1_PKiPfP15HIP_vector_typeIfLj2EEffffjfiS5_IjLj3EEiiiiiiiiiiiliiliiiiil.num_agpr, 0
	.set _ZL15flash_attn_tileILi128ELi128ELi8ELi2ELb1EEvPKcS1_S1_S1_S1_PKiPfP15HIP_vector_typeIfLj2EEffffjfiS5_IjLj3EEiiiiiiiiiiiliiliiiiil.numbered_sgpr, 40
	.set _ZL15flash_attn_tileILi128ELi128ELi8ELi2ELb1EEvPKcS1_S1_S1_S1_PKiPfP15HIP_vector_typeIfLj2EEffffjfiS5_IjLj3EEiiiiiiiiiiiliiliiiiil.num_named_barrier, 0
	.set _ZL15flash_attn_tileILi128ELi128ELi8ELi2ELb1EEvPKcS1_S1_S1_S1_PKiPfP15HIP_vector_typeIfLj2EEffffjfiS5_IjLj3EEiiiiiiiiiiiliiliiiiil.private_seg_size, 0
	.set _ZL15flash_attn_tileILi128ELi128ELi8ELi2ELb1EEvPKcS1_S1_S1_S1_PKiPfP15HIP_vector_typeIfLj2EEffffjfiS5_IjLj3EEiiiiiiiiiiiliiliiiiil.uses_vcc, 1
	.set _ZL15flash_attn_tileILi128ELi128ELi8ELi2ELb1EEvPKcS1_S1_S1_S1_PKiPfP15HIP_vector_typeIfLj2EEffffjfiS5_IjLj3EEiiiiiiiiiiiliiliiiiil.uses_flat_scratch, 0
	.set _ZL15flash_attn_tileILi128ELi128ELi8ELi2ELb1EEvPKcS1_S1_S1_S1_PKiPfP15HIP_vector_typeIfLj2EEffffjfiS5_IjLj3EEiiiiiiiiiiiliiliiiiil.has_dyn_sized_stack, 0
	.set _ZL15flash_attn_tileILi128ELi128ELi8ELi2ELb1EEvPKcS1_S1_S1_S1_PKiPfP15HIP_vector_typeIfLj2EEffffjfiS5_IjLj3EEiiiiiiiiiiiliiliiiiil.has_recursion, 0
	.set _ZL15flash_attn_tileILi128ELi128ELi8ELi2ELb1EEvPKcS1_S1_S1_S1_PKiPfP15HIP_vector_typeIfLj2EEffffjfiS5_IjLj3EEiiiiiiiiiiiliiliiiiil.has_indirect_call, 0
	.section	.AMDGPU.csdata,"",@progbits
; Kernel info:
; codeLenInByte = 26008
; TotalNumSgprs: 42
; NumVgprs: 235
; ScratchSize: 0
; MemoryBound: 0
; FloatMode: 240
; IeeeMode: 1
; LDSByteSize: 43008 bytes/workgroup (compile time only)
; SGPRBlocks: 0
; VGPRBlocks: 29
; NumSGPRsForWavesPerEU: 42
; NumVGPRsForWavesPerEU: 235
; Occupancy: 4
; WaveLimiterHint : 1
; COMPUTE_PGM_RSRC2:SCRATCH_EN: 0
; COMPUTE_PGM_RSRC2:USER_SGPR: 6
; COMPUTE_PGM_RSRC2:TRAP_HANDLER: 0
; COMPUTE_PGM_RSRC2:TGID_X_EN: 1
; COMPUTE_PGM_RSRC2:TGID_Y_EN: 1
; COMPUTE_PGM_RSRC2:TGID_Z_EN: 1
; COMPUTE_PGM_RSRC2:TIDIG_COMP_CNT: 1
	.section	.text._ZL15flash_attn_tileILi128ELi128ELi4ELi2ELb1EEvPKcS1_S1_S1_S1_PKiPfP15HIP_vector_typeIfLj2EEffffjfiS5_IjLj3EEiiiiiiiiiiiliiliiiiil,"axG",@progbits,_ZL15flash_attn_tileILi128ELi128ELi4ELi2ELb1EEvPKcS1_S1_S1_S1_PKiPfP15HIP_vector_typeIfLj2EEffffjfiS5_IjLj3EEiiiiiiiiiiiliiliiiiil,comdat
	.globl	_ZL15flash_attn_tileILi128ELi128ELi4ELi2ELb1EEvPKcS1_S1_S1_S1_PKiPfP15HIP_vector_typeIfLj2EEffffjfiS5_IjLj3EEiiiiiiiiiiiliiliiiiil ; -- Begin function _ZL15flash_attn_tileILi128ELi128ELi4ELi2ELb1EEvPKcS1_S1_S1_S1_PKiPfP15HIP_vector_typeIfLj2EEffffjfiS5_IjLj3EEiiiiiiiiiiiliiliiiiil
	.p2align	8
	.type	_ZL15flash_attn_tileILi128ELi128ELi4ELi2ELb1EEvPKcS1_S1_S1_S1_PKiPfP15HIP_vector_typeIfLj2EEffffjfiS5_IjLj3EEiiiiiiiiiiiliiliiiiil,@function
_ZL15flash_attn_tileILi128ELi128ELi4ELi2ELb1EEvPKcS1_S1_S1_S1_PKiPfP15HIP_vector_typeIfLj2EEffffjfiS5_IjLj3EEiiiiiiiiiiiliiliiiiil: ; @_ZL15flash_attn_tileILi128ELi128ELi4ELi2ELb1EEvPKcS1_S1_S1_S1_PKiPfP15HIP_vector_typeIfLj2EEffffjfiS5_IjLj3EEiiiiiiiiiiiliiliiiiil
; %bb.0:
	s_clause 0x1
	s_load_dwordx4 s[24:27], s[4:5], 0x5c
	s_load_dwordx2 s[34:35], s[4:5], 0x80
	s_mov_b64 s[42:43], s[2:3]
	s_mov_b64 s[40:41], s[0:1]
	s_mov_b32 s28, s7
	s_add_u32 s40, s40, s9
	s_addc_u32 s41, s41, 0
	s_mov_b64 s[36:37], 0
	s_waitcnt lgkmcnt(0)
	s_lshr_b32 s0, s27, 31
	s_add_i32 s0, s27, s0
	s_ashr_i32 s0, s0, 1
	v_cvt_f32_u32_e32 v2, s0
	s_sub_i32 s2, 0, s0
	v_rcp_iflag_f32_e32 v2, v2
	v_mul_f32_e32 v2, 0x4f7ffffe, v2
	v_cvt_u32_f32_e32 v2, v2
	v_readfirstlane_b32 s1, v2
	s_mul_i32 s2, s2, s1
	s_mul_hi_u32 s2, s1, s2
	s_add_i32 s1, s1, s2
	s_mul_hi_u32 s1, s8, s1
	s_mul_i32 s2, s1, s0
	s_add_i32 s3, s1, 1
	s_sub_i32 s2, s8, s2
	s_sub_i32 s7, s2, s0
	s_cmp_ge_u32 s2, s0
	s_cselect_b32 s1, s3, s1
	s_cselect_b32 s2, s7, s2
	s_add_i32 s3, s1, 1
	s_cmp_ge_u32 s2, s0
	s_cselect_b32 s29, s3, s1
	s_abs_i32 s0, s35
	s_lshl_b32 s3, s8, 1
	v_cvt_f32_u32_e32 v2, s0
	s_sub_i32 s2, 0, s0
	s_abs_i32 s8, s27
	s_mul_i32 s7, s29, s27
	v_rcp_iflag_f32_e32 v2, v2
	s_sub_i32 s30, s3, s7
	v_mul_f32_e32 v2, 0x4f7ffffe, v2
	v_cvt_u32_f32_e32 v2, v2
	v_readfirstlane_b32 s1, v2
	s_mul_i32 s2, s2, s1
	s_mul_hi_u32 s2, s1, s2
	s_add_i32 s1, s1, s2
	s_xor_b32 s2, s27, s35
	s_mul_hi_u32 s1, s8, s1
	s_ashr_i32 s2, s2, 31
	s_mul_i32 s3, s1, s0
	s_add_i32 s7, s1, 1
	s_sub_i32 s3, s8, s3
	s_sub_i32 s8, s3, s0
	s_cmp_ge_u32 s3, s0
	s_cselect_b32 s1, s7, s1
	s_cselect_b32 s3, s8, s3
	s_add_i32 s7, s1, 1
	s_cmp_ge_u32 s3, s0
	s_clause 0x1
	s_load_dwordx16 s[8:23], s[4:5], 0x0
	s_load_dwordx2 s[38:39], s[4:5], 0xb8
	s_cselect_b32 s0, s7, s1
	s_xor_b32 s0, s0, s2
	s_sub_i32 s31, s0, s2
	s_abs_i32 s7, s31
	v_cvt_f32_u32_e32 v2, s7
	v_rcp_iflag_f32_e32 v2, v2
	s_waitcnt lgkmcnt(0)
	s_cmp_eq_u64 s[14:15], 0
	v_mul_f32_e32 v2, 0x4f7ffffe, v2
	v_cvt_u32_f32_e32 v2, v2
	v_readfirstlane_b32 s33, v2
	s_cbranch_scc1 .LBB83_2
; %bb.1:
	s_abs_i32 s2, s38
	s_abs_i32 s3, s29
	v_cvt_f32_u32_e32 v2, s2
	s_sub_i32 s1, 0, s2
	v_rcp_iflag_f32_e32 v2, v2
	v_mul_f32_e32 v2, 0x4f7ffffe, v2
	v_cvt_u32_f32_e32 v2, v2
	v_readfirstlane_b32 s0, v2
	s_mul_i32 s1, s1, s0
	s_mul_hi_u32 s1, s0, s1
	s_add_i32 s0, s0, s1
	s_mul_hi_u32 s35, s3, s0
	s_load_dwordx2 s[0:1], s[4:5], 0xc8
	s_mul_i32 s35, s35, s2
	s_sub_i32 s3, s3, s35
	s_ashr_i32 s35, s29, 31
	s_sub_i32 s36, s3, s2
	s_cmp_ge_u32 s3, s2
	s_cselect_b32 s3, s36, s3
	s_sub_i32 s36, s3, s2
	s_cmp_ge_u32 s3, s2
	s_cselect_b32 s2, s36, s3
	s_xor_b32 s2, s2, s35
	s_sub_i32 s2, s2, s35
	s_ashr_i32 s3, s2, 31
	s_waitcnt lgkmcnt(0)
	s_mul_hi_u32 s35, s0, s2
	s_mul_i32 s3, s0, s3
	s_mul_i32 s1, s1, s2
	s_add_i32 s3, s35, s3
	s_mul_i32 s0, s0, s2
	s_add_i32 s3, s3, s1
	s_add_u32 s36, s14, s0
	s_addc_u32 s37, s15, s3
.LBB83_2:
	v_lshl_add_u32 v4, s6, 2, v1
	s_load_dwordx4 s[0:3], s[4:5], 0x70
	v_lshl_add_u32 v94, v1, 9, 0x2400
	v_lshlrev_b32_e32 v95, 3, v0
	v_mul_hi_u32 v2, s24, v4
	v_mov_b32_e32 v3, v4
	v_add_nc_u32_e32 v2, v4, v2
	buffer_store_dword v3, off, s[40:43], 0 offset:8 ; 4-byte Folded Spill
	buffer_store_dword v4, off, s[40:43], 0 offset:12 ; 4-byte Folded Spill
	v_lshrrev_b32_e32 v2, s25, v2
	s_waitcnt lgkmcnt(0)
	s_mul_i32 s3, s29, s2
	s_mul_i32 s14, s30, s1
	v_mul_lo_u32 v2, v2, s26
	s_ashr_i32 s15, s3, 31
	s_add_u32 s3, s8, s3
	s_addc_u32 s8, s9, s15
	s_ashr_i32 s9, s14, 31
	s_add_u32 s14, s3, s14
	s_mov_b32 s2, s0
	s_addc_u32 s15, s8, s9
	s_ashr_i32 s3, s0, 31
	s_lshr_b64 s[8:9], s[2:3], 2
	s_lshr_b32 s0, s3, 2
	v_sub_nc_u32_e32 v2, v4, v2
	v_mad_u64_u32 v[3:4], null, s8, v2, 0
	v_mad_u64_u32 v[4:5], null, s0, v2, v[4:5]
	v_lshlrev_b32_e32 v5, 4, v0
	s_ashr_i32 s0, s1, 31
	s_and_b32 s1, s1, -4
	s_cmp_eq_u64 s[18:19], 0
	v_lshlrev_b64 v[3:4], 2, v[3:4]
	v_add_co_u32 v3, vcc_lo, s14, v3
	v_add_co_ci_u32_e64 v4, null, s15, v4, vcc_lo
	v_add_co_u32 v7, vcc_lo, v3, v5
	v_add_co_ci_u32_e64 v8, null, 0, v4, vcc_lo
	global_load_dwordx4 v[3:6], v[7:8], off
	v_add_co_u32 v7, vcc_lo, v7, s1
	v_add_co_ci_u32_e64 v8, null, s0, v8, vcc_lo
	s_load_dword s0, s[4:5], 0x40
	global_load_dwordx4 v[7:10], v[7:8], off
	s_waitcnt vmcnt(1) lgkmcnt(0)
	v_fma_mixlo_f16 v4, s0, v4, 0
	v_fma_mixlo_f16 v3, s0, v3, 0
	;; [unrolled: 1-line block ×4, first 2 shown]
	v_lshlrev_b32_e32 v4, 16, v4
	v_and_b32_e32 v3, 0xffff, v3
	v_and_b32_e32 v5, 0xffff, v5
	s_waitcnt vmcnt(0)
	v_fma_mixlo_f16 v8, s0, v8, 0
	v_fma_mixlo_f16 v7, s0, v7, 0
	;; [unrolled: 1-line block ×4, first 2 shown]
	v_lshlrev_b32_e32 v6, 16, v6
	v_lshlrev_b32_e32 v8, 16, v8
	v_and_b32_e32 v7, 0xffff, v7
	v_or_b32_e32 v3, v4, v3
	v_lshlrev_b32_e32 v10, 16, v10
	v_and_b32_e32 v9, 0xffff, v9
	v_or3_b32 v4, v6, v5, 0
	v_or_b32_e32 v7, v8, v7
	v_add_nc_u32_e32 v8, v94, v95
	v_or3_b32 v3, 0, 0, v3
	v_or3_b32 v6, v10, v9, 0
	;; [unrolled: 1-line block ×3, first 2 shown]
	ds_write2_b64 v8, v[3:4], v[5:6] offset1:32
	s_waitcnt lgkmcnt(0)
	s_waitcnt_vscnt null, 0x0
	s_barrier
	buffer_gl0_inv
	s_cbranch_scc1 .LBB83_4
; %bb.3:
	s_load_dword s0, s[4:5], 0xd0
	s_mov_b32 s1, 0
	s_waitcnt lgkmcnt(0)
	s_mul_i32 s0, s0, s29
	s_add_i32 s0, s0, s6
	s_lshl_b64 s[0:1], s[0:1], 2
	s_add_u32 s0, s18, s0
	s_addc_u32 s1, s19, s1
	s_load_dword s34, s[0:1], 0x0
.LBB83_4:
	v_mbcnt_lo_u32_b32 v96, -1, 0
	s_lshl_b32 s14, s28, 6
	s_waitcnt lgkmcnt(0)
	s_cmp_lt_i32 s14, s34
	s_cbranch_scc1 .LBB83_6
; %bb.5:
	v_mbcnt_lo_u32_b32 v3, -1, 0
	v_mov_b32_e32 v4, 32
	s_mov_b32 s0, 0
	v_xor_b32_e32 v115, 16, v3
	v_xor_b32_e32 v111, 8, v3
	;; [unrolled: 1-line block ×5, first 2 shown]
	buffer_store_dword v4, off, s[40:43], 0 offset:16 ; 4-byte Folded Spill
	s_branch .LBB83_7
.LBB83_6:
	s_mov_b32 s0, -1
                                        ; implicit-def: $vgpr3
                                        ; implicit-def: $vgpr4
                                        ; kill: killed $vgpr4
                                        ; implicit-def: $vgpr115
                                        ; implicit-def: $vgpr111
                                        ; implicit-def: $vgpr112
                                        ; implicit-def: $vgpr113
                                        ; implicit-def: $vgpr114
.LBB83_7:
	v_lshlrev_b32_e32 v41, 2, v0
	s_andn2_b32 vcc_lo, exec_lo, s0
	buffer_store_dword v0, off, s[40:43], 0 offset:20 ; 4-byte Folded Spill
	buffer_store_dword v1, off, s[40:43], 0 offset:24 ; 4-byte Folded Spill
	s_cbranch_vccnz .LBB83_27
; %bb.8:
	s_clause 0x1
	s_load_dwordx4 s[0:3], s[4:5], 0x98
	s_load_dwordx2 s[8:9], s[4:5], 0x8c
	s_sub_i32 s6, 0, s7
	s_ashr_i32 s25, s31, 31
	s_mul_i32 s6, s6, s33
	s_ashr_i32 s31, s29, 31
	s_mul_hi_u32 s6, s33, s6
	s_abs_i32 s19, s30
	s_add_i32 s33, s33, s6
	s_ashr_i32 s24, s30, 31
	s_mul_hi_u32 s6, s19, s33
	s_ashr_i32 s35, s39, 1
	s_load_dwordx2 s[38:39], s[4:5], 0xa8
	s_mul_i32 s33, s6, s7
	v_lshrrev_b32_e32 v3, 3, v0
	v_and_b32_e32 v18, 28, v41
	v_lshrrev_b32_e32 v6, 4, v0
	v_and_b32_e32 v19, 60, v41
	v_mad_u64_u32 v[16:17], null, v2, s35, v[0:1]
	s_waitcnt lgkmcnt(0)
	s_ashr_i32 s15, s2, 2
	s_ashr_i32 s18, s8, 2
	s_mul_hi_u32 s2, s0, s29
	s_mul_i32 s8, s0, s31
	s_mul_i32 s1, s1, s29
	s_add_i32 s2, s2, s8
	s_mul_i32 s0, s0, s29
	s_add_i32 s2, s2, s1
	s_add_u32 s0, s10, s0
	s_addc_u32 s1, s11, s2
	s_sub_i32 s8, s19, s33
	s_xor_b32 s2, s24, s25
	s_add_i32 s10, s6, 1
	s_sub_i32 s11, s8, s7
	s_cmp_ge_u32 s8, s7
	v_lshl_add_u32 v4, v1, 2, v3
	s_cselect_b32 s6, s10, s6
	s_cselect_b32 s8, s11, s8
	s_add_i32 s10, s6, 1
	s_cmp_ge_u32 s8, s7
	s_load_dword s11, s[4:5], 0x54
	s_cselect_b32 s6, s10, s6
	s_mul_hi_u32 s7, s38, s29
	s_xor_b32 s6, s6, s2
	v_mul_lo_u32 v3, s18, v4
	s_sub_i32 s2, s6, s2
	s_mul_i32 s6, s38, s31
	s_mul_i32 s8, s2, s9
	;; [unrolled: 1-line block ×3, first 2 shown]
	s_ashr_i32 s10, s8, 31
	s_add_u32 s19, s0, s8
	s_addc_u32 s24, s1, s10
	s_add_i32 s0, s7, s6
	s_mul_i32 s1, s38, s29
	s_add_i32 s0, s0, s9
	s_mul_i32 s2, s2, s3
	s_add_u32 s1, s12, s1
	v_lshlrev_b32_e32 v5, 2, v18
	s_addc_u32 s0, s13, s0
	s_ashr_i32 s3, s2, 31
	s_add_u32 s25, s1, s2
	s_addc_u32 s31, s0, s3
	s_lshl_b32 s0, s18, 4
	v_lshl_add_u32 v10, v1, 1, v6
	v_mad_u32_u24 v98, 0x90, v4, v5
	v_add_nc_u32_e32 v5, s0, v3
	v_lshlrev_b32_e32 v14, 2, v19
	v_lshl_add_u32 v104, v1, 8, 0x2c00
	v_mul_lo_u32 v9, s15, v10
	buffer_store_dword v16, off, s[40:43], 0 ; 4-byte Folded Spill
	buffer_store_dword v17, off, s[40:43], 0 offset:4 ; 4-byte Folded Spill
	v_add_nc_u32_e32 v7, s0, v5
	v_ashrrev_i32_e32 v4, 31, v3
	v_ashrrev_i32_e32 v6, 31, v5
	v_lshl_or_b32 v103, v10, 8, v14
	v_mov_b32_e32 v26, 0
	v_add_nc_u32_e32 v11, s0, v7
	s_lshl_b32 s0, s15, 3
	v_ashrrev_i32_e32 v8, 31, v7
	v_add_nc_u32_e32 v13, s0, v9
	v_ashrrev_i32_e32 v10, 31, v9
	v_ashrrev_i32_e32 v12, 31, v11
	v_lshlrev_b64 v[75:76], 2, v[3:4]
	v_lshlrev_b64 v[77:78], 2, v[5:6]
	v_add_nc_u32_e32 v15, s0, v13
	v_ashrrev_i32_e32 v14, 31, v13
	v_lshlrev_b64 v[79:80], 2, v[7:8]
	v_lshlrev_b64 v[81:82], 2, v[11:12]
	;; [unrolled: 1-line block ×3, first 2 shown]
	v_add_nc_u32_e32 v1, s0, v15
	v_ashrrev_i32_e32 v16, 31, v15
	v_lshlrev_b64 v[85:86], 2, v[13:14]
	v_mul_u32_u24_e32 v102, 0x90, v0
	v_mov_b32_e32 v17, 0xfeffffff
	v_ashrrev_i32_e32 v2, 31, v1
	v_lshlrev_b64 v[87:88], 2, v[15:16]
	v_lshlrev_b32_e32 v108, 2, v18
	v_mov_b32_e32 v0, 32
	v_lshlrev_b32_e32 v109, 2, v19
	v_lshlrev_b64 v[89:90], 2, v[1:2]
	v_mov_b32_e32 v110, 0x10001
	v_mov_b32_e32 v25, 0
	;; [unrolled: 1-line block ×7, first 2 shown]
	s_add_u32 s12, s4, 0xd0
	s_addc_u32 s13, s5, 0
	s_mov_b32 s33, 0xbbbac73d
	buffer_store_dword v0, off, s[40:43], 0 offset:16 ; 4-byte Folded Spill
.LBB83_9:                               ; =>This Inner Loop Header: Depth=1
	s_mul_hi_i32 s1, s14, s18
	s_mul_i32 s0, s14, s18
	v_add_nc_u32_e32 v0, 0x900, v98
	s_lshl_b64 s[0:1], s[0:1], 2
	s_add_u32 s0, s19, s0
	s_addc_u32 s1, s24, s1
	v_add_co_u32 v1, vcc_lo, s0, v75
	v_add_co_ci_u32_e64 v2, null, s1, v76, vcc_lo
	v_add_co_u32 v3, vcc_lo, s0, v77
	v_add_co_ci_u32_e64 v4, null, s1, v78, vcc_lo
	;; [unrolled: 2-line block ×8, first 2 shown]
	s_clause 0x3
	global_load_dwordx4 v[9:12], v[1:2], off
	global_load_dwordx4 v[13:16], v[3:4], off
	;; [unrolled: 1-line block ×4, first 2 shown]
	s_waitcnt vmcnt(3)
	ds_write_b128 v98, v[9:12]
	s_waitcnt vmcnt(2)
	ds_write_b128 v0, v[13:16]
	v_add_nc_u32_e32 v15, 0x1200, v98
	v_add_nc_u32_e32 v16, 0x1b00, v98
	v_mov_b32_e32 v9, 0
	v_mov_b32_e32 v10, 0
	s_waitcnt vmcnt(1)
	ds_write_b128 v15, v[19:22]
	s_waitcnt vmcnt(0)
	ds_write_b128 v16, v[31:34]
	s_waitcnt lgkmcnt(0)
	s_waitcnt_vscnt null, 0x0
	s_barrier
	buffer_gl0_inv
	ds_read_b128 v[11:14], v102
	ds_read_b128 v[21:24], v94
	ds_read_b128 v[31:34], v94 offset:256
	ds_read_b128 v[35:38], v102 offset:4608
	s_waitcnt lgkmcnt(2)
	;;#ASMSTART
	v_dot2_f32_f16 v9, v11, v21, v9
	;;#ASMEND
	;;#ASMSTART
	v_dot2_f32_f16 v9, v12, v22, v9
	;;#ASMEND
	v_mov_b32_e32 v19, 0
	;;#ASMSTART
	v_dot2_f32_f16 v9, v13, v23, v9
	;;#ASMEND
	;;#ASMSTART
	v_dot2_f32_f16 v9, v14, v24, v9
	;;#ASMEND
	s_waitcnt lgkmcnt(1)
	;;#ASMSTART
	v_dot2_f32_f16 v19, v11, v31, v19
	;;#ASMEND
	;;#ASMSTART
	v_dot2_f32_f16 v19, v12, v32, v19
	;;#ASMEND
	;; [unrolled: 3-line block ×4, first 2 shown]
	s_waitcnt lgkmcnt(0)
	;;#ASMSTART
	v_dot2_f32_f16 v10, v35, v21, v10
	;;#ASMEND
	;;#ASMSTART
	v_dot2_f32_f16 v10, v36, v22, v10
	;;#ASMEND
	v_mov_b32_e32 v20, 0
	;;#ASMSTART
	v_dot2_f32_f16 v10, v37, v23, v10
	;;#ASMEND
	;;#ASMSTART
	v_dot2_f32_f16 v10, v38, v24, v10
	;;#ASMEND
	;;#ASMSTART
	v_dot2_f32_f16 v20, v35, v31, v20
	;;#ASMEND
	;;#ASMSTART
	v_dot2_f32_f16 v20, v36, v32, v20
	;;#ASMEND
	;;#ASMSTART
	v_dot2_f32_f16 v20, v37, v33, v20
	;;#ASMEND
	;;#ASMSTART
	v_dot2_f32_f16 v20, v38, v34, v20
	;;#ASMEND
	ds_read_b128 v[11:14], v102 offset:16
	ds_read_b128 v[21:24], v94 offset:16
	ds_read_b128 v[31:34], v94 offset:272
	ds_read_b128 v[35:38], v102 offset:4624
	s_waitcnt lgkmcnt(2)
	;;#ASMSTART
	v_dot2_f32_f16 v9, v11, v21, v9
	;;#ASMEND
	;;#ASMSTART
	v_dot2_f32_f16 v9, v12, v22, v9
	;;#ASMEND
	;;#ASMSTART
	v_dot2_f32_f16 v9, v13, v23, v9
	;;#ASMEND
	;;#ASMSTART
	v_dot2_f32_f16 v9, v14, v24, v9
	;;#ASMEND
	s_waitcnt lgkmcnt(1)
	;;#ASMSTART
	v_dot2_f32_f16 v19, v11, v31, v19
	;;#ASMEND
	;;#ASMSTART
	v_dot2_f32_f16 v19, v12, v32, v19
	;;#ASMEND
	;;#ASMSTART
	v_dot2_f32_f16 v19, v13, v33, v19
	;;#ASMEND
	;;#ASMSTART
	v_dot2_f32_f16 v19, v14, v34, v19
	;;#ASMEND
	s_waitcnt lgkmcnt(0)
	;;#ASMSTART
	v_dot2_f32_f16 v10, v35, v21, v10
	;;#ASMEND
	;;#ASMSTART
	v_dot2_f32_f16 v10, v36, v22, v10
	;;#ASMEND
	;;#ASMSTART
	v_dot2_f32_f16 v10, v37, v23, v10
	;;#ASMEND
	;;#ASMSTART
	v_dot2_f32_f16 v10, v38, v24, v10
	;;#ASMEND
	;;#ASMSTART
	v_dot2_f32_f16 v20, v35, v31, v20
	;;#ASMEND
	;;#ASMSTART
	v_dot2_f32_f16 v20, v36, v32, v20
	;;#ASMEND
	;;#ASMSTART
	v_dot2_f32_f16 v20, v37, v33, v20
	;;#ASMEND
	;;#ASMSTART
	v_dot2_f32_f16 v20, v38, v34, v20
	;;#ASMEND
	ds_read_b128 v[11:14], v102 offset:32
	ds_read_b128 v[21:24], v94 offset:32
	ds_read_b128 v[31:34], v94 offset:288
	ds_read_b128 v[35:38], v102 offset:4640
	s_waitcnt lgkmcnt(2)
	;;#ASMSTART
	v_dot2_f32_f16 v9, v11, v21, v9
	;;#ASMEND
	;;#ASMSTART
	v_dot2_f32_f16 v9, v12, v22, v9
	;;#ASMEND
	;;#ASMSTART
	v_dot2_f32_f16 v9, v13, v23, v9
	;;#ASMEND
	;;#ASMSTART
	v_dot2_f32_f16 v9, v14, v24, v9
	;;#ASMEND
	s_waitcnt lgkmcnt(1)
	;;#ASMSTART
	v_dot2_f32_f16 v19, v11, v31, v19
	;;#ASMEND
	;;#ASMSTART
	v_dot2_f32_f16 v19, v12, v32, v19
	;;#ASMEND
	;;#ASMSTART
	v_dot2_f32_f16 v19, v13, v33, v19
	;;#ASMEND
	;;#ASMSTART
	v_dot2_f32_f16 v19, v14, v34, v19
	;;#ASMEND
	s_waitcnt lgkmcnt(0)
	;;#ASMSTART
	v_dot2_f32_f16 v10, v35, v21, v10
	;;#ASMEND
	;;#ASMSTART
	v_dot2_f32_f16 v10, v36, v22, v10
	;;#ASMEND
	;;#ASMSTART
	v_dot2_f32_f16 v10, v37, v23, v10
	;;#ASMEND
	;;#ASMSTART
	v_dot2_f32_f16 v10, v38, v24, v10
	;;#ASMEND
	;;#ASMSTART
	v_dot2_f32_f16 v20, v35, v31, v20
	;;#ASMEND
	;;#ASMSTART
	v_dot2_f32_f16 v20, v36, v32, v20
	;;#ASMEND
	;;#ASMSTART
	v_dot2_f32_f16 v20, v37, v33, v20
	;;#ASMEND
	;;#ASMSTART
	v_dot2_f32_f16 v20, v38, v34, v20
	;;#ASMEND
	ds_read_b128 v[11:14], v102 offset:48
	ds_read_b128 v[21:24], v94 offset:48
	ds_read_b128 v[31:34], v94 offset:304
	ds_read_b128 v[35:38], v102 offset:4656
	s_waitcnt lgkmcnt(2)
	;;#ASMSTART
	v_dot2_f32_f16 v9, v11, v21, v9
	;;#ASMEND
	;;#ASMSTART
	v_dot2_f32_f16 v9, v12, v22, v9
	;;#ASMEND
	;;#ASMSTART
	v_dot2_f32_f16 v9, v13, v23, v9
	;;#ASMEND
	;;#ASMSTART
	v_dot2_f32_f16 v9, v14, v24, v9
	;;#ASMEND
	s_waitcnt lgkmcnt(1)
	;;#ASMSTART
	v_dot2_f32_f16 v19, v11, v31, v19
	;;#ASMEND
	;;#ASMSTART
	v_dot2_f32_f16 v19, v12, v32, v19
	;;#ASMEND
	;;#ASMSTART
	v_dot2_f32_f16 v19, v13, v33, v19
	;;#ASMEND
	;;#ASMSTART
	v_dot2_f32_f16 v19, v14, v34, v19
	;;#ASMEND
	s_waitcnt lgkmcnt(0)
	;;#ASMSTART
	v_dot2_f32_f16 v10, v35, v21, v10
	;;#ASMEND
	;;#ASMSTART
	v_dot2_f32_f16 v10, v36, v22, v10
	;;#ASMEND
	;;#ASMSTART
	v_dot2_f32_f16 v10, v37, v23, v10
	;;#ASMEND
	;;#ASMSTART
	v_dot2_f32_f16 v10, v38, v24, v10
	;;#ASMEND
	;;#ASMSTART
	v_dot2_f32_f16 v20, v35, v31, v20
	;;#ASMEND
	;;#ASMSTART
	v_dot2_f32_f16 v20, v36, v32, v20
	;;#ASMEND
	;;#ASMSTART
	v_dot2_f32_f16 v20, v37, v33, v20
	;;#ASMEND
	;;#ASMSTART
	v_dot2_f32_f16 v20, v38, v34, v20
	;;#ASMEND
	ds_read_b128 v[11:14], v102 offset:64
	ds_read_b128 v[21:24], v94 offset:64
	ds_read_b128 v[31:34], v94 offset:320
	ds_read_b128 v[35:38], v102 offset:4672
	s_waitcnt lgkmcnt(2)
	;;#ASMSTART
	v_dot2_f32_f16 v9, v11, v21, v9
	;;#ASMEND
	;;#ASMSTART
	v_dot2_f32_f16 v9, v12, v22, v9
	;;#ASMEND
	;;#ASMSTART
	v_dot2_f32_f16 v9, v13, v23, v9
	;;#ASMEND
	;;#ASMSTART
	v_dot2_f32_f16 v9, v14, v24, v9
	;;#ASMEND
	s_waitcnt lgkmcnt(1)
	;;#ASMSTART
	v_dot2_f32_f16 v19, v11, v31, v19
	;;#ASMEND
	;;#ASMSTART
	v_dot2_f32_f16 v19, v12, v32, v19
	;;#ASMEND
	;;#ASMSTART
	v_dot2_f32_f16 v19, v13, v33, v19
	;;#ASMEND
	;;#ASMSTART
	v_dot2_f32_f16 v19, v14, v34, v19
	;;#ASMEND
	s_waitcnt lgkmcnt(0)
	;;#ASMSTART
	v_dot2_f32_f16 v10, v35, v21, v10
	;;#ASMEND
	;;#ASMSTART
	v_dot2_f32_f16 v10, v36, v22, v10
	;;#ASMEND
	;;#ASMSTART
	v_dot2_f32_f16 v10, v37, v23, v10
	;;#ASMEND
	;;#ASMSTART
	v_dot2_f32_f16 v10, v38, v24, v10
	;;#ASMEND
	;;#ASMSTART
	v_dot2_f32_f16 v20, v35, v31, v20
	;;#ASMEND
	;;#ASMSTART
	v_dot2_f32_f16 v20, v36, v32, v20
	;;#ASMEND
	;;#ASMSTART
	v_dot2_f32_f16 v20, v37, v33, v20
	;;#ASMEND
	;;#ASMSTART
	v_dot2_f32_f16 v20, v38, v34, v20
	;;#ASMEND
	ds_read_b128 v[11:14], v102 offset:80
	ds_read_b128 v[21:24], v94 offset:80
	ds_read_b128 v[31:34], v94 offset:336
	ds_read_b128 v[35:38], v102 offset:4688
	s_waitcnt lgkmcnt(2)
	;;#ASMSTART
	v_dot2_f32_f16 v9, v11, v21, v9
	;;#ASMEND
	;;#ASMSTART
	v_dot2_f32_f16 v9, v12, v22, v9
	;;#ASMEND
	;;#ASMSTART
	v_dot2_f32_f16 v9, v13, v23, v9
	;;#ASMEND
	;;#ASMSTART
	v_dot2_f32_f16 v9, v14, v24, v9
	;;#ASMEND
	s_waitcnt lgkmcnt(1)
	;;#ASMSTART
	v_dot2_f32_f16 v19, v11, v31, v19
	;;#ASMEND
	;;#ASMSTART
	v_dot2_f32_f16 v19, v12, v32, v19
	;;#ASMEND
	;;#ASMSTART
	v_dot2_f32_f16 v19, v13, v33, v19
	;;#ASMEND
	;;#ASMSTART
	v_dot2_f32_f16 v19, v14, v34, v19
	;;#ASMEND
	s_waitcnt lgkmcnt(0)
	;;#ASMSTART
	v_dot2_f32_f16 v10, v35, v21, v10
	;;#ASMEND
	;;#ASMSTART
	v_dot2_f32_f16 v10, v36, v22, v10
	;;#ASMEND
	;;#ASMSTART
	v_dot2_f32_f16 v10, v37, v23, v10
	;;#ASMEND
	;;#ASMSTART
	v_dot2_f32_f16 v10, v38, v24, v10
	;;#ASMEND
	;;#ASMSTART
	v_dot2_f32_f16 v20, v35, v31, v20
	;;#ASMEND
	;;#ASMSTART
	v_dot2_f32_f16 v20, v36, v32, v20
	;;#ASMEND
	;;#ASMSTART
	v_dot2_f32_f16 v20, v37, v33, v20
	;;#ASMEND
	;;#ASMSTART
	v_dot2_f32_f16 v20, v38, v34, v20
	;;#ASMEND
	ds_read_b128 v[11:14], v102 offset:96
	ds_read_b128 v[21:24], v94 offset:96
	ds_read_b128 v[31:34], v94 offset:352
	ds_read_b128 v[35:38], v102 offset:4704
	s_waitcnt lgkmcnt(2)
	;;#ASMSTART
	v_dot2_f32_f16 v9, v11, v21, v9
	;;#ASMEND
	;;#ASMSTART
	v_dot2_f32_f16 v9, v12, v22, v9
	;;#ASMEND
	;;#ASMSTART
	v_dot2_f32_f16 v9, v13, v23, v9
	;;#ASMEND
	;;#ASMSTART
	v_dot2_f32_f16 v9, v14, v24, v9
	;;#ASMEND
	s_waitcnt lgkmcnt(1)
	;;#ASMSTART
	v_dot2_f32_f16 v19, v11, v31, v19
	;;#ASMEND
	;;#ASMSTART
	v_dot2_f32_f16 v19, v12, v32, v19
	;;#ASMEND
	;;#ASMSTART
	v_dot2_f32_f16 v19, v13, v33, v19
	;;#ASMEND
	;;#ASMSTART
	v_dot2_f32_f16 v19, v14, v34, v19
	;;#ASMEND
	s_waitcnt lgkmcnt(0)
	;;#ASMSTART
	v_dot2_f32_f16 v10, v35, v21, v10
	;;#ASMEND
	;;#ASMSTART
	v_dot2_f32_f16 v10, v36, v22, v10
	;;#ASMEND
	;;#ASMSTART
	v_dot2_f32_f16 v10, v37, v23, v10
	;;#ASMEND
	;;#ASMSTART
	v_dot2_f32_f16 v10, v38, v24, v10
	;;#ASMEND
	;;#ASMSTART
	v_dot2_f32_f16 v20, v35, v31, v20
	;;#ASMEND
	;;#ASMSTART
	v_dot2_f32_f16 v20, v36, v32, v20
	;;#ASMEND
	;;#ASMSTART
	v_dot2_f32_f16 v20, v37, v33, v20
	;;#ASMEND
	;;#ASMSTART
	v_dot2_f32_f16 v20, v38, v34, v20
	;;#ASMEND
	ds_read_b128 v[11:14], v102 offset:112
	ds_read_b128 v[21:24], v94 offset:112
	ds_read_b128 v[31:34], v94 offset:368
	ds_read_b128 v[35:38], v102 offset:4720
	s_waitcnt lgkmcnt(2)
	;;#ASMSTART
	v_dot2_f32_f16 v9, v11, v21, v9
	;;#ASMEND
	;;#ASMSTART
	v_dot2_f32_f16 v9, v12, v22, v9
	;;#ASMEND
	;;#ASMSTART
	v_dot2_f32_f16 v9, v13, v23, v9
	;;#ASMEND
	;;#ASMSTART
	v_dot2_f32_f16 v9, v14, v24, v9
	;;#ASMEND
	s_waitcnt lgkmcnt(1)
	;;#ASMSTART
	v_dot2_f32_f16 v19, v11, v31, v19
	;;#ASMEND
	;;#ASMSTART
	v_dot2_f32_f16 v19, v12, v32, v19
	;;#ASMEND
	;;#ASMSTART
	v_dot2_f32_f16 v19, v13, v33, v19
	;;#ASMEND
	;;#ASMSTART
	v_dot2_f32_f16 v19, v14, v34, v19
	;;#ASMEND
	s_waitcnt lgkmcnt(0)
	;;#ASMSTART
	v_dot2_f32_f16 v10, v35, v21, v10
	;;#ASMEND
	;;#ASMSTART
	v_dot2_f32_f16 v10, v36, v22, v10
	;;#ASMEND
	;;#ASMSTART
	v_dot2_f32_f16 v10, v37, v23, v10
	;;#ASMEND
	;;#ASMSTART
	v_dot2_f32_f16 v10, v38, v24, v10
	;;#ASMEND
	;; [unrolled: 3-line block ×6, first 2 shown]
	s_barrier
	buffer_gl0_inv
	s_clause 0x3
	global_load_dwordx4 v[11:14], v[1:2], off offset:128
	global_load_dwordx4 v[1:4], v[3:4], off offset:128
	;; [unrolled: 1-line block ×4, first 2 shown]
	s_waitcnt vmcnt(3)
	ds_write_b128 v98, v[11:14]
	s_waitcnt vmcnt(2)
	ds_write_b128 v0, v[1:4]
	;; [unrolled: 2-line block ×4, first 2 shown]
	s_waitcnt lgkmcnt(0)
	s_barrier
	buffer_gl0_inv
	ds_read_b128 v[1:4], v102
	ds_read_b128 v[5:8], v94 offset:128
	ds_read_b128 v[11:14], v94 offset:384
	ds_read_b128 v[21:24], v102 offset:4608
	s_waitcnt lgkmcnt(2)
	;;#ASMSTART
	v_dot2_f32_f16 v9, v1, v5, v9
	;;#ASMEND
	;;#ASMSTART
	v_dot2_f32_f16 v9, v2, v6, v9
	;;#ASMEND
	;;#ASMSTART
	v_dot2_f32_f16 v9, v3, v7, v9
	;;#ASMEND
	;;#ASMSTART
	v_dot2_f32_f16 v9, v4, v8, v9
	;;#ASMEND
	s_waitcnt lgkmcnt(1)
	;;#ASMSTART
	v_dot2_f32_f16 v19, v1, v11, v19
	;;#ASMEND
	;;#ASMSTART
	v_dot2_f32_f16 v19, v2, v12, v19
	;;#ASMEND
	;;#ASMSTART
	v_dot2_f32_f16 v19, v3, v13, v19
	;;#ASMEND
	;;#ASMSTART
	v_dot2_f32_f16 v19, v4, v14, v19
	;;#ASMEND
	s_waitcnt lgkmcnt(0)
	;;#ASMSTART
	v_dot2_f32_f16 v10, v21, v5, v10
	;;#ASMEND
	;;#ASMSTART
	v_dot2_f32_f16 v10, v22, v6, v10
	;;#ASMEND
	;;#ASMSTART
	v_dot2_f32_f16 v10, v23, v7, v10
	;;#ASMEND
	;;#ASMSTART
	v_dot2_f32_f16 v10, v24, v8, v10
	;;#ASMEND
	;;#ASMSTART
	v_dot2_f32_f16 v20, v21, v11, v20
	;;#ASMEND
	;;#ASMSTART
	v_dot2_f32_f16 v20, v22, v12, v20
	;;#ASMEND
	;;#ASMSTART
	v_dot2_f32_f16 v20, v23, v13, v20
	;;#ASMEND
	;;#ASMSTART
	v_dot2_f32_f16 v20, v24, v14, v20
	;;#ASMEND
	ds_read_b128 v[1:4], v102 offset:16
	ds_read_b128 v[5:8], v94 offset:144
	ds_read_b128 v[11:14], v94 offset:400
	ds_read_b128 v[21:24], v102 offset:4624
	s_waitcnt lgkmcnt(2)
	;;#ASMSTART
	v_dot2_f32_f16 v9, v1, v5, v9
	;;#ASMEND
	;;#ASMSTART
	v_dot2_f32_f16 v9, v2, v6, v9
	;;#ASMEND
	;;#ASMSTART
	v_dot2_f32_f16 v9, v3, v7, v9
	;;#ASMEND
	;;#ASMSTART
	v_dot2_f32_f16 v9, v4, v8, v9
	;;#ASMEND
	s_waitcnt lgkmcnt(1)
	;;#ASMSTART
	v_dot2_f32_f16 v19, v1, v11, v19
	;;#ASMEND
	;;#ASMSTART
	v_dot2_f32_f16 v19, v2, v12, v19
	;;#ASMEND
	;;#ASMSTART
	v_dot2_f32_f16 v19, v3, v13, v19
	;;#ASMEND
	;;#ASMSTART
	v_dot2_f32_f16 v19, v4, v14, v19
	;;#ASMEND
	s_waitcnt lgkmcnt(0)
	;;#ASMSTART
	v_dot2_f32_f16 v10, v21, v5, v10
	;;#ASMEND
	;;#ASMSTART
	v_dot2_f32_f16 v10, v22, v6, v10
	;;#ASMEND
	;;#ASMSTART
	v_dot2_f32_f16 v10, v23, v7, v10
	;;#ASMEND
	;;#ASMSTART
	v_dot2_f32_f16 v10, v24, v8, v10
	;;#ASMEND
	;;#ASMSTART
	v_dot2_f32_f16 v20, v21, v11, v20
	;;#ASMEND
	;;#ASMSTART
	v_dot2_f32_f16 v20, v22, v12, v20
	;;#ASMEND
	;;#ASMSTART
	v_dot2_f32_f16 v20, v23, v13, v20
	;;#ASMEND
	;;#ASMSTART
	v_dot2_f32_f16 v20, v24, v14, v20
	;;#ASMEND
	ds_read_b128 v[1:4], v102 offset:32
	;; [unrolled: 55-line block ×7, first 2 shown]
	ds_read_b128 v[5:8], v94 offset:240
	ds_read_b128 v[11:14], v94 offset:496
	;; [unrolled: 1-line block ×3, first 2 shown]
	s_waitcnt lgkmcnt(2)
	;;#ASMSTART
	v_dot2_f32_f16 v9, v1, v5, v9
	;;#ASMEND
	;;#ASMSTART
	v_dot2_f32_f16 v9, v2, v6, v9
	;;#ASMEND
	;; [unrolled: 3-line block ×4, first 2 shown]
	s_waitcnt lgkmcnt(1)
	;;#ASMSTART
	v_dot2_f32_f16 v19, v1, v11, v19
	;;#ASMEND
	;;#ASMSTART
	v_dot2_f32_f16 v19, v2, v12, v19
	;;#ASMEND
	;; [unrolled: 3-line block ×4, first 2 shown]
	s_waitcnt lgkmcnt(0)
	;;#ASMSTART
	v_dot2_f32_f16 v10, v21, v5, v10
	;;#ASMEND
	v_cmp_ngt_f32_e64 s0, 0x3f200000, |v9|
	;;#ASMSTART
	v_dot2_f32_f16 v10, v22, v6, v10
	;;#ASMEND
	;;#ASMSTART
	v_dot2_f32_f16 v10, v23, v7, v10
	;;#ASMEND
	;; [unrolled: 3-line block ×7, first 2 shown]
                                        ; implicit-def: $vgpr3
	s_and_saveexec_b32 s1, s0
	s_xor_b32 s0, exec_lo, s1
	s_cbranch_execz .LBB83_11
; %bb.10:                               ;   in Loop: Header=BB83_9 Depth=1
	v_add_f32_e64 v1, |v9|, |v9|
	v_mul_f32_e32 v2, 0x3fb8aa3b, v1
	v_cmp_ngt_f32_e32 vcc_lo, 0xc2ce8ed0, v1
	v_rndne_f32_e32 v3, v2
	v_fma_f32 v4, 0x3fb8aa3b, v1, -v2
	v_sub_f32_e32 v2, v2, v3
	v_fmac_f32_e32 v4, 0x32a5705f, v1
	v_cvt_i32_f32_e32 v3, v3
	v_add_f32_e32 v2, v2, v4
	v_exp_f32_e32 v2, v2
	v_ldexp_f32 v2, v2, v3
	v_cndmask_b32_e32 v2, 0, v2, vcc_lo
	v_cmp_nlt_f32_e32 vcc_lo, 0x42b17218, v1
	v_cndmask_b32_e32 v1, 0x7f800000, v2, vcc_lo
	v_add_f32_e32 v1, 1.0, v1
	v_rcp_f32_e32 v1, v1
	v_fma_f32 v3, v1, -2.0, 1.0
.LBB83_11:                              ;   in Loop: Header=BB83_9 Depth=1
	s_andn2_saveexec_b32 s0, s0
	s_cbranch_execz .LBB83_13
; %bb.12:                               ;   in Loop: Header=BB83_9 Depth=1
	v_mul_f32_e32 v1, v9, v9
	v_fmaak_f32 v2, s33, v1, 0x3ca908c9
	v_fmaak_f32 v2, v1, v2, 0xbd5c1c4e
	;; [unrolled: 1-line block ×4, first 2 shown]
	v_mul_f32_e64 v2, |v9|, v2
	v_fma_f32 v3, v1, v2, |v9|
.LBB83_13:                              ;   in Loop: Header=BB83_9 Depth=1
	s_or_b32 exec_lo, exec_lo, s0
	s_clause 0x1
	buffer_load_dword v0, off, s[40:43], 0
	buffer_load_dword v1, off, s[40:43], 0 offset:4
	v_cmp_ngt_f32_e64 s0, 0x3f200000, |v10|
                                        ; implicit-def: $vgpr4
	s_waitcnt vmcnt(0)
	v_add_nc_u32_e32 v1, s14, v0
	v_ashrrev_i32_e32 v2, 31, v1
	v_lshlrev_b64 v[1:2], 1, v[1:2]
	v_add_co_u32 v1, vcc_lo, s36, v1
	v_add_co_ci_u32_e64 v2, null, s37, v2, vcc_lo
	global_load_ushort v31, v[1:2], off
	s_and_saveexec_b32 s1, s0
	s_xor_b32 s0, exec_lo, s1
	s_cbranch_execz .LBB83_15
; %bb.14:                               ;   in Loop: Header=BB83_9 Depth=1
	v_add_f32_e64 v4, |v10|, |v10|
	v_mul_f32_e32 v5, 0x3fb8aa3b, v4
	v_cmp_ngt_f32_e32 vcc_lo, 0xc2ce8ed0, v4
	v_rndne_f32_e32 v6, v5
	v_fma_f32 v7, 0x3fb8aa3b, v4, -v5
	v_sub_f32_e32 v5, v5, v6
	v_fmac_f32_e32 v7, 0x32a5705f, v4
	v_cvt_i32_f32_e32 v6, v6
	v_add_f32_e32 v5, v5, v7
	v_exp_f32_e32 v5, v5
	v_ldexp_f32 v5, v5, v6
	v_cndmask_b32_e32 v5, 0, v5, vcc_lo
	v_cmp_nlt_f32_e32 vcc_lo, 0x42b17218, v4
	v_cndmask_b32_e32 v4, 0x7f800000, v5, vcc_lo
	v_add_f32_e32 v4, 1.0, v4
	v_rcp_f32_e32 v4, v4
	v_fma_f32 v4, v4, -2.0, 1.0
.LBB83_15:                              ;   in Loop: Header=BB83_9 Depth=1
	s_andn2_saveexec_b32 s0, s0
	s_cbranch_execz .LBB83_17
; %bb.16:                               ;   in Loop: Header=BB83_9 Depth=1
	v_mul_f32_e32 v4, v10, v10
	v_fmaak_f32 v5, s33, v4, 0x3ca908c9
	v_fmaak_f32 v5, v4, v5, 0xbd5c1c4e
	;; [unrolled: 1-line block ×4, first 2 shown]
	v_mul_f32_e64 v5, |v10|, v5
	v_fma_f32 v4, v4, v5, |v10|
.LBB83_17:                              ;   in Loop: Header=BB83_9 Depth=1
	s_or_b32 exec_lo, exec_lo, s0
	global_load_ushort v32, v[1:2], off offset:64
	v_bfi_b32 v1, 0x7fffffff, v3, v9
	v_bfi_b32 v2, 0x7fffffff, v4, v10
	v_xor_b32_e32 v115, 16, v96
	v_xor_b32_e32 v111, 8, v96
	;; [unrolled: 1-line block ×3, first 2 shown]
	s_waitcnt vmcnt(1)
	v_fma_mix_f32 v22, s11, v1, v31 op_sel_hi:[0,0,1]
	v_xor_b32_e32 v113, 2, v96
	v_cmp_gt_i32_e32 vcc_lo, 32, v115
	v_xor_b32_e32 v114, 1, v96
	v_cmp_ngt_f32_e64 s0, 0x3f200000, |v19|
	v_add_f32_e32 v1, 0x40051340, v22
                                        ; implicit-def: $vgpr39
	s_waitcnt vmcnt(0)
	v_fma_mix_f32 v23, s11, v2, v32 op_sel_hi:[0,0,1]
	v_cndmask_b32_e32 v2, v96, v115, vcc_lo
	v_cmp_gt_i32_e32 vcc_lo, 32, v111
	v_add_f32_e32 v3, 0x40051340, v23
	v_lshlrev_b32_e32 v34, 2, v2
	v_max3_f32 v1, v17, v1, v3
	v_cndmask_b32_e32 v3, v96, v111, vcc_lo
	v_cmp_gt_i32_e32 vcc_lo, 32, v112
	ds_bpermute_b32 v2, v34, v1
	v_lshlrev_b32_e32 v35, 2, v3
	v_cndmask_b32_e32 v3, v96, v112, vcc_lo
	v_cmp_gt_i32_e32 vcc_lo, 32, v113
	v_lshlrev_b32_e32 v36, 2, v3
	v_cndmask_b32_e32 v3, v96, v113, vcc_lo
	v_cmp_gt_i32_e32 vcc_lo, 32, v114
	v_lshlrev_b32_e32 v24, 2, v3
	v_cndmask_b32_e32 v3, v96, v114, vcc_lo
	v_lshlrev_b32_e32 v21, 2, v3
	s_waitcnt lgkmcnt(0)
	v_max_f32_e32 v2, v2, v2
	v_max_f32_e32 v1, v1, v2
	ds_bpermute_b32 v2, v35, v1
	s_waitcnt lgkmcnt(0)
	v_max_f32_e32 v2, v2, v2
	v_max_f32_e32 v1, v1, v2
	ds_bpermute_b32 v2, v36, v1
	;; [unrolled: 4-line block ×4, first 2 shown]
	s_and_saveexec_b32 s1, s0
	s_xor_b32 s0, exec_lo, s1
	s_cbranch_execz .LBB83_19
; %bb.18:                               ;   in Loop: Header=BB83_9 Depth=1
	v_add_f32_e64 v1, |v19|, |v19|
	v_mul_f32_e32 v2, 0x3fb8aa3b, v1
	v_cmp_ngt_f32_e32 vcc_lo, 0xc2ce8ed0, v1
	v_rndne_f32_e32 v3, v2
	v_fma_f32 v4, 0x3fb8aa3b, v1, -v2
	v_sub_f32_e32 v2, v2, v3
	v_fmac_f32_e32 v4, 0x32a5705f, v1
	v_cvt_i32_f32_e32 v3, v3
	v_add_f32_e32 v2, v2, v4
	v_exp_f32_e32 v2, v2
	v_ldexp_f32 v2, v2, v3
	v_cndmask_b32_e32 v2, 0, v2, vcc_lo
	v_cmp_nlt_f32_e32 vcc_lo, 0x42b17218, v1
	v_cndmask_b32_e32 v1, 0x7f800000, v2, vcc_lo
	v_add_f32_e32 v1, 1.0, v1
	v_rcp_f32_e32 v1, v1
	v_fma_f32 v39, v1, -2.0, 1.0
.LBB83_19:                              ;   in Loop: Header=BB83_9 Depth=1
	s_andn2_saveexec_b32 s0, s0
	s_cbranch_execz .LBB83_21
; %bb.20:                               ;   in Loop: Header=BB83_9 Depth=1
	v_mul_f32_e32 v1, v19, v19
	v_fmaak_f32 v2, s33, v1, 0x3ca908c9
	v_fmaak_f32 v2, v1, v2, 0xbd5c1c4e
	;; [unrolled: 1-line block ×4, first 2 shown]
	v_mul_f32_e64 v2, |v19|, v2
	v_fma_f32 v39, v1, v2, |v19|
.LBB83_21:                              ;   in Loop: Header=BB83_9 Depth=1
	s_or_b32 exec_lo, exec_lo, s0
	v_cmp_ngt_f32_e64 s0, 0x3f200000, |v20|
                                        ; implicit-def: $vgpr40
	s_and_saveexec_b32 s1, s0
	s_xor_b32 s0, exec_lo, s1
	s_cbranch_execz .LBB83_23
; %bb.22:                               ;   in Loop: Header=BB83_9 Depth=1
	v_add_f32_e64 v1, |v20|, |v20|
	v_mul_f32_e32 v2, 0x3fb8aa3b, v1
	v_cmp_ngt_f32_e32 vcc_lo, 0xc2ce8ed0, v1
	v_rndne_f32_e32 v3, v2
	v_fma_f32 v4, 0x3fb8aa3b, v1, -v2
	v_sub_f32_e32 v2, v2, v3
	v_fmac_f32_e32 v4, 0x32a5705f, v1
	v_cvt_i32_f32_e32 v3, v3
	v_add_f32_e32 v2, v2, v4
	v_exp_f32_e32 v2, v2
	v_ldexp_f32 v2, v2, v3
	v_cndmask_b32_e32 v2, 0, v2, vcc_lo
	v_cmp_nlt_f32_e32 vcc_lo, 0x42b17218, v1
	v_cndmask_b32_e32 v1, 0x7f800000, v2, vcc_lo
	v_add_f32_e32 v1, 1.0, v1
	v_rcp_f32_e32 v1, v1
	v_fma_f32 v40, v1, -2.0, 1.0
.LBB83_23:                              ;   in Loop: Header=BB83_9 Depth=1
	s_andn2_saveexec_b32 s0, s0
	s_cbranch_execz .LBB83_25
; %bb.24:                               ;   in Loop: Header=BB83_9 Depth=1
	v_mul_f32_e32 v1, v20, v20
	v_fmaak_f32 v2, s33, v1, 0x3ca908c9
	v_fmaak_f32 v2, v1, v2, 0xbd5c1c4e
	;; [unrolled: 1-line block ×4, first 2 shown]
	v_mul_f32_e64 v2, |v20|, v2
	v_fma_f32 v40, v1, v2, |v20|
.LBB83_25:                              ;   in Loop: Header=BB83_9 Depth=1
	s_or_b32 exec_lo, exec_lo, s0
	s_mul_hi_i32 s1, s14, s15
	s_mul_i32 s0, s14, s15
	s_waitcnt lgkmcnt(0)
	s_lshl_b64 s[0:1], s[0:1], 2
	s_barrier
	s_add_u32 s0, s25, s0
	s_addc_u32 s1, s31, s1
	v_add_co_u32 v1, vcc_lo, s0, v83
	v_add_co_ci_u32_e64 v2, null, s1, v84, vcc_lo
	v_add_co_u32 v3, vcc_lo, s0, v85
	v_add_co_ci_u32_e64 v4, null, s1, v86, vcc_lo
	;; [unrolled: 2-line block ×8, first 2 shown]
	buffer_gl0_inv
	s_clause 0x3
	global_load_dwordx4 v[1:4], v[1:2], off
	global_load_dwordx4 v[5:8], v[5:6], off
	;; [unrolled: 1-line block ×4, first 2 shown]
	v_cvt_f32_f16_e32 v33, v31
	v_cvt_f32_f16_e32 v32, v32
	v_bfi_b32 v19, 0x7fffffff, v39, v19
	v_bfi_b32 v20, 0x7fffffff, v40, v20
	s_or_b32 s0, s14, 32
	v_mov_b32_e32 v74, v41
	s_mul_hi_i32 s1, s0, s15
	v_fmac_f32_e32 v33, s11, v19
	v_fmac_f32_e32 v32, s11, v20
	s_mul_i32 s0, s0, s15
	v_add_nc_u32_e32 v31, v104, v41
	s_lshl_b64 s[0:1], s[0:1], 2
	v_add_f32_e32 v19, 0x40051340, v33
	v_add_f32_e32 v20, 0x40051340, v32
	s_add_u32 s2, s25, s0
	s_addc_u32 s3, s31, s1
	v_add_nc_u32_e32 v106, 0x800, v103
	v_add_nc_u32_e32 v107, 0x1000, v103
	v_max3_f32 v19, v18, v19, v20
	v_add_nc_u32_e32 v93, 0x1800, v103
	v_add_nc_u32_e32 v117, 0x1800, v95
	ds_bpermute_b32 v20, v34, v19
	v_max_f32_e32 v34, v38, v38
	v_add_nc_u32_e32 v38, 0x800, v95
	s_waitcnt lgkmcnt(0)
	v_max_f32_e32 v20, v20, v20
	v_max_f32_e32 v19, v19, v20
	ds_bpermute_b32 v20, v35, v19
	v_max_f32_e32 v35, v37, v37
	v_add_nc_u32_e32 v37, 0x1000, v95
	v_max_f32_e32 v91, v35, v34
	v_add_co_u32 v35, s1, s2, v87
	v_add_co_ci_u32_e64 v41, null, s3, v88, s1
	v_sub_f32_e32 v34, v17, v91
	v_mul_f32_e32 v45, 0x3fb8aa3b, v34
	v_cmp_ngt_f32_e64 s6, 0xc2ce8ed0, v34
	v_cmp_nlt_f32_e64 s7, 0x42b17218, v34
	s_waitcnt lgkmcnt(0)
	v_max_f32_e32 v20, v20, v20
	v_fma_f32 v49, 0x3fb8aa3b, v34, -v45
	v_rndne_f32_e32 v50, v45
	v_max_f32_e32 v19, v19, v20
	v_fmac_f32_e32 v49, 0x32a5705f, v34
	v_sub_f32_e32 v34, v45, v50
	ds_bpermute_b32 v20, v36, v19
	v_add_f32_e32 v34, v34, v49
	v_exp_f32_e32 v34, v34
	s_waitcnt lgkmcnt(0)
	v_max_f32_e32 v20, v20, v20
	v_max_f32_e32 v17, v19, v20
	v_sub_f32_e32 v20, v22, v91
	v_sub_f32_e32 v22, v23, v91
	v_add_co_u32 v23, vcc_lo, s2, v83
	ds_bpermute_b32 v19, v24, v17
	v_add_co_u32 v24, s0, s2, v85
	v_mul_f32_e32 v43, 0x3fb8aa3b, v20
	v_add_co_u32 v36, s2, s2, v89
	v_mul_f32_e32 v44, 0x3fb8aa3b, v22
	v_add_co_ci_u32_e64 v39, null, s3, v84, vcc_lo
	v_add_co_ci_u32_e64 v40, null, s3, v86, s0
	v_add_co_ci_u32_e64 v42, null, s3, v90, s2
	v_cmp_ngt_f32_e64 s0, 0xc2ce8ed0, v20
	v_cmp_nlt_f32_e64 s2, 0x42b17218, v20
	v_rndne_f32_e32 v48, v44
	v_cmp_ngt_f32_e64 s1, 0xc2ce8ed0, v22
	v_cmp_nlt_f32_e64 s3, 0x42b17218, v22
	v_add_co_u32 v23, s8, v23, v109
	s_waitcnt lgkmcnt(0)
	v_max_f32_e32 v19, v19, v19
	v_max_f32_e32 v46, v17, v19
	v_add_co_u32 v19, s10, v35, v109
	v_rndne_f32_e32 v35, v43
	v_add_co_u32 v17, vcc_lo, v36, v109
	ds_bpermute_b32 v47, v21, v46
	v_add_co_u32 v21, s9, v24, v109
	v_fma_f32 v24, 0x3fb8aa3b, v20, -v43
	v_fma_f32 v36, 0x3fb8aa3b, v22, -v44
	v_fmac_f32_e32 v24, 0x32a5705f, v20
	v_sub_f32_e32 v20, v43, v35
	v_fmac_f32_e32 v36, 0x32a5705f, v22
	v_sub_f32_e32 v22, v44, v48
	v_cvt_i32_f32_e32 v35, v35
	v_add_f32_e32 v20, v20, v24
	v_add_co_ci_u32_e64 v24, null, 0, v39, s8
	v_add_f32_e32 v36, v22, v36
	v_add_co_ci_u32_e64 v22, null, 0, v40, s9
	s_waitcnt lgkmcnt(0)
	v_max_f32_e32 v43, v47, v47
	v_exp_f32_e32 v20, v20
	v_exp_f32_e32 v36, v36
	v_cvt_i32_f32_e32 v39, v48
	v_cvt_i32_f32_e32 v40, v50
	v_max_f32_e32 v92, v46, v43
	v_ldexp_f32 v34, v34, v40
	v_sub_f32_e32 v33, v33, v92
	v_sub_f32_e32 v32, v32, v92
	v_ldexp_f32 v20, v20, v35
	v_ldexp_f32 v36, v36, v39
	v_sub_f32_e32 v18, v18, v92
	v_mul_f32_e32 v43, 0x3fb8aa3b, v33
	v_mul_f32_e32 v35, 0x3fb8aa3b, v32
	v_cndmask_b32_e64 v20, 0, v20, s0
	v_cndmask_b32_e64 v36, 0, v36, s1
	v_mul_f32_e32 v46, 0x3fb8aa3b, v18
	v_fma_f32 v39, 0x3fb8aa3b, v33, -v43
	v_rndne_f32_e32 v40, v43
	v_fma_f32 v44, 0x3fb8aa3b, v32, -v35
	v_rndne_f32_e32 v45, v35
	v_cndmask_b32_e64 v47, 0x7f800000, v20, s2
	v_fmac_f32_e32 v39, 0x32a5705f, v33
	v_sub_f32_e32 v43, v43, v40
	v_fmac_f32_e32 v44, 0x32a5705f, v32
	v_sub_f32_e32 v35, v35, v45
	v_cvt_i32_f32_e32 v40, v40
	v_cvt_i32_f32_e32 v45, v45
	v_add_f32_e32 v39, v43, v39
	v_fma_f32 v43, 0x3fb8aa3b, v18, -v46
	v_add_f32_e32 v35, v35, v44
	v_rndne_f32_e32 v44, v46
	v_cmp_ngt_f32_e64 s0, 0xc2ce8ed0, v33
	v_exp_f32_e32 v39, v39
	v_fmac_f32_e32 v43, 0x32a5705f, v18
	v_exp_f32_e32 v35, v35
	v_sub_f32_e32 v20, v46, v44
	v_cmp_ngt_f32_e64 s1, 0xc2ce8ed0, v32
	v_cndmask_b32_e64 v34, 0, v34, s6
	v_cmp_nlt_f32_e64 s2, 0x42b17218, v33
	v_cmp_nlt_f32_e64 s6, 0x42b17218, v32
	v_add_f32_e32 v20, v20, v43
	v_ldexp_f32 v39, v39, v40
	v_cndmask_b32_e64 v34, 0x7f800000, v34, s7
	v_ldexp_f32 v35, v35, v45
	v_exp_f32_e32 v20, v20
	v_cndmask_b32_e64 v32, 0, v39, s0
	v_cvt_i32_f32_e32 v39, v44
	v_cndmask_b32_e64 v33, 0, v35, s1
	v_cndmask_b32_e64 v35, 0x7f800000, v36, s3
	v_cvt_f16_f32_e32 v36, v47
	v_cndmask_b32_e64 v32, 0x7f800000, v32, s2
	v_cmp_ngt_f32_e64 s0, 0xc2ce8ed0, v18
	v_cndmask_b32_e64 v33, 0x7f800000, v33, s6
	v_cvt_f16_f32_e32 v40, v35
	v_ldexp_f32 v20, v20, v39
	v_cvt_f16_f32_e32 v39, v32
	v_cmp_nlt_f32_e64 s1, 0x42b17218, v18
	v_cvt_f16_f32_e32 v43, v33
	v_add_f32_e32 v116, v47, v35
	v_cndmask_b32_e64 v18, 0, v20, s0
	v_pack_b32_f16 v36, v36, v39
	v_add_f32_e32 v118, v32, v33
	v_pack_b32_f16 v39, v40, v43
	v_fmac_f32_e32 v116, v30, v34
	v_cndmask_b32_e64 v35, 0x7f800000, v18, s1
	v_cvt_f16_f32_e32 v40, v34
	v_add_co_ci_u32_e64 v20, null, 0, v41, s10
	v_add_co_ci_u32_e64 v18, null, 0, v42, vcc_lo
	v_fmac_f32_e32 v118, v29, v35
	ds_write2_b32 v31, v36, v39 offset1:32
	s_waitcnt vmcnt(3)
	ds_write_b128 v103, v[1:4]
	s_waitcnt vmcnt(2)
	ds_write_b128 v106, v[5:8]
	;; [unrolled: 2-line block ×4, first 2 shown]
	s_waitcnt lgkmcnt(0)
	s_barrier
	buffer_gl0_inv
	ds_read_b128 v[13:16], v104
	ds_read_b128 v[30:33], v104 offset:16
	v_cvt_f16_f32_e32 v1, v35
	v_mul_u32_u24_sdwa v6, v40, v110 dst_sel:DWORD dst_unused:UNUSED_PAD src0_sel:WORD_0 src1_sel:DWORD
	v_mul_u32_u24_sdwa v5, v1, v110 dst_sel:DWORD dst_unused:UNUSED_PAD src0_sel:WORD_0 src1_sel:DWORD
	ds_read2_b64 v[39:42], v95 offset1:32
	ds_read_b128 v[43:46], v104 offset:32
	ds_read_b128 v[47:50], v104 offset:48
	;; [unrolled: 1-line block ×4, first 2 shown]
	ds_read2_b64 v[51:54], v95 offset0:64 offset1:96
	ds_read2_b64 v[55:58], v95 offset0:128 offset1:160
	;; [unrolled: 1-line block ×3, first 2 shown]
	v_pk_mul_f16 v7, v28, v6
	v_pk_mul_f16 v8, v26, v5
	s_waitcnt lgkmcnt(9)
	v_mul_u32_u24_sdwa v26, v13, v110 dst_sel:DWORD dst_unused:UNUSED_PAD src0_sel:WORD_0 src1_sel:DWORD
	v_mul_u32_u24_sdwa v36, v13, v110 dst_sel:DWORD dst_unused:UNUSED_PAD src0_sel:WORD_1 src1_sel:DWORD
	s_waitcnt lgkmcnt(8)
	v_mul_u32_u24_sdwa v119, v32, v110 dst_sel:DWORD dst_unused:UNUSED_PAD src0_sel:WORD_0 src1_sel:DWORD
	v_mul_u32_u24_sdwa v120, v32, v110 dst_sel:DWORD dst_unused:UNUSED_PAD src0_sel:WORD_1 src1_sel:DWORD
	v_mul_u32_u24_sdwa v63, v14, v110 dst_sel:DWORD dst_unused:UNUSED_PAD src0_sel:WORD_0 src1_sel:DWORD
	s_waitcnt lgkmcnt(7)
	v_pk_mul_f16 v32, v39, v26
	v_pk_mul_f16 v39, v39, v36
	v_mul_u32_u24_sdwa v64, v14, v110 dst_sel:DWORD dst_unused:UNUSED_PAD src0_sel:WORD_1 src1_sel:DWORD
	v_pk_fma_f16 v7, v40, v26, v7
	v_pk_fma_f16 v8, v40, v36, v8
	;; [unrolled: 1-line block ×4, first 2 shown]
	v_mul_u32_u24_sdwa v65, v15, v110 dst_sel:DWORD dst_unused:UNUSED_PAD src0_sel:WORD_0 src1_sel:DWORD
	v_mul_u32_u24_sdwa v66, v15, v110 dst_sel:DWORD dst_unused:UNUSED_PAD src0_sel:WORD_1 src1_sel:DWORD
	v_pk_fma_f16 v7, v42, v63, v7
	v_pk_fma_f16 v6, v41, v63, v6
	;; [unrolled: 1-line block ×4, first 2 shown]
	v_mul_u32_u24_sdwa v67, v16, v110 dst_sel:DWORD dst_unused:UNUSED_PAD src0_sel:WORD_0 src1_sel:DWORD
	v_mul_u32_u24_sdwa v68, v16, v110 dst_sel:DWORD dst_unused:UNUSED_PAD src0_sel:WORD_1 src1_sel:DWORD
	s_waitcnt lgkmcnt(2)
	v_pk_fma_f16 v7, v52, v65, v7
	v_pk_fma_f16 v6, v51, v65, v6
	;; [unrolled: 1-line block ×4, first 2 shown]
	v_mul_u32_u24_sdwa v69, v30, v110 dst_sel:DWORD dst_unused:UNUSED_PAD src0_sel:WORD_0 src1_sel:DWORD
	v_mul_u32_u24_sdwa v70, v30, v110 dst_sel:DWORD dst_unused:UNUSED_PAD src0_sel:WORD_1 src1_sel:DWORD
	v_pk_fma_f16 v27, v54, v67, v7
	v_pk_fma_f16 v36, v53, v67, v6
	;; [unrolled: 1-line block ×4, first 2 shown]
	v_mul_u32_u24_sdwa v71, v31, v110 dst_sel:DWORD dst_unused:UNUSED_PAD src0_sel:WORD_0 src1_sel:DWORD
	v_mul_u32_u24_sdwa v72, v31, v110 dst_sel:DWORD dst_unused:UNUSED_PAD src0_sel:WORD_1 src1_sel:DWORD
	ds_read2_b64 v[28:31], v38 offset1:32
	s_waitcnt lgkmcnt(2)
	v_pk_fma_f16 v27, v56, v69, v27
	v_pk_fma_f16 v36, v55, v69, v36
	;; [unrolled: 1-line block ×4, first 2 shown]
	v_mul_u32_u24_sdwa v121, v33, v110 dst_sel:DWORD dst_unused:UNUSED_PAD src0_sel:WORD_0 src1_sel:DWORD
	v_pk_fma_f16 v27, v58, v71, v27
	v_pk_fma_f16 v36, v57, v71, v36
	;; [unrolled: 1-line block ×4, first 2 shown]
	v_mul_u32_u24_sdwa v122, v33, v110 dst_sel:DWORD dst_unused:UNUSED_PAD src0_sel:WORD_1 src1_sel:DWORD
	ds_read2_b64 v[32:35], v38 offset0:64 offset1:96
	s_waitcnt lgkmcnt(2)
	v_pk_fma_f16 v27, v60, v119, v27
	v_pk_fma_f16 v36, v59, v119, v36
	;; [unrolled: 1-line block ×4, first 2 shown]
	v_mul_u32_u24_sdwa v123, v43, v110 dst_sel:DWORD dst_unused:UNUSED_PAD src0_sel:WORD_0 src1_sel:DWORD
	v_mul_u32_u24_sdwa v124, v43, v110 dst_sel:DWORD dst_unused:UNUSED_PAD src0_sel:WORD_1 src1_sel:DWORD
	v_pk_fma_f16 v27, v62, v121, v27
	v_pk_fma_f16 v36, v61, v121, v36
	;; [unrolled: 1-line block ×4, first 2 shown]
	v_mul_u32_u24_sdwa v125, v44, v110 dst_sel:DWORD dst_unused:UNUSED_PAD src0_sel:WORD_0 src1_sel:DWORD
	v_mul_u32_u24_sdwa v126, v44, v110 dst_sel:DWORD dst_unused:UNUSED_PAD src0_sel:WORD_1 src1_sel:DWORD
	v_mul_u32_u24_sdwa v127, v45, v110 dst_sel:DWORD dst_unused:UNUSED_PAD src0_sel:WORD_0 src1_sel:DWORD
	v_mul_u32_u24_sdwa v73, v45, v110 dst_sel:DWORD dst_unused:UNUSED_PAD src0_sel:WORD_1 src1_sel:DWORD
	;; [unrolled: 2-line block ×3, first 2 shown]
	ds_read2_b64 v[43:46], v38 offset0:128 offset1:160
	s_waitcnt lgkmcnt(2)
	v_pk_fma_f16 v27, v29, v123, v27
	v_pk_fma_f16 v36, v28, v123, v36
	;; [unrolled: 1-line block ×4, first 2 shown]
	ds_read2_b64 v[39:42], v38 offset0:192 offset1:224
	v_pk_fma_f16 v68, v31, v125, v27
	v_pk_fma_f16 v36, v30, v125, v36
	;; [unrolled: 1-line block ×4, first 2 shown]
	v_mul_u32_u24_sdwa v99, v47, v110 dst_sel:DWORD dst_unused:UNUSED_PAD src0_sel:WORD_0 src1_sel:DWORD
	s_waitcnt lgkmcnt(2)
	v_pk_fma_f16 v31, v33, v127, v68
	v_pk_fma_f16 v36, v32, v127, v36
	;; [unrolled: 1-line block ×4, first 2 shown]
	v_mul_u32_u24_sdwa v100, v47, v110 dst_sel:DWORD dst_unused:UNUSED_PAD src0_sel:WORD_1 src1_sel:DWORD
	v_pk_fma_f16 v72, v35, v97, v31
	v_pk_fma_f16 v73, v34, v97, v36
	;; [unrolled: 1-line block ×4, first 2 shown]
	v_mul_u32_u24_sdwa v101, v48, v110 dst_sel:DWORD dst_unused:UNUSED_PAD src0_sel:WORD_0 src1_sel:DWORD
	v_mul_u32_u24_sdwa v105, v48, v110 dst_sel:DWORD dst_unused:UNUSED_PAD src0_sel:WORD_1 src1_sel:DWORD
	v_mul_u32_u24_sdwa v16, v49, v110 dst_sel:DWORD dst_unused:UNUSED_PAD src0_sel:WORD_0 src1_sel:DWORD
	v_mul_u32_u24_sdwa v15, v49, v110 dst_sel:DWORD dst_unused:UNUSED_PAD src0_sel:WORD_1 src1_sel:DWORD
	v_mul_u32_u24_sdwa v14, v50, v110 dst_sel:DWORD dst_unused:UNUSED_PAD src0_sel:WORD_0 src1_sel:DWORD
	v_mul_u32_u24_sdwa v13, v50, v110 dst_sel:DWORD dst_unused:UNUSED_PAD src0_sel:WORD_1 src1_sel:DWORD
	ds_read2_b64 v[5:8], v37 offset1:32
	ds_read2_b64 v[47:50], v37 offset0:64 offset1:96
	ds_read2_b64 v[51:54], v37 offset0:128 offset1:160
	;; [unrolled: 1-line block ×3, first 2 shown]
	ds_read2_b64 v[63:66], v117 offset1:32
	ds_read2_b64 v[59:62], v117 offset0:64 offset1:96
	ds_read2_b64 v[25:28], v117 offset0:128 offset1:160
	ds_read_b128 v[67:70], v104 offset:96
	ds_read_b128 v[29:32], v104 offset:112
	ds_read2_b64 v[33:36], v117 offset0:192 offset1:224
	s_waitcnt lgkmcnt(0)
	s_barrier
	buffer_gl0_inv
	v_pk_fma_f16 v71, v44, v99, v72
	v_pk_fma_f16 v72, v43, v99, v73
	global_load_dwordx4 v[119:122], v[23:24], off
	v_pk_fma_f16 v23, v44, v100, v97
	v_pk_fma_f16 v0, v43, v100, v0
	;; [unrolled: 1-line block ×4, first 2 shown]
	v_mul_u32_u24_sdwa v24, v9, v110 dst_sel:DWORD dst_unused:UNUSED_PAD src0_sel:WORD_0 src1_sel:DWORD
	v_pk_fma_f16 v23, v46, v105, v23
	v_pk_fma_f16 v0, v45, v105, v0
	;; [unrolled: 1-line block ×4, first 2 shown]
	v_mul_u32_u24_sdwa v71, v9, v110 dst_sel:DWORD dst_unused:UNUSED_PAD src0_sel:WORD_1 src1_sel:DWORD
	v_pk_fma_f16 v23, v40, v15, v23
	v_pk_fma_f16 v0, v39, v15, v0
	v_mul_u32_u24_sdwa v45, v10, v110 dst_sel:DWORD dst_unused:UNUSED_PAD src0_sel:WORD_0 src1_sel:DWORD
	v_mul_u32_u24_sdwa v46, v10, v110 dst_sel:DWORD dst_unused:UNUSED_PAD src0_sel:WORD_1 src1_sel:DWORD
	v_mul_u32_u24_sdwa v72, v11, v110 dst_sel:DWORD dst_unused:UNUSED_PAD src0_sel:WORD_0 src1_sel:DWORD
	v_mul_u32_u24_sdwa v73, v11, v110 dst_sel:DWORD dst_unused:UNUSED_PAD src0_sel:WORD_1 src1_sel:DWORD
	;; [unrolled: 2-line block ×3, first 2 shown]
	s_clause 0x1
	global_load_dwordx4 v[9:12], v[21:22], off
	global_load_dwordx4 v[19:22], v[19:20], off
	v_mul_u32_u24_sdwa v15, v1, v110 dst_sel:DWORD dst_unused:UNUSED_PAD src0_sel:WORD_0 src1_sel:DWORD
	v_pk_fma_f16 v39, v42, v14, v43
	v_pk_fma_f16 v14, v41, v14, v16
	v_mul_u32_u24_sdwa v16, v1, v110 dst_sel:DWORD dst_unused:UNUSED_PAD src0_sel:WORD_1 src1_sel:DWORD
	v_pk_fma_f16 v23, v42, v13, v23
	v_pk_fma_f16 v0, v41, v13, v0
	v_mul_u32_u24_sdwa v13, v2, v110 dst_sel:DWORD dst_unused:UNUSED_PAD src0_sel:WORD_0 src1_sel:DWORD
	v_mul_u32_u24_sdwa v40, v2, v110 dst_sel:DWORD dst_unused:UNUSED_PAD src0_sel:WORD_1 src1_sel:DWORD
	v_mul_u32_u24_sdwa v41, v3, v110 dst_sel:DWORD dst_unused:UNUSED_PAD src0_sel:WORD_0 src1_sel:DWORD
	v_mul_u32_u24_sdwa v42, v3, v110 dst_sel:DWORD dst_unused:UNUSED_PAD src0_sel:WORD_1 src1_sel:DWORD
	;; [unrolled: 2-line block ×3, first 2 shown]
	global_load_dwordx4 v[1:4], v[17:18], off
	v_pk_fma_f16 v18, v6, v24, v39
	v_pk_fma_f16 v6, v6, v71, v23
	v_pk_fma_f16 v14, v5, v24, v14
	v_pk_fma_f16 v0, v5, v71, v0
	v_mul_u32_u24_sdwa v17, v67, v110 dst_sel:DWORD dst_unused:UNUSED_PAD src0_sel:WORD_0 src1_sel:DWORD
	v_pk_fma_f16 v18, v8, v45, v18
	v_pk_fma_f16 v6, v8, v46, v6
	v_pk_fma_f16 v8, v7, v45, v14
	v_pk_fma_f16 v0, v7, v46, v0
	v_mul_u32_u24_sdwa v23, v67, v110 dst_sel:DWORD dst_unused:UNUSED_PAD src0_sel:WORD_1 src1_sel:DWORD
	v_pk_fma_f16 v14, v48, v72, v18
	v_pk_fma_f16 v6, v48, v73, v6
	v_pk_fma_f16 v8, v47, v72, v8
	v_pk_fma_f16 v0, v47, v73, v0
	v_mul_u32_u24_sdwa v5, v68, v110 dst_sel:DWORD dst_unused:UNUSED_PAD src0_sel:WORD_0 src1_sel:DWORD
	v_pk_fma_f16 v14, v50, v97, v14
	v_pk_fma_f16 v6, v50, v99, v6
	v_pk_fma_f16 v8, v49, v97, v8
	v_pk_fma_f16 v0, v49, v99, v0
	v_mul_u32_u24_sdwa v7, v68, v110 dst_sel:DWORD dst_unused:UNUSED_PAD src0_sel:WORD_1 src1_sel:DWORD
	v_pk_fma_f16 v14, v52, v15, v14
	v_pk_fma_f16 v6, v52, v16, v6
	v_pk_fma_f16 v8, v51, v15, v8
	v_pk_fma_f16 v0, v51, v16, v0
	v_mul_u32_u24_sdwa v18, v69, v110 dst_sel:DWORD dst_unused:UNUSED_PAD src0_sel:WORD_0 src1_sel:DWORD
	v_pk_fma_f16 v14, v54, v13, v14
	v_pk_fma_f16 v6, v54, v40, v6
	v_pk_fma_f16 v8, v53, v13, v8
	v_pk_fma_f16 v0, v53, v40, v0
	v_mul_u32_u24_sdwa v24, v69, v110 dst_sel:DWORD dst_unused:UNUSED_PAD src0_sel:WORD_1 src1_sel:DWORD
	v_pk_fma_f16 v14, v56, v41, v14
	v_pk_fma_f16 v6, v56, v42, v6
	v_pk_fma_f16 v8, v55, v41, v8
	v_pk_fma_f16 v0, v55, v42, v0
	v_mul_u32_u24_sdwa v15, v70, v110 dst_sel:DWORD dst_unused:UNUSED_PAD src0_sel:WORD_0 src1_sel:DWORD
	v_pk_fma_f16 v14, v58, v43, v14
	v_pk_fma_f16 v6, v58, v44, v6
	v_pk_fma_f16 v8, v57, v43, v8
	v_pk_fma_f16 v0, v57, v44, v0
	v_mul_u32_u24_sdwa v13, v70, v110 dst_sel:DWORD dst_unused:UNUSED_PAD src0_sel:WORD_1 src1_sel:DWORD
	v_pk_fma_f16 v14, v64, v17, v14
	v_pk_fma_f16 v6, v64, v23, v6
	v_pk_fma_f16 v8, v63, v17, v8
	v_pk_fma_f16 v0, v63, v23, v0
	v_mul_u32_u24_sdwa v16, v29, v110 dst_sel:DWORD dst_unused:UNUSED_PAD src0_sel:WORD_0 src1_sel:DWORD
	v_pk_fma_f16 v14, v66, v5, v14
	v_pk_fma_f16 v6, v66, v7, v6
	v_pk_fma_f16 v5, v65, v5, v8
	v_pk_fma_f16 v0, v65, v7, v0
	v_mul_u32_u24_sdwa v29, v29, v110 dst_sel:DWORD dst_unused:UNUSED_PAD src0_sel:WORD_1 src1_sel:DWORD
	v_pk_fma_f16 v8, v60, v18, v14
	v_pk_fma_f16 v6, v60, v24, v6
	v_pk_fma_f16 v5, v59, v18, v5
	v_pk_fma_f16 v0, v59, v24, v0
	v_mul_u32_u24_sdwa v17, v30, v110 dst_sel:DWORD dst_unused:UNUSED_PAD src0_sel:WORD_0 src1_sel:DWORD
	v_pk_fma_f16 v8, v62, v15, v8
	v_pk_fma_f16 v6, v62, v13, v6
	v_pk_fma_f16 v5, v61, v15, v5
	v_pk_fma_f16 v0, v61, v13, v0
	v_mul_u32_u24_sdwa v7, v30, v110 dst_sel:DWORD dst_unused:UNUSED_PAD src0_sel:WORD_1 src1_sel:DWORD
	v_pk_fma_f16 v8, v26, v16, v8
	v_pk_fma_f16 v6, v26, v29, v6
	;; [unrolled: 1-line block ×4, first 2 shown]
	v_mul_u32_u24_sdwa v14, v31, v110 dst_sel:DWORD dst_unused:UNUSED_PAD src0_sel:WORD_0 src1_sel:DWORD
	v_mul_u32_u24_sdwa v13, v31, v110 dst_sel:DWORD dst_unused:UNUSED_PAD src0_sel:WORD_1 src1_sel:DWORD
	v_pk_fma_f16 v8, v28, v17, v8
	v_pk_fma_f16 v6, v28, v7, v6
	;; [unrolled: 1-line block ×4, first 2 shown]
	v_mul_u32_u24_sdwa v15, v32, v110 dst_sel:DWORD dst_unused:UNUSED_PAD src0_sel:WORD_0 src1_sel:DWORD
	v_mul_u32_u24_sdwa v7, v32, v110 dst_sel:DWORD dst_unused:UNUSED_PAD src0_sel:WORD_1 src1_sel:DWORD
	v_pk_fma_f16 v8, v34, v14, v8
	v_pk_fma_f16 v6, v34, v13, v6
	;; [unrolled: 1-line block ×4, first 2 shown]
	s_waitcnt vmcnt(3)
	ds_write_b128 v103, v[119:122]
	s_waitcnt vmcnt(2)
	ds_write_b128 v106, v[9:12]
	;; [unrolled: 2-line block ×4, first 2 shown]
	s_waitcnt lgkmcnt(0)
	s_barrier
	buffer_gl0_inv
	ds_read_b128 v[53:56], v104 offset:128
	v_pk_fma_f16 v39, v36, v15, v8
	v_pk_fma_f16 v40, v36, v7, v6
	;; [unrolled: 1-line block ×4, first 2 shown]
	ds_read2_b64 v[119:122], v95 offset1:32
	ds_read_b128 v[61:64], v104 offset:144
	ds_read_b128 v[45:48], v104 offset:160
	;; [unrolled: 1-line block ×3, first 2 shown]
	ds_read2_b64 v[65:68], v95 offset0:64 offset1:96
	ds_read2_b64 v[57:60], v95 offset0:128 offset1:160
	;; [unrolled: 1-line block ×3, first 2 shown]
	ds_read2_b64 v[33:36], v38 offset1:32
	ds_read2_b64 v[9:12], v38 offset0:64 offset1:96
	ds_read2_b64 v[1:4], v38 offset0:128 offset1:160
	;; [unrolled: 1-line block ×3, first 2 shown]
	ds_read2_b64 v[13:16], v37 offset1:32
	ds_read2_b64 v[17:20], v37 offset0:64 offset1:96
	ds_read2_b64 v[21:24], v37 offset0:128 offset1:160
	ds_read_b128 v[69:72], v104 offset:192
	ds_read_b128 v[41:44], v104 offset:208
	ds_read2_b64 v[25:28], v37 offset0:192 offset1:224
	s_waitcnt lgkmcnt(17)
	v_mul_u32_u24_sdwa v38, v53, v110 dst_sel:DWORD dst_unused:UNUSED_PAD src0_sel:WORD_0 src1_sel:DWORD
	v_mul_u32_u24_sdwa v37, v53, v110 dst_sel:DWORD dst_unused:UNUSED_PAD src0_sel:WORD_1 src1_sel:DWORD
	v_mul_u32_u24_sdwa v53, v54, v110 dst_sel:DWORD dst_unused:UNUSED_PAD src0_sel:WORD_0 src1_sel:DWORD
	v_mul_u32_u24_sdwa v99, v55, v110 dst_sel:DWORD dst_unused:UNUSED_PAD src0_sel:WORD_1 src1_sel:DWORD
	v_mul_u32_u24_sdwa v100, v56, v110 dst_sel:DWORD dst_unused:UNUSED_PAD src0_sel:WORD_0 src1_sel:DWORD
	s_waitcnt lgkmcnt(16)
	v_pk_fma_f16 v73, v119, v38, v73
	v_pk_fma_f16 v38, v120, v38, v39
	v_mul_u32_u24_sdwa v39, v54, v110 dst_sel:DWORD dst_unused:UNUSED_PAD src0_sel:WORD_1 src1_sel:DWORD
	v_pk_fma_f16 v0, v119, v37, v0
	v_pk_fma_f16 v37, v120, v37, v40
	v_mul_u32_u24_sdwa v54, v55, v110 dst_sel:DWORD dst_unused:UNUSED_PAD src0_sel:WORD_0 src1_sel:DWORD
	v_pk_fma_f16 v73, v121, v53, v73
	v_pk_fma_f16 v53, v122, v53, v38
	;; [unrolled: 1-line block ×4, first 2 shown]
	v_mul_u32_u24_sdwa v101, v56, v110 dst_sel:DWORD dst_unused:UNUSED_PAD src0_sel:WORD_1 src1_sel:DWORD
	s_waitcnt lgkmcnt(12)
	v_pk_fma_f16 v73, v65, v54, v73
	v_pk_fma_f16 v105, v66, v54, v53
	;; [unrolled: 1-line block ×4, first 2 shown]
	v_mul_u32_u24_sdwa v66, v61, v110 dst_sel:DWORD dst_unused:UNUSED_PAD src0_sel:WORD_0 src1_sel:DWORD
	v_pk_fma_f16 v73, v67, v100, v73
	v_pk_fma_f16 v97, v68, v100, v105
	v_mul_u32_u24_sdwa v99, v61, v110 dst_sel:DWORD dst_unused:UNUSED_PAD src0_sel:WORD_1 src1_sel:DWORD
	v_pk_fma_f16 v0, v67, v101, v0
	v_pk_fma_f16 v65, v68, v101, v65
	v_mul_u32_u24_sdwa v67, v62, v110 dst_sel:DWORD dst_unused:UNUSED_PAD src0_sel:WORD_0 src1_sel:DWORD
	v_mul_u32_u24_sdwa v68, v62, v110 dst_sel:DWORD dst_unused:UNUSED_PAD src0_sel:WORD_1 src1_sel:DWORD
	s_waitcnt lgkmcnt(11)
	v_pk_fma_f16 v73, v57, v66, v73
	v_pk_fma_f16 v66, v58, v66, v97
	v_pk_fma_f16 v0, v57, v99, v0
	v_pk_fma_f16 v57, v58, v99, v65
	v_mul_u32_u24_sdwa v100, v63, v110 dst_sel:DWORD dst_unused:UNUSED_PAD src0_sel:WORD_0 src1_sel:DWORD
	v_mul_u32_u24_sdwa v101, v63, v110 dst_sel:DWORD dst_unused:UNUSED_PAD src0_sel:WORD_1 src1_sel:DWORD
	v_pk_fma_f16 v65, v59, v67, v73
	v_pk_fma_f16 v66, v60, v67, v66
	v_pk_fma_f16 v0, v59, v68, v0
	v_pk_fma_f16 v57, v60, v68, v57
	v_mul_u32_u24_sdwa v105, v64, v110 dst_sel:DWORD dst_unused:UNUSED_PAD src0_sel:WORD_0 src1_sel:DWORD
	v_mul_u32_u24_sdwa v119, v64, v110 dst_sel:DWORD dst_unused:UNUSED_PAD src0_sel:WORD_1 src1_sel:DWORD
	s_waitcnt lgkmcnt(10)
	v_pk_fma_f16 v65, v49, v100, v65
	v_pk_fma_f16 v66, v50, v100, v66
	v_pk_fma_f16 v0, v49, v101, v0
	v_pk_fma_f16 v49, v50, v101, v57
	v_mul_u32_u24_sdwa v58, v45, v110 dst_sel:DWORD dst_unused:UNUSED_PAD src0_sel:WORD_0 src1_sel:DWORD
	v_mul_u32_u24_sdwa v67, v45, v110 dst_sel:DWORD dst_unused:UNUSED_PAD src0_sel:WORD_1 src1_sel:DWORD
	v_pk_fma_f16 v57, v51, v105, v65
	v_pk_fma_f16 v65, v52, v105, v66
	;; [unrolled: 13-line block ×3, first 2 shown]
	v_pk_fma_f16 v0, v35, v60, v0
	v_pk_fma_f16 v60, v36, v60, v33
	v_mul_u32_u24_sdwa v97, v48, v110 dst_sel:DWORD dst_unused:UNUSED_PAD src0_sel:WORD_0 src1_sel:DWORD
	v_mul_u32_u24_sdwa v99, v48, v110 dst_sel:DWORD dst_unused:UNUSED_PAD src0_sel:WORD_1 src1_sel:DWORD
	s_waitcnt lgkmcnt(8)
	v_pk_fma_f16 v57, v9, v68, v57
	v_pk_fma_f16 v58, v10, v68, v58
	;; [unrolled: 1-line block ×4, first 2 shown]
	v_mul_u32_u24_sdwa v50, v29, v110 dst_sel:DWORD dst_unused:UNUSED_PAD src0_sel:WORD_0 src1_sel:DWORD
	v_mul_u32_u24_sdwa v66, v29, v110 dst_sel:DWORD dst_unused:UNUSED_PAD src0_sel:WORD_1 src1_sel:DWORD
	s_waitcnt lgkmcnt(1)
	v_mul_u32_u24_sdwa v68, v41, v110 dst_sel:DWORD dst_unused:UNUSED_PAD src0_sel:WORD_0 src1_sel:DWORD
	v_mul_u32_u24_sdwa v10, v41, v110 dst_sel:DWORD dst_unused:UNUSED_PAD src0_sel:WORD_1 src1_sel:DWORD
	v_pk_fma_f16 v41, v11, v97, v57
	v_pk_fma_f16 v57, v12, v97, v58
	v_pk_fma_f16 v0, v11, v99, v0
	v_pk_fma_f16 v9, v12, v99, v9
	v_mul_u32_u24_sdwa v51, v30, v110 dst_sel:DWORD dst_unused:UNUSED_PAD src0_sel:WORD_0 src1_sel:DWORD
	v_mul_u32_u24_sdwa v52, v30, v110 dst_sel:DWORD dst_unused:UNUSED_PAD src0_sel:WORD_1 src1_sel:DWORD
	v_pk_fma_f16 v41, v1, v50, v41
	v_pk_fma_f16 v0, v1, v66, v0
	v_pk_fma_f16 v1, v2, v50, v57
	v_pk_fma_f16 v2, v2, v66, v9
	;; [unrolled: 6-line block ×8, first 2 shown]
	ds_read_b128 v[45:48], v104 offset:224
	ds_read_b128 v[29:32], v104 offset:240
	v_pk_fma_f16 v4, v19, v71, v4
	v_pk_fma_f16 v0, v19, v72, v0
	;; [unrolled: 1-line block ×4, first 2 shown]
	ds_read2_b64 v[37:40], v117 offset1:32
	v_mul_u32_u24_sdwa v58, v42, v110 dst_sel:DWORD dst_unused:UNUSED_PAD src0_sel:WORD_0 src1_sel:DWORD
	v_mul_u32_u24_sdwa v11, v42, v110 dst_sel:DWORD dst_unused:UNUSED_PAD src0_sel:WORD_1 src1_sel:DWORD
	v_pk_fma_f16 v4, v21, v68, v4
	v_pk_fma_f16 v0, v21, v10, v0
	;; [unrolled: 1-line block ×4, first 2 shown]
	v_mul_u32_u24_sdwa v12, v43, v110 dst_sel:DWORD dst_unused:UNUSED_PAD src0_sel:WORD_0 src1_sel:DWORD
	v_mul_u32_u24_sdwa v42, v43, v110 dst_sel:DWORD dst_unused:UNUSED_PAD src0_sel:WORD_1 src1_sel:DWORD
	v_pk_fma_f16 v4, v23, v58, v4
	v_pk_fma_f16 v0, v23, v11, v0
	;; [unrolled: 1-line block ×4, first 2 shown]
	ds_read2_b64 v[53:56], v117 offset0:64 offset1:96
	v_mul_u32_u24_sdwa v9, v44, v110 dst_sel:DWORD dst_unused:UNUSED_PAD src0_sel:WORD_0 src1_sel:DWORD
	v_mul_u32_u24_sdwa v3, v44, v110 dst_sel:DWORD dst_unused:UNUSED_PAD src0_sel:WORD_1 src1_sel:DWORD
	s_waitcnt lgkmcnt(4)
	v_pk_fma_f16 v4, v25, v12, v4
	v_pk_fma_f16 v0, v25, v42, v0
	;; [unrolled: 1-line block ×4, first 2 shown]
	s_waitcnt lgkmcnt(3)
	v_mul_u32_u24_sdwa v5, v45, v110 dst_sel:DWORD dst_unused:UNUSED_PAD src0_sel:WORD_0 src1_sel:DWORD
	v_mul_u32_u24_sdwa v6, v45, v110 dst_sel:DWORD dst_unused:UNUSED_PAD src0_sel:WORD_1 src1_sel:DWORD
	v_pk_fma_f16 v4, v27, v9, v4
	v_pk_fma_f16 v0, v27, v3, v0
	;; [unrolled: 1-line block ×4, first 2 shown]
	ds_read2_b64 v[61:64], v117 offset0:128 offset1:160
	v_mul_u32_u24_sdwa v7, v46, v110 dst_sel:DWORD dst_unused:UNUSED_PAD src0_sel:WORD_0 src1_sel:DWORD
	v_mul_u32_u24_sdwa v8, v46, v110 dst_sel:DWORD dst_unused:UNUSED_PAD src0_sel:WORD_1 src1_sel:DWORD
	s_waitcnt lgkmcnt(2)
	v_pk_fma_f16 v4, v37, v5, v4
	v_pk_fma_f16 v0, v37, v6, v0
	;; [unrolled: 1-line block ×4, first 2 shown]
	v_mul_u32_u24_sdwa v13, v47, v110 dst_sel:DWORD dst_unused:UNUSED_PAD src0_sel:WORD_0 src1_sel:DWORD
	v_mul_u32_u24_sdwa v14, v47, v110 dst_sel:DWORD dst_unused:UNUSED_PAD src0_sel:WORD_1 src1_sel:DWORD
	v_pk_fma_f16 v4, v39, v7, v4
	v_pk_fma_f16 v0, v39, v8, v0
	;; [unrolled: 1-line block ×4, first 2 shown]
	ds_read2_b64 v[33:36], v117 offset0:192 offset1:224
	v_mul_u32_u24_sdwa v10, v48, v110 dst_sel:DWORD dst_unused:UNUSED_PAD src0_sel:WORD_0 src1_sel:DWORD
	v_mul_u32_u24_sdwa v11, v48, v110 dst_sel:DWORD dst_unused:UNUSED_PAD src0_sel:WORD_1 src1_sel:DWORD
	s_waitcnt lgkmcnt(2)
	v_pk_fma_f16 v4, v53, v13, v4
	v_pk_fma_f16 v0, v53, v14, v0
	;; [unrolled: 1-line block ×4, first 2 shown]
	s_waitcnt lgkmcnt(0)
	s_barrier
	buffer_gl0_inv
	s_load_dword s0, s[12:13], 0x4
	v_mul_u32_u24_sdwa v12, v29, v110 dst_sel:DWORD dst_unused:UNUSED_PAD src0_sel:WORD_0 src1_sel:DWORD
	v_mul_u32_u24_sdwa v3, v29, v110 dst_sel:DWORD dst_unused:UNUSED_PAD src0_sel:WORD_1 src1_sel:DWORD
	v_pk_fma_f16 v4, v55, v10, v4
	v_pk_fma_f16 v0, v55, v11, v0
	v_pk_fma_f16 v1, v56, v10, v1
	v_pk_fma_f16 v2, v56, v11, v2
	v_mul_u32_u24_sdwa v5, v30, v110 dst_sel:DWORD dst_unused:UNUSED_PAD src0_sel:WORD_0 src1_sel:DWORD
	v_mul_u32_u24_sdwa v6, v30, v110 dst_sel:DWORD dst_unused:UNUSED_PAD src0_sel:WORD_1 src1_sel:DWORD
	v_pk_fma_f16 v4, v61, v12, v4
	v_pk_fma_f16 v0, v61, v3, v0
	v_pk_fma_f16 v1, v62, v12, v1
	v_pk_fma_f16 v2, v62, v3, v2
	;; [unrolled: 6-line block ×4, first 2 shown]
	s_waitcnt lgkmcnt(0)
	s_lshl_b32 s0, s0, 6
	v_pk_fma_f16 v27, v35, v3, v4
	v_pk_fma_f16 v25, v35, v5, v0
	;; [unrolled: 1-line block ×4, first 2 shown]
	s_add_i32 s14, s0, s14
	s_cmp_ge_i32 s14, s34
	s_cbranch_scc1 .LBB83_28
; %bb.26:                               ;   in Loop: Header=BB83_9 Depth=1
	v_mov_b32_e32 v17, v91
	v_mov_b32_e32 v18, v92
	;; [unrolled: 1-line block ×5, first 2 shown]
	s_branch .LBB83_9
.LBB83_27:
	v_mov_b32_e32 v27, 0
	v_mov_b32_e32 v118, 0
	;; [unrolled: 1-line block ×8, first 2 shown]
	s_branch .LBB83_29
.LBB83_28:
	v_mov_b32_e32 v3, v96
	v_mov_b32_e32 v41, v74
.LBB83_29:
	buffer_load_dword v0, off, s[40:43], 0 offset:16 ; 4-byte Folded Reload
	s_cmp_lg_u64 s[16:17], 0
	s_cselect_b32 s0, -1, 0
	s_cmp_eq_u32 s28, 0
	s_cselect_b32 s1, -1, 0
	s_and_b32 s0, s1, s0
	s_waitcnt vmcnt(0)
	v_cmp_lt_i32_e32 vcc_lo, v115, v0
	v_cndmask_b32_e32 v1, v3, v115, vcc_lo
	v_cmp_lt_i32_e32 vcc_lo, v111, v0
	v_lshlrev_b32_e32 v1, 2, v1
	v_cndmask_b32_e32 v4, v3, v111, vcc_lo
	v_cmp_lt_i32_e32 vcc_lo, v112, v0
	ds_bpermute_b32 v2, v1, v116
	ds_bpermute_b32 v1, v1, v118
	v_lshlrev_b32_e32 v4, 2, v4
	v_cndmask_b32_e32 v6, v3, v112, vcc_lo
	v_cmp_lt_i32_e32 vcc_lo, v113, v0
	v_lshlrev_b32_e32 v6, 2, v6
	s_waitcnt lgkmcnt(1)
	v_add_f32_e32 v2, v116, v2
	s_waitcnt lgkmcnt(0)
	v_add_f32_e32 v1, v118, v1
	ds_bpermute_b32 v5, v4, v2
	ds_bpermute_b32 v4, v4, v1
	s_waitcnt lgkmcnt(1)
	v_add_f32_e32 v2, v2, v5
	s_waitcnt lgkmcnt(0)
	v_add_f32_e32 v1, v1, v4
	ds_bpermute_b32 v4, v6, v2
	ds_bpermute_b32 v5, v6, v1
	v_cndmask_b32_e32 v6, v3, v113, vcc_lo
	v_cmp_lt_i32_e32 vcc_lo, v114, v0
	v_lshlrev_b32_e32 v6, 2, v6
	v_cndmask_b32_e32 v3, v3, v114, vcc_lo
	s_and_b32 vcc_lo, exec_lo, s0
	v_lshlrev_b32_e32 v3, 2, v3
	s_waitcnt lgkmcnt(1)
	v_add_f32_e32 v2, v2, v4
	s_waitcnt lgkmcnt(0)
	v_add_f32_e32 v1, v1, v5
	ds_bpermute_b32 v4, v6, v2
	ds_bpermute_b32 v5, v6, v1
	s_waitcnt lgkmcnt(1)
	v_add_f32_e32 v2, v2, v4
	s_waitcnt lgkmcnt(0)
	v_add_f32_e32 v4, v1, v5
	ds_bpermute_b32 v1, v3, v2
	ds_bpermute_b32 v3, v3, v4
	s_waitcnt lgkmcnt(1)
	v_add_f32_e32 v1, v2, v1
	s_waitcnt lgkmcnt(0)
	v_add_f32_e32 v2, v4, v3
	s_cbranch_vccz .LBB83_31
; %bb.30:
	s_ashr_i32 s31, s30, 31
	v_mov_b32_e32 v0, 0
	s_lshl_b64 s[0:1], s[30:31], 2
	v_max_f32_e32 v6, v92, v92
	s_add_u32 s0, s16, s0
	s_addc_u32 s1, s17, s1
	global_load_dwordx2 v[3:4], v0, s[0:1]
	v_max_f32_e32 v0, v91, v91
	s_waitcnt vmcnt(0)
	v_max_f32_e32 v5, v3, v3
	v_max_f32_e32 v7, v4, v4
	;; [unrolled: 1-line block ×4, first 2 shown]
	v_sub_f32_e32 v0, v91, v5
	v_sub_f32_e32 v7, v92, v6
	;; [unrolled: 1-line block ×4, first 2 shown]
	v_mov_b32_e32 v92, v6
	v_mul_f32_e32 v8, 0x3fb8aa3b, v0
	v_mul_f32_e32 v10, 0x3fb8aa3b, v7
	;; [unrolled: 1-line block ×4, first 2 shown]
	v_cmp_ngt_f32_e32 vcc_lo, 0xc2ce8ed0, v0
	v_fma_f32 v12, 0x3fb8aa3b, v0, -v8
	v_rndne_f32_e32 v13, v8
	v_fma_f32 v16, 0x3fb8aa3b, v7, -v10
	v_rndne_f32_e32 v17, v10
	v_fma_f32 v14, 0x3fb8aa3b, v3, -v9
	v_fmac_f32_e32 v12, 0x32a5705f, v0
	v_sub_f32_e32 v8, v8, v13
	v_rndne_f32_e32 v15, v9
	v_fmac_f32_e32 v16, 0x32a5705f, v7
	v_sub_f32_e32 v10, v10, v17
	v_fmac_f32_e32 v14, 0x32a5705f, v3
	v_add_f32_e32 v8, v8, v12
	v_sub_f32_e32 v9, v9, v15
	v_cvt_i32_f32_e32 v12, v13
	v_add_f32_e32 v10, v10, v16
	v_fma_f32 v18, 0x3fb8aa3b, v4, -v11
	v_exp_f32_e32 v8, v8
	v_add_f32_e32 v9, v9, v14
	v_rndne_f32_e32 v19, v11
	v_exp_f32_e32 v10, v10
	v_cvt_i32_f32_e32 v14, v17
	v_fmac_f32_e32 v18, 0x32a5705f, v4
	v_exp_f32_e32 v9, v9
	v_sub_f32_e32 v11, v11, v19
	v_cvt_i32_f32_e32 v13, v15
	v_cvt_i32_f32_e32 v15, v19
	v_ldexp_f32 v8, v8, v12
	v_mov_b32_e32 v16, 0x10001
	v_add_f32_e32 v11, v11, v18
	v_ldexp_f32 v10, v10, v14
	v_mov_b32_e32 v91, v5
	v_cndmask_b32_e32 v8, 0, v8, vcc_lo
	v_cmp_ngt_f32_e32 vcc_lo, 0xc2ce8ed0, v7
	v_ldexp_f32 v9, v9, v13
	v_exp_f32_e32 v11, v11
	v_cndmask_b32_e32 v10, 0, v10, vcc_lo
	v_cmp_ngt_f32_e32 vcc_lo, 0xc2ce8ed0, v3
	v_cndmask_b32_e32 v9, 0, v9, vcc_lo
	v_cmp_nlt_f32_e32 vcc_lo, 0x42b17218, v0
	v_ldexp_f32 v11, v11, v15
	v_cndmask_b32_e32 v0, 0x7f800000, v8, vcc_lo
	v_cmp_nlt_f32_e32 vcc_lo, 0x42b17218, v7
	v_cndmask_b32_e32 v7, 0x7f800000, v10, vcc_lo
	v_cmp_ngt_f32_e32 vcc_lo, 0xc2ce8ed0, v4
	v_cvt_f16_f32_e32 v10, v7
	v_cndmask_b32_e32 v8, 0, v11, vcc_lo
	v_cmp_nlt_f32_e32 vcc_lo, 0x42b17218, v3
	v_mul_u32_u24_sdwa v5, v10, v16 dst_sel:DWORD dst_unused:UNUSED_PAD src0_sel:WORD_0 src1_sel:DWORD
	v_cndmask_b32_e32 v3, 0x7f800000, v9, vcc_lo
	v_cmp_nlt_f32_e32 vcc_lo, 0x42b17218, v4
	v_cvt_f16_f32_e32 v9, v0
	v_pk_mul_f16 v25, v25, v5
	v_pk_mul_f16 v26, v26, v5
	v_fmac_f32_e32 v3, v1, v0
	v_cndmask_b32_e32 v4, 0x7f800000, v8, vcc_lo
	v_mul_u32_u24_sdwa v0, v9, v16 dst_sel:DWORD dst_unused:UNUSED_PAD src0_sel:WORD_0 src1_sel:DWORD
	v_mov_b32_e32 v1, v3
	v_fmac_f32_e32 v4, v2, v7
	v_pk_mul_f16 v27, v27, v0
	v_pk_mul_f16 v28, v28, v0
	v_mov_b32_e32 v2, v4
	s_branch .LBB83_32
.LBB83_31:
	v_mov_b32_e32 v4, v2
	v_mov_b32_e32 v3, v1
.LBB83_32:
	s_clause 0x1
	buffer_load_dword v9, off, s[40:43], 0 offset:8
	buffer_load_dword v10, off, s[40:43], 0 offset:12
	s_mov_b32 s0, exec_lo
	s_waitcnt vmcnt(1)
	v_cmpx_gt_i32_e64 s26, v9
	s_cbranch_execz .LBB83_41
; %bb.33:
	s_load_dword s1, s[4:5], 0xd4
	v_mov_b32_e32 v7, 1.0
	s_waitcnt lgkmcnt(0)
	s_cmp_lg_u32 s1, 1
	s_cselect_b32 s3, -1, 0
	s_cmp_eq_u32 s1, 1
	s_cselect_b32 s2, -1, 0
	s_and_b32 vcc_lo, exec_lo, s3
	s_cbranch_vccnz .LBB83_35
; %bb.34:
	v_div_scale_f32 v0, null, v1, v1, 1.0
	v_rcp_f32_e32 v5, v0
	v_fma_f32 v6, -v0, v5, 1.0
	v_fmac_f32_e32 v5, v6, v5
	v_div_scale_f32 v6, vcc_lo, 1.0, v1, 1.0
	v_mul_f32_e32 v7, v6, v5
	v_fma_f32 v8, -v0, v7, v6
	v_fmac_f32_e32 v7, v8, v5
	v_fma_f32 v0, -v0, v7, v6
	v_div_fmas_f32 v0, v0, v5, v7
	v_div_fixup_f32 v7, v0, v1, 1.0
.LBB83_35:
	s_clause 0x1
	buffer_load_dword v0, off, s[40:43], 0 offset:20
	buffer_load_dword v1, off, s[40:43], 0 offset:24
	s_waitcnt vmcnt(2)
	v_mad_u64_u32 v[5:6], null, s29, s26, v[9:10]
	s_waitcnt vmcnt(0)
	v_mov_b32_e32 v1, 0
	v_cvt_f32_f16_sdwa v9, v27 dst_sel:DWORD dst_unused:UNUSED_PAD src0_sel:WORD_1
	v_cvt_f32_f16_e32 v10, v28
	v_cvt_f32_f16_sdwa v11, v28 dst_sel:DWORD dst_unused:UNUSED_PAD src0_sel:WORD_1
	v_mul_f32_e32 v9, v7, v9
	v_mad_u64_u32 v[5:6], null, v5, s27, s[30:31]
	v_mul_f32_e32 v10, v7, v10
	v_mul_f32_e32 v11, v7, v11
	v_mad_u64_u32 v[5:6], null, s1, v5, s[28:29]
	v_cvt_f32_f16_e32 v6, v27
	v_mul_f32_e32 v8, v7, v6
	v_cmp_eq_u32_e32 vcc_lo, 0, v0
	v_lshl_add_u32 v0, v5, 7, v41
	v_lshlrev_b64 v[0:1], 2, v[0:1]
	v_add_co_u32 v0, s0, s20, v0
	v_add_co_ci_u32_e64 v1, null, s21, v1, s0
	s_and_b32 s0, vcc_lo, s3
	global_store_dwordx4 v[0:1], v[8:11], off
	s_and_saveexec_b32 s3, s0
	s_cbranch_execz .LBB83_37
; %bb.36:
	v_ashrrev_i32_e32 v6, 31, v5
	v_mov_b32_e32 v7, v3
	v_lshlrev_b64 v[0:1], 3, v[5:6]
	v_mov_b32_e32 v6, v91
	v_add_co_u32 v0, vcc_lo, s22, v0
	v_add_co_ci_u32_e64 v1, null, s23, v1, vcc_lo
	global_store_dwordx2 v[0:1], v[6:7], off
.LBB83_37:
	s_or_b32 exec_lo, exec_lo, s3
	v_mov_b32_e32 v1, 1.0
	s_andn2_b32 vcc_lo, exec_lo, s2
	s_cbranch_vccnz .LBB83_39
; %bb.38:
	v_div_scale_f32 v0, null, v2, v2, 1.0
	v_rcp_f32_e32 v1, v0
	v_fma_f32 v3, -v0, v1, 1.0
	v_fmac_f32_e32 v1, v3, v1
	v_div_scale_f32 v3, vcc_lo, 1.0, v2, 1.0
	v_mul_f32_e32 v6, v3, v1
	v_fma_f32 v7, -v0, v6, v3
	v_fmac_f32_e32 v6, v7, v1
	v_fma_f32 v0, -v0, v6, v3
	v_div_fmas_f32 v0, v0, v1, v6
	v_div_fixup_f32 v1, v0, v2, 1.0
.LBB83_39:
	v_add_nc_u32_e32 v0, s1, v5
	v_mov_b32_e32 v3, 0
	v_cvt_f32_f16_e32 v5, v25
	v_cvt_f32_f16_sdwa v6, v25 dst_sel:DWORD dst_unused:UNUSED_PAD src0_sel:WORD_1
	v_cvt_f32_f16_e32 v7, v26
	v_lshl_add_u32 v2, v0, 7, v41
	v_cvt_f32_f16_sdwa v8, v26 dst_sel:DWORD dst_unused:UNUSED_PAD src0_sel:WORD_1
	v_mul_f32_e32 v5, v1, v5
	v_mul_f32_e32 v6, v1, v6
	;; [unrolled: 1-line block ×3, first 2 shown]
	v_lshlrev_b64 v[2:3], 2, v[2:3]
	v_mul_f32_e32 v8, v1, v8
	v_add_co_u32 v1, vcc_lo, s20, v2
	v_add_co_ci_u32_e64 v2, null, s21, v3, vcc_lo
	global_store_dwordx4 v[1:2], v[5:8], off
	s_and_b32 exec_lo, exec_lo, s0
	s_cbranch_execz .LBB83_41
; %bb.40:
	v_ashrrev_i32_e32 v1, 31, v0
	v_mov_b32_e32 v3, v92
	v_lshlrev_b64 v[0:1], 3, v[0:1]
	v_add_co_u32 v0, vcc_lo, s22, v0
	v_add_co_ci_u32_e64 v1, null, s23, v1, vcc_lo
	global_store_dwordx2 v[0:1], v[3:4], off
.LBB83_41:
	s_endpgm
	.section	.rodata,"a",@progbits
	.p2align	6, 0x0
	.amdhsa_kernel _ZL15flash_attn_tileILi128ELi128ELi4ELi2ELb1EEvPKcS1_S1_S1_S1_PKiPfP15HIP_vector_typeIfLj2EEffffjfiS5_IjLj3EEiiiiiiiiiiiliiliiiiil
		.amdhsa_group_segment_fixed_size 12288
		.amdhsa_private_segment_fixed_size 32
		.amdhsa_kernarg_size 464
		.amdhsa_user_sgpr_count 6
		.amdhsa_user_sgpr_private_segment_buffer 1
		.amdhsa_user_sgpr_dispatch_ptr 0
		.amdhsa_user_sgpr_queue_ptr 0
		.amdhsa_user_sgpr_kernarg_segment_ptr 1
		.amdhsa_user_sgpr_dispatch_id 0
		.amdhsa_user_sgpr_flat_scratch_init 0
		.amdhsa_user_sgpr_private_segment_size 0
		.amdhsa_wavefront_size32 1
		.amdhsa_uses_dynamic_stack 0
		.amdhsa_system_sgpr_private_segment_wavefront_offset 1
		.amdhsa_system_sgpr_workgroup_id_x 1
		.amdhsa_system_sgpr_workgroup_id_y 1
		.amdhsa_system_sgpr_workgroup_id_z 1
		.amdhsa_system_sgpr_workgroup_info 0
		.amdhsa_system_vgpr_workitem_id 1
		.amdhsa_next_free_vgpr 128
		.amdhsa_next_free_sgpr 44
		.amdhsa_reserve_vcc 1
		.amdhsa_reserve_flat_scratch 0
		.amdhsa_float_round_mode_32 0
		.amdhsa_float_round_mode_16_64 0
		.amdhsa_float_denorm_mode_32 3
		.amdhsa_float_denorm_mode_16_64 3
		.amdhsa_dx10_clamp 1
		.amdhsa_ieee_mode 1
		.amdhsa_fp16_overflow 0
		.amdhsa_workgroup_processor_mode 1
		.amdhsa_memory_ordered 1
		.amdhsa_forward_progress 1
		.amdhsa_shared_vgpr_count 0
		.amdhsa_exception_fp_ieee_invalid_op 0
		.amdhsa_exception_fp_denorm_src 0
		.amdhsa_exception_fp_ieee_div_zero 0
		.amdhsa_exception_fp_ieee_overflow 0
		.amdhsa_exception_fp_ieee_underflow 0
		.amdhsa_exception_fp_ieee_inexact 0
		.amdhsa_exception_int_div_zero 0
	.end_amdhsa_kernel
	.section	.text._ZL15flash_attn_tileILi128ELi128ELi4ELi2ELb1EEvPKcS1_S1_S1_S1_PKiPfP15HIP_vector_typeIfLj2EEffffjfiS5_IjLj3EEiiiiiiiiiiiliiliiiiil,"axG",@progbits,_ZL15flash_attn_tileILi128ELi128ELi4ELi2ELb1EEvPKcS1_S1_S1_S1_PKiPfP15HIP_vector_typeIfLj2EEffffjfiS5_IjLj3EEiiiiiiiiiiiliiliiiiil,comdat
.Lfunc_end83:
	.size	_ZL15flash_attn_tileILi128ELi128ELi4ELi2ELb1EEvPKcS1_S1_S1_S1_PKiPfP15HIP_vector_typeIfLj2EEffffjfiS5_IjLj3EEiiiiiiiiiiiliiliiiiil, .Lfunc_end83-_ZL15flash_attn_tileILi128ELi128ELi4ELi2ELb1EEvPKcS1_S1_S1_S1_PKiPfP15HIP_vector_typeIfLj2EEffffjfiS5_IjLj3EEiiiiiiiiiiiliiliiiiil
                                        ; -- End function
	.set _ZL15flash_attn_tileILi128ELi128ELi4ELi2ELb1EEvPKcS1_S1_S1_S1_PKiPfP15HIP_vector_typeIfLj2EEffffjfiS5_IjLj3EEiiiiiiiiiiiliiliiiiil.num_vgpr, 128
	.set _ZL15flash_attn_tileILi128ELi128ELi4ELi2ELb1EEvPKcS1_S1_S1_S1_PKiPfP15HIP_vector_typeIfLj2EEffffjfiS5_IjLj3EEiiiiiiiiiiiliiliiiiil.num_agpr, 0
	.set _ZL15flash_attn_tileILi128ELi128ELi4ELi2ELb1EEvPKcS1_S1_S1_S1_PKiPfP15HIP_vector_typeIfLj2EEffffjfiS5_IjLj3EEiiiiiiiiiiiliiliiiiil.numbered_sgpr, 44
	.set _ZL15flash_attn_tileILi128ELi128ELi4ELi2ELb1EEvPKcS1_S1_S1_S1_PKiPfP15HIP_vector_typeIfLj2EEffffjfiS5_IjLj3EEiiiiiiiiiiiliiliiiiil.num_named_barrier, 0
	.set _ZL15flash_attn_tileILi128ELi128ELi4ELi2ELb1EEvPKcS1_S1_S1_S1_PKiPfP15HIP_vector_typeIfLj2EEffffjfiS5_IjLj3EEiiiiiiiiiiiliiliiiiil.private_seg_size, 32
	.set _ZL15flash_attn_tileILi128ELi128ELi4ELi2ELb1EEvPKcS1_S1_S1_S1_PKiPfP15HIP_vector_typeIfLj2EEffffjfiS5_IjLj3EEiiiiiiiiiiiliiliiiiil.uses_vcc, 1
	.set _ZL15flash_attn_tileILi128ELi128ELi4ELi2ELb1EEvPKcS1_S1_S1_S1_PKiPfP15HIP_vector_typeIfLj2EEffffjfiS5_IjLj3EEiiiiiiiiiiiliiliiiiil.uses_flat_scratch, 0
	.set _ZL15flash_attn_tileILi128ELi128ELi4ELi2ELb1EEvPKcS1_S1_S1_S1_PKiPfP15HIP_vector_typeIfLj2EEffffjfiS5_IjLj3EEiiiiiiiiiiiliiliiiiil.has_dyn_sized_stack, 0
	.set _ZL15flash_attn_tileILi128ELi128ELi4ELi2ELb1EEvPKcS1_S1_S1_S1_PKiPfP15HIP_vector_typeIfLj2EEffffjfiS5_IjLj3EEiiiiiiiiiiiliiliiiiil.has_recursion, 0
	.set _ZL15flash_attn_tileILi128ELi128ELi4ELi2ELb1EEvPKcS1_S1_S1_S1_PKiPfP15HIP_vector_typeIfLj2EEffffjfiS5_IjLj3EEiiiiiiiiiiiliiliiiiil.has_indirect_call, 0
	.section	.AMDGPU.csdata,"",@progbits
; Kernel info:
; codeLenInByte = 15452
; TotalNumSgprs: 46
; NumVgprs: 128
; ScratchSize: 32
; MemoryBound: 0
; FloatMode: 240
; IeeeMode: 1
; LDSByteSize: 12288 bytes/workgroup (compile time only)
; SGPRBlocks: 0
; VGPRBlocks: 15
; NumSGPRsForWavesPerEU: 46
; NumVGPRsForWavesPerEU: 128
; Occupancy: 8
; WaveLimiterHint : 1
; COMPUTE_PGM_RSRC2:SCRATCH_EN: 1
; COMPUTE_PGM_RSRC2:USER_SGPR: 6
; COMPUTE_PGM_RSRC2:TRAP_HANDLER: 0
; COMPUTE_PGM_RSRC2:TGID_X_EN: 1
; COMPUTE_PGM_RSRC2:TGID_Y_EN: 1
; COMPUTE_PGM_RSRC2:TGID_Z_EN: 1
; COMPUTE_PGM_RSRC2:TIDIG_COMP_CNT: 1
	.section	.text._ZL15flash_attn_tileILi128ELi128ELi2ELi2ELb1EEvPKcS1_S1_S1_S1_PKiPfP15HIP_vector_typeIfLj2EEffffjfiS5_IjLj3EEiiiiiiiiiiiliiliiiiil,"axG",@progbits,_ZL15flash_attn_tileILi128ELi128ELi2ELi2ELb1EEvPKcS1_S1_S1_S1_PKiPfP15HIP_vector_typeIfLj2EEffffjfiS5_IjLj3EEiiiiiiiiiiiliiliiiiil,comdat
	.globl	_ZL15flash_attn_tileILi128ELi128ELi2ELi2ELb1EEvPKcS1_S1_S1_S1_PKiPfP15HIP_vector_typeIfLj2EEffffjfiS5_IjLj3EEiiiiiiiiiiiliiliiiiil ; -- Begin function _ZL15flash_attn_tileILi128ELi128ELi2ELi2ELb1EEvPKcS1_S1_S1_S1_PKiPfP15HIP_vector_typeIfLj2EEffffjfiS5_IjLj3EEiiiiiiiiiiiliiliiiiil
	.p2align	8
	.type	_ZL15flash_attn_tileILi128ELi128ELi2ELi2ELb1EEvPKcS1_S1_S1_S1_PKiPfP15HIP_vector_typeIfLj2EEffffjfiS5_IjLj3EEiiiiiiiiiiiliiliiiiil,@function
_ZL15flash_attn_tileILi128ELi128ELi2ELi2ELb1EEvPKcS1_S1_S1_S1_PKiPfP15HIP_vector_typeIfLj2EEffffjfiS5_IjLj3EEiiiiiiiiiiiliiliiiiil: ; @_ZL15flash_attn_tileILi128ELi128ELi2ELi2ELb1EEvPKcS1_S1_S1_S1_PKiPfP15HIP_vector_typeIfLj2EEffffjfiS5_IjLj3EEiiiiiiiiiiiliiliiiiil
; %bb.0:
	s_clause 0x1
	s_load_dwordx4 s[0:3], s[4:5], 0x5c
	s_load_dwordx2 s[30:31], s[4:5], 0x80
	s_mov_b32 s28, s7
	s_mov_b64 s[34:35], 0
	s_waitcnt lgkmcnt(0)
	s_lshr_b32 s7, s3, 31
	s_add_i32 s7, s3, s7
	s_ashr_i32 s7, s7, 1
	v_cvt_f32_u32_e32 v2, s7
	s_sub_i32 s10, 0, s7
	v_rcp_iflag_f32_e32 v2, v2
	v_mul_f32_e32 v2, 0x4f7ffffe, v2
	v_cvt_u32_f32_e32 v2, v2
	v_readfirstlane_b32 s9, v2
	s_mul_i32 s10, s10, s9
	s_mul_hi_u32 s10, s9, s10
	s_add_i32 s9, s9, s10
	s_mul_hi_u32 s9, s8, s9
	s_mul_i32 s10, s9, s7
	s_add_i32 s11, s9, 1
	s_sub_i32 s10, s8, s10
	s_sub_i32 s12, s10, s7
	s_cmp_ge_u32 s10, s7
	s_cselect_b32 s9, s11, s9
	s_cselect_b32 s10, s12, s10
	s_add_i32 s11, s9, 1
	s_cmp_ge_u32 s10, s7
	s_cselect_b32 s7, s11, s9
	s_abs_i32 s9, s31
	s_lshl_b32 s8, s8, 1
	v_cvt_f32_u32_e32 v2, s9
	s_sub_i32 s11, 0, s9
	s_mul_i32 s12, s7, s3
	s_abs_i32 s13, s3
	s_sub_i32 s29, s8, s12
	v_rcp_iflag_f32_e32 v2, v2
	v_mul_f32_e32 v2, 0x4f7ffffe, v2
	v_cvt_u32_f32_e32 v2, v2
	v_readfirstlane_b32 s10, v2
	s_mul_i32 s11, s11, s10
	s_mul_hi_u32 s11, s10, s11
	s_add_i32 s10, s10, s11
	s_mul_hi_u32 s8, s13, s10
	s_xor_b32 s10, s3, s31
	s_mul_i32 s11, s8, s9
	s_ashr_i32 s10, s10, 31
	s_sub_i32 s11, s13, s11
	s_add_i32 s12, s8, 1
	s_sub_i32 s13, s11, s9
	s_cmp_ge_u32 s11, s9
	s_cselect_b32 s8, s12, s8
	s_cselect_b32 s11, s13, s11
	s_add_i32 s12, s8, 1
	s_cmp_ge_u32 s11, s9
	s_cselect_b32 s8, s12, s8
	s_xor_b32 s8, s8, s10
	s_sub_i32 s33, s8, s10
	s_clause 0x1
	s_load_dwordx16 s[8:23], s[4:5], 0x0
	s_load_dwordx2 s[36:37], s[4:5], 0xb8
	s_abs_i32 s31, s33
	v_cvt_f32_u32_e32 v2, s31
	v_rcp_iflag_f32_e32 v2, v2
	v_mul_f32_e32 v2, 0x4f7ffffe, v2
	s_waitcnt lgkmcnt(0)
	s_cmp_eq_u64 s[14:15], 0
	v_cvt_u32_f32_e32 v2, v2
	v_readfirstlane_b32 s38, v2
	s_cbranch_scc1 .LBB84_2
; %bb.1:
	s_abs_i32 s26, s36
	s_abs_i32 s27, s7
	v_cvt_f32_u32_e32 v2, s26
	s_sub_i32 s25, 0, s26
	v_rcp_iflag_f32_e32 v2, v2
	v_mul_f32_e32 v2, 0x4f7ffffe, v2
	v_cvt_u32_f32_e32 v2, v2
	v_readfirstlane_b32 s24, v2
	s_mul_i32 s25, s25, s24
	s_mul_hi_u32 s25, s24, s25
	s_add_i32 s24, s24, s25
	s_mul_hi_u32 s34, s27, s24
	s_load_dwordx2 s[24:25], s[4:5], 0xc8
	s_mul_i32 s34, s34, s26
	s_sub_i32 s27, s27, s34
	s_ashr_i32 s34, s7, 31
	s_sub_i32 s35, s27, s26
	s_cmp_ge_u32 s27, s26
	s_cselect_b32 s27, s35, s27
	s_sub_i32 s35, s27, s26
	s_cmp_ge_u32 s27, s26
	s_cselect_b32 s26, s35, s27
	s_xor_b32 s26, s26, s34
	s_sub_i32 s26, s26, s34
	s_ashr_i32 s27, s26, 31
	s_waitcnt lgkmcnt(0)
	s_mul_hi_u32 s34, s24, s26
	s_mul_i32 s27, s24, s27
	s_mul_i32 s25, s25, s26
	s_add_i32 s27, s34, s27
	s_mul_i32 s24, s24, s26
	s_add_i32 s27, s27, s25
	s_add_u32 s34, s14, s24
	s_addc_u32 s35, s15, s27
.LBB84_2:
	v_lshrrev_b32_e32 v2, 1, v1
	s_load_dwordx4 s[24:27], s[4:5], 0x70
	v_and_b32_e32 v37, 1, v1
	v_lshlrev_b32_e32 v7, 4, v0
	v_lshlrev_b32_e32 v36, 3, v0
	v_lshl_add_u32 v17, s6, 1, v2
	v_lshl_add_u32 v39, v1, 8, 0x2400
	v_mul_hi_u32 v2, s0, v17
	v_add_nc_u32_e32 v2, v17, v2
	s_waitcnt lgkmcnt(0)
	s_mul_i32 s14, s29, s25
	s_mov_b32 s0, s25
	v_lshrrev_b32_e32 v2, s1, v2
	s_mul_i32 s1, s7, s26
	s_ashr_i32 s15, s1, 31
	s_add_u32 s1, s8, s1
	v_mul_lo_u32 v2, v2, s2
	s_addc_u32 s8, s9, s15
	s_ashr_i32 s9, s14, 31
	s_add_u32 s14, s1, s14
	s_addc_u32 s15, s8, s9
	s_ashr_i32 s1, s25, 31
	s_ashr_i32 s25, s24, 31
	s_lshr_b64 s[8:9], s[24:25], 2
	v_sub_nc_u32_e32 v2, v17, v2
	v_mad_u64_u32 v[3:4], null, s8, v2, 0
	s_lshr_b64 s[8:9], s[0:1], 2
	s_lshr_b32 s0, s1, 2
	s_lshr_b32 s1, s25, 2
	v_mul_lo_u32 v6, s0, v37
	s_load_dword s0, s[4:5], 0x40
	s_cmp_eq_u64 s[18:19], 0
	v_mad_u64_u32 v[4:5], null, s1, v2, v[4:5]
	v_mul_lo_u32 v5, s8, v37
	v_lshlrev_b64 v[3:4], 2, v[3:4]
	v_lshlrev_b64 v[5:6], 2, v[5:6]
	v_add_co_u32 v5, vcc_lo, s14, v5
	v_add_co_ci_u32_e64 v6, null, s15, v6, vcc_lo
	v_add_co_u32 v3, vcc_lo, v5, v3
	v_add_co_ci_u32_e64 v4, null, v6, v4, vcc_lo
	;; [unrolled: 2-line block ×3, first 2 shown]
	v_add_nc_u32_e32 v7, v39, v36
	global_load_dwordx4 v[3:6], v[3:4], off
	s_waitcnt vmcnt(0) lgkmcnt(0)
	v_fma_mixlo_f16 v4, s0, v4, 0
	v_fma_mixlo_f16 v3, s0, v3, 0
	;; [unrolled: 1-line block ×4, first 2 shown]
	v_lshlrev_b32_e32 v4, 16, v4
	v_and_b32_e32 v3, 0xffff, v3
	v_and_b32_e32 v5, 0xffff, v5
	v_lshlrev_b32_e32 v6, 16, v6
	v_or_b32_e32 v3, v4, v3
	v_or3_b32 v4, v6, v5, 0
	v_or3_b32 v3, 0, 0, v3
	ds_write_b64 v7, v[3:4]
	s_waitcnt lgkmcnt(0)
	s_barrier
	buffer_gl0_inv
	s_cbranch_scc1 .LBB84_4
; %bb.3:
	s_load_dword s0, s[4:5], 0xd0
	s_mov_b32 s1, 0
	s_waitcnt lgkmcnt(0)
	s_mul_i32 s0, s0, s7
	s_add_i32 s0, s0, s6
	s_lshl_b64 s[0:1], s[0:1], 2
	s_add_u32 s0, s18, s0
	s_addc_u32 s1, s19, s1
	s_load_dword s30, s[0:1], 0x0
.LBB84_4:
	v_mbcnt_lo_u32_b32 v40, -1, 0
	s_lshl_b32 s6, s28, 6
	s_waitcnt lgkmcnt(0)
	s_cmp_lt_i32 s6, s30
	s_cbranch_scc1 .LBB84_7
; %bb.5:
	v_mbcnt_lo_u32_b32 v4, -1, 0
	v_mov_b32_e32 v3, 32
	v_xor_b32_e32 v60, 16, v4
	v_xor_b32_e32 v59, 8, v4
	;; [unrolled: 1-line block ×5, first 2 shown]
	v_lshlrev_b32_e32 v38, 2, v0
	s_cbranch_execz .LBB84_8
; %bb.6:
	v_mov_b32_e32 v57, 0
	v_mov_b32_e32 v2, 0
	;; [unrolled: 1-line block ×4, first 2 shown]
	s_branch .LBB84_20
.LBB84_7:
                                        ; implicit-def: $vgpr4
                                        ; implicit-def: $vgpr3
                                        ; implicit-def: $vgpr60
                                        ; implicit-def: $vgpr59
                                        ; implicit-def: $vgpr61
                                        ; implicit-def: $vgpr62
                                        ; implicit-def: $vgpr63
	v_lshlrev_b32_e32 v38, 2, v0
.LBB84_8:
	s_clause 0x1
	s_load_dwordx4 s[24:27], s[4:5], 0x98
	s_load_dwordx2 s[0:1], s[4:5], 0x8c
	s_sub_i32 s8, 0, s31
	s_abs_i32 s14, s29
	s_mul_i32 s8, s8, s38
	s_ashr_i32 s36, s37, 1
	s_mul_hi_u32 s8, s38, s8
	s_ashr_i32 s15, s29, 31
	s_add_i32 s38, s38, s8
	s_ashr_i32 s33, s33, 31
	s_mul_hi_u32 s37, s14, s38
	s_ashr_i32 s38, s7, 31
	s_load_dwordx2 s[18:19], s[4:5], 0xa8
	s_mul_i32 s39, s37, s31
	v_lshrrev_b32_e32 v3, 3, v0
	v_and_b32_e32 v21, 28, v38
	v_lshrrev_b32_e32 v6, 4, v0
	v_and_b32_e32 v29, 60, v38
	v_lshl_add_u32 v46, v1, 7, 0x2800
	v_lshl_add_u32 v4, v1, 2, v3
	s_waitcnt lgkmcnt(0)
	s_ashr_i32 s8, s26, 2
	s_ashr_i32 s9, s0, 2
	s_mul_hi_u32 s0, s24, s7
	s_mul_i32 s26, s24, s38
	s_mul_i32 s25, s25, s7
	s_add_i32 s0, s0, s26
	s_mul_i32 s24, s24, s7
	s_add_i32 s0, s0, s25
	s_add_u32 s24, s10, s24
	s_addc_u32 s0, s11, s0
	s_sub_i32 s10, s14, s39
	s_xor_b32 s11, s15, s33
	s_add_i32 s14, s37, 1
	s_sub_i32 s15, s10, s31
	s_cmp_ge_u32 s10, s31
	v_mul_lo_u32 v3, s9, v4
	s_cselect_b32 s14, s14, s37
	s_cselect_b32 s10, s15, s10
	s_add_i32 s15, s14, 1
	s_cmp_ge_u32 s10, s31
	s_load_dword s10, s[4:5], 0x54
	s_cselect_b32 s14, s15, s14
	s_mul_hi_u32 s15, s18, s7
	s_xor_b32 s14, s14, s11
	s_mul_i32 s26, s18, s38
	s_sub_i32 s25, s14, s11
	s_mul_i32 s19, s19, s7
	s_mul_i32 s1, s25, s1
	s_mul_i32 s25, s25, s27
	s_ashr_i32 s14, s1, 31
	s_add_u32 s11, s24, s1
	s_addc_u32 s14, s0, s14
	s_add_i32 s0, s15, s26
	s_mul_i32 s1, s18, s7
	s_add_i32 s0, s0, s19
	s_add_u32 s1, s12, s1
	v_lshlrev_b32_e32 v5, 2, v21
	s_addc_u32 s0, s13, s0
	s_ashr_i32 s13, s25, 31
	s_add_u32 s12, s1, s25
	s_addc_u32 s13, s0, s13
	s_lshl_b32 s0, s9, 4
	v_lshl_add_u32 v10, v1, 1, v6
	v_mad_u32_u24 v41, 0x90, v4, v5
	v_add_nc_u32_e32 v5, s0, v3
	v_lshlrev_b32_e32 v14, 2, v29
	v_ashrrev_i32_e32 v4, 31, v3
	v_mul_lo_u32 v9, s8, v10
	v_lshlrev_b32_e32 v52, 2, v21
	v_add_nc_u32_e32 v7, s0, v5
	v_ashrrev_i32_e32 v6, 31, v5
	v_lshl_or_b32 v47, v10, 8, v14
	v_lshlrev_b32_e32 v53, 2, v29
	v_mov_b32_e32 v56, 0
	v_add_nc_u32_e32 v11, s0, v7
	s_lshl_b32 s0, s8, 3
	v_ashrrev_i32_e32 v8, 31, v7
	v_add_nc_u32_e32 v13, s0, v9
	v_ashrrev_i32_e32 v10, 31, v9
	v_ashrrev_i32_e32 v12, 31, v11
	v_lshlrev_b64 v[21:22], 2, v[5:6]
	v_lshlrev_b64 v[23:24], 2, v[7:8]
	v_add_nc_u32_e32 v1, s0, v13
	v_ashrrev_i32_e32 v14, 31, v13
	v_lshlrev_b64 v[25:26], 2, v[11:12]
	v_lshlrev_b64 v[27:28], 2, v[9:10]
	v_add_nc_u32_e32 v42, 0x900, v41
	v_add_nc_u32_e32 v15, s0, v1
	v_mad_u64_u32 v[18:19], null, v2, s36, v[0:1]
	v_ashrrev_i32_e32 v2, 31, v1
	v_lshlrev_b64 v[19:20], 2, v[3:4]
	v_ashrrev_i32_e32 v16, 31, v15
	v_lshlrev_b64 v[29:30], 2, v[13:14]
	v_add_nc_u32_e32 v43, 0x1200, v41
	v_lshlrev_b64 v[31:32], 2, v[1:2]
	v_add_nc_u32_e32 v44, 0x1b00, v41
	v_lshlrev_b64 v[33:34], 2, v[15:16]
	v_mul_u32_u24_e32 v45, 0x90, v0
	v_lshl_add_u32 v48, v0, 1, v46
	v_add_nc_u32_e32 v49, 0x800, v47
	v_add_nc_u32_e32 v50, 0x1000, v47
	;; [unrolled: 1-line block ×3, first 2 shown]
	v_mov_b32_e32 v58, 0xfeffffff
	v_mov_b32_e32 v54, 0x10001
	v_mov_b32_e32 v57, 0
	v_mov_b32_e32 v55, 0
	s_add_u32 s0, s4, 0xd0
	s_addc_u32 s1, s5, 0
	s_mov_b32 s15, 0xbbbac73d
.LBB84_9:                               ; =>This Inner Loop Header: Depth=1
	s_mul_hi_i32 s19, s6, s9
	s_mul_i32 s18, s6, s9
	v_mov_b32_e32 v35, 0
	s_lshl_b64 s[18:19], s[18:19], 2
	s_add_u32 s18, s11, s18
	s_addc_u32 s19, s14, s19
	v_add_co_u32 v1, vcc_lo, s18, v19
	v_add_co_ci_u32_e64 v2, null, s19, v20, vcc_lo
	v_add_co_u32 v3, vcc_lo, s18, v21
	v_add_co_ci_u32_e64 v4, null, s19, v22, vcc_lo
	;; [unrolled: 2-line block ×8, first 2 shown]
	s_clause 0x3
	global_load_dwordx4 v[9:12], v[1:2], off
	global_load_dwordx4 v[13:16], v[3:4], off
	;; [unrolled: 1-line block ×4, first 2 shown]
	s_waitcnt vmcnt(3)
	ds_write_b128 v41, v[9:12]
	s_waitcnt vmcnt(2)
	ds_write_b128 v42, v[13:16]
	;; [unrolled: 2-line block ×4, first 2 shown]
	s_waitcnt lgkmcnt(0)
	s_barrier
	buffer_gl0_inv
	ds_read_b128 v[9:12], v45
	ds_read_b128 v[13:16], v39
	ds_read_b128 v[60:63], v45 offset:4608
	v_mov_b32_e32 v59, 0
	s_waitcnt lgkmcnt(1)
	;;#ASMSTART
	v_dot2_f32_f16 v35, v9, v13, v35
	;;#ASMEND
	;;#ASMSTART
	v_dot2_f32_f16 v35, v10, v14, v35
	;;#ASMEND
	;;#ASMSTART
	v_dot2_f32_f16 v35, v11, v15, v35
	;;#ASMEND
	;;#ASMSTART
	v_dot2_f32_f16 v35, v12, v16, v35
	;;#ASMEND
	s_waitcnt lgkmcnt(0)
	;;#ASMSTART
	v_dot2_f32_f16 v59, v60, v13, v59
	;;#ASMEND
	;;#ASMSTART
	v_dot2_f32_f16 v59, v61, v14, v59
	;;#ASMEND
	;;#ASMSTART
	v_dot2_f32_f16 v59, v62, v15, v59
	;;#ASMEND
	;;#ASMSTART
	v_dot2_f32_f16 v59, v63, v16, v59
	;;#ASMEND
	ds_read_b128 v[9:12], v45 offset:16
	ds_read_b128 v[13:16], v39 offset:16
	ds_read_b128 v[60:63], v45 offset:4624
	s_waitcnt lgkmcnt(1)
	;;#ASMSTART
	v_dot2_f32_f16 v35, v9, v13, v35
	;;#ASMEND
	;;#ASMSTART
	v_dot2_f32_f16 v35, v10, v14, v35
	;;#ASMEND
	;;#ASMSTART
	v_dot2_f32_f16 v35, v11, v15, v35
	;;#ASMEND
	;;#ASMSTART
	v_dot2_f32_f16 v35, v12, v16, v35
	;;#ASMEND
	s_waitcnt lgkmcnt(0)
	;;#ASMSTART
	v_dot2_f32_f16 v59, v60, v13, v59
	;;#ASMEND
	;;#ASMSTART
	v_dot2_f32_f16 v59, v61, v14, v59
	;;#ASMEND
	;;#ASMSTART
	v_dot2_f32_f16 v59, v62, v15, v59
	;;#ASMEND
	;;#ASMSTART
	v_dot2_f32_f16 v59, v63, v16, v59
	;;#ASMEND
	ds_read_b128 v[9:12], v45 offset:32
	ds_read_b128 v[13:16], v39 offset:32
	ds_read_b128 v[60:63], v45 offset:4640
	;; [unrolled: 29-line block ×7, first 2 shown]
	s_waitcnt lgkmcnt(1)
	;;#ASMSTART
	v_dot2_f32_f16 v35, v9, v13, v35
	;;#ASMEND
	;;#ASMSTART
	v_dot2_f32_f16 v35, v10, v14, v35
	;;#ASMEND
	;; [unrolled: 3-line block ×4, first 2 shown]
	s_waitcnt lgkmcnt(0)
	;;#ASMSTART
	v_dot2_f32_f16 v59, v60, v13, v59
	;;#ASMEND
	;;#ASMSTART
	v_dot2_f32_f16 v59, v61, v14, v59
	;;#ASMEND
	;; [unrolled: 3-line block ×4, first 2 shown]
	s_barrier
	buffer_gl0_inv
	s_clause 0x3
	global_load_dwordx4 v[9:12], v[1:2], off offset:128
	global_load_dwordx4 v[1:4], v[3:4], off offset:128
	;; [unrolled: 1-line block ×4, first 2 shown]
                                        ; implicit-def: $vgpr60
	s_waitcnt vmcnt(3)
	ds_write_b128 v41, v[9:12]
	s_waitcnt vmcnt(2)
	ds_write_b128 v42, v[1:4]
	;; [unrolled: 2-line block ×4, first 2 shown]
	s_waitcnt lgkmcnt(0)
	s_barrier
	buffer_gl0_inv
	ds_read_b128 v[1:4], v45
	ds_read_b128 v[5:8], v39 offset:128
	ds_read_b128 v[9:12], v45 offset:4608
	s_waitcnt lgkmcnt(1)
	;;#ASMSTART
	v_dot2_f32_f16 v35, v1, v5, v35
	;;#ASMEND
	;;#ASMSTART
	v_dot2_f32_f16 v35, v2, v6, v35
	;;#ASMEND
	;;#ASMSTART
	v_dot2_f32_f16 v35, v3, v7, v35
	;;#ASMEND
	;;#ASMSTART
	v_dot2_f32_f16 v35, v4, v8, v35
	;;#ASMEND
	s_waitcnt lgkmcnt(0)
	;;#ASMSTART
	v_dot2_f32_f16 v59, v9, v5, v59
	;;#ASMEND
	;;#ASMSTART
	v_dot2_f32_f16 v59, v10, v6, v59
	;;#ASMEND
	;;#ASMSTART
	v_dot2_f32_f16 v59, v11, v7, v59
	;;#ASMEND
	;;#ASMSTART
	v_dot2_f32_f16 v59, v12, v8, v59
	;;#ASMEND
	ds_read_b128 v[1:4], v45 offset:16
	ds_read_b128 v[5:8], v39 offset:144
	ds_read_b128 v[9:12], v45 offset:4624
	s_waitcnt lgkmcnt(1)
	;;#ASMSTART
	v_dot2_f32_f16 v35, v1, v5, v35
	;;#ASMEND
	;;#ASMSTART
	v_dot2_f32_f16 v35, v2, v6, v35
	;;#ASMEND
	;;#ASMSTART
	v_dot2_f32_f16 v35, v3, v7, v35
	;;#ASMEND
	;;#ASMSTART
	v_dot2_f32_f16 v35, v4, v8, v35
	;;#ASMEND
	s_waitcnt lgkmcnt(0)
	;;#ASMSTART
	v_dot2_f32_f16 v59, v9, v5, v59
	;;#ASMEND
	;;#ASMSTART
	v_dot2_f32_f16 v59, v10, v6, v59
	;;#ASMEND
	;;#ASMSTART
	v_dot2_f32_f16 v59, v11, v7, v59
	;;#ASMEND
	;;#ASMSTART
	v_dot2_f32_f16 v59, v12, v8, v59
	;;#ASMEND
	ds_read_b128 v[1:4], v45 offset:32
	;; [unrolled: 29-line block ×7, first 2 shown]
	ds_read_b128 v[5:8], v39 offset:240
	ds_read_b128 v[9:12], v45 offset:4720
	s_waitcnt lgkmcnt(1)
	;;#ASMSTART
	v_dot2_f32_f16 v35, v1, v5, v35
	;;#ASMEND
	;;#ASMSTART
	v_dot2_f32_f16 v35, v2, v6, v35
	;;#ASMEND
	;; [unrolled: 3-line block ×4, first 2 shown]
	v_cmp_ngt_f32_e64 s18, 0x3f200000, |v35|
	s_waitcnt lgkmcnt(0)
	;;#ASMSTART
	v_dot2_f32_f16 v59, v9, v5, v59
	;;#ASMEND
	;;#ASMSTART
	v_dot2_f32_f16 v59, v10, v6, v59
	;;#ASMEND
	;; [unrolled: 3-line block ×4, first 2 shown]
	s_and_saveexec_b32 s19, s18
	s_xor_b32 s18, exec_lo, s19
	s_cbranch_execz .LBB84_11
; %bb.10:                               ;   in Loop: Header=BB84_9 Depth=1
	v_add_f32_e64 v1, |v35|, |v35|
	v_mul_f32_e32 v2, 0x3fb8aa3b, v1
	v_cmp_ngt_f32_e32 vcc_lo, 0xc2ce8ed0, v1
	v_rndne_f32_e32 v3, v2
	v_fma_f32 v4, 0x3fb8aa3b, v1, -v2
	v_sub_f32_e32 v2, v2, v3
	v_fmac_f32_e32 v4, 0x32a5705f, v1
	v_cvt_i32_f32_e32 v3, v3
	v_add_f32_e32 v2, v2, v4
	v_exp_f32_e32 v2, v2
	v_ldexp_f32 v2, v2, v3
	v_cndmask_b32_e32 v2, 0, v2, vcc_lo
	v_cmp_nlt_f32_e32 vcc_lo, 0x42b17218, v1
	v_cndmask_b32_e32 v1, 0x7f800000, v2, vcc_lo
	v_add_f32_e32 v1, 1.0, v1
	v_rcp_f32_e32 v1, v1
	v_fma_f32 v60, v1, -2.0, 1.0
.LBB84_11:                              ;   in Loop: Header=BB84_9 Depth=1
	s_andn2_saveexec_b32 s18, s18
	s_cbranch_execz .LBB84_13
; %bb.12:                               ;   in Loop: Header=BB84_9 Depth=1
	v_mul_f32_e32 v1, v35, v35
	v_fmaak_f32 v2, s15, v1, 0x3ca908c9
	v_fmaak_f32 v2, v1, v2, 0xbd5c1c4e
	;; [unrolled: 1-line block ×4, first 2 shown]
	v_mul_f32_e64 v2, |v35|, v2
	v_fma_f32 v60, v1, v2, |v35|
.LBB84_13:                              ;   in Loop: Header=BB84_9 Depth=1
	s_or_b32 exec_lo, exec_lo, s18
	v_add_nc_u32_e32 v1, s6, v18
	v_cmp_ngt_f32_e64 s18, 0x3f200000, |v59|
                                        ; implicit-def: $vgpr62
	v_ashrrev_i32_e32 v2, 31, v1
	v_lshlrev_b64 v[1:2], 1, v[1:2]
	v_add_co_u32 v1, vcc_lo, s34, v1
	v_add_co_ci_u32_e64 v2, null, s35, v2, vcc_lo
	global_load_ushort v61, v[1:2], off
	s_and_saveexec_b32 s19, s18
	s_xor_b32 s18, exec_lo, s19
	s_cbranch_execz .LBB84_15
; %bb.14:                               ;   in Loop: Header=BB84_9 Depth=1
	v_add_f32_e64 v3, |v59|, |v59|
	v_mul_f32_e32 v4, 0x3fb8aa3b, v3
	v_cmp_ngt_f32_e32 vcc_lo, 0xc2ce8ed0, v3
	v_rndne_f32_e32 v5, v4
	v_fma_f32 v6, 0x3fb8aa3b, v3, -v4
	v_sub_f32_e32 v4, v4, v5
	v_fmac_f32_e32 v6, 0x32a5705f, v3
	v_cvt_i32_f32_e32 v5, v5
	v_add_f32_e32 v4, v4, v6
	v_exp_f32_e32 v4, v4
	v_ldexp_f32 v4, v4, v5
	v_cndmask_b32_e32 v4, 0, v4, vcc_lo
	v_cmp_nlt_f32_e32 vcc_lo, 0x42b17218, v3
	v_cndmask_b32_e32 v3, 0x7f800000, v4, vcc_lo
	v_add_f32_e32 v3, 1.0, v3
	v_rcp_f32_e32 v3, v3
	v_fma_f32 v62, v3, -2.0, 1.0
.LBB84_15:                              ;   in Loop: Header=BB84_9 Depth=1
	s_andn2_saveexec_b32 s18, s18
	s_cbranch_execz .LBB84_17
; %bb.16:                               ;   in Loop: Header=BB84_9 Depth=1
	v_mul_f32_e32 v3, v59, v59
	v_fmaak_f32 v4, s15, v3, 0x3ca908c9
	v_fmaak_f32 v4, v3, v4, 0xbd5c1c4e
	;; [unrolled: 1-line block ×4, first 2 shown]
	v_mul_f32_e64 v4, |v59|, v4
	v_fma_f32 v62, v3, v4, |v59|
.LBB84_17:                              ;   in Loop: Header=BB84_9 Depth=1
	s_or_b32 exec_lo, exec_lo, s18
	global_load_ushort v63, v[1:2], off offset:64
	s_mul_hi_i32 s19, s6, s8
	s_mul_i32 s18, s6, s8
	s_waitcnt vmcnt(0)
	s_lshl_b64 s[18:19], s[18:19], 2
	s_barrier
	s_add_u32 s18, s12, s18
	s_addc_u32 s19, s13, s19
	v_add_co_u32 v1, vcc_lo, s18, v27
	v_add_co_ci_u32_e64 v2, null, s19, v28, vcc_lo
	v_add_co_u32 v3, vcc_lo, s18, v29
	v_add_co_ci_u32_e64 v4, null, s19, v30, vcc_lo
	;; [unrolled: 2-line block ×8, first 2 shown]
	buffer_gl0_inv
	s_clause 0x3
	global_load_dwordx4 v[1:4], v[1:2], off
	global_load_dwordx4 v[5:8], v[5:6], off
	;; [unrolled: 1-line block ×4, first 2 shown]
	v_bfi_b32 v35, 0x7fffffff, v60, v35
	v_bfi_b32 v59, 0x7fffffff, v62, v59
	v_xor_b32_e32 v60, 16, v40
	s_or_b32 s18, s6, 32
	v_fma_mix_f32 v64, s10, v35, v61 op_sel_hi:[0,0,1]
	s_mul_hi_i32 s19, s18, s8
	v_cmp_gt_i32_e32 vcc_lo, 32, v60
	s_mul_i32 s18, s18, s8
	s_lshl_b64 s[18:19], s[18:19], 2
	v_cndmask_b32_e32 v35, v40, v60, vcc_lo
	s_add_u32 s18, s12, s18
	s_addc_u32 s19, s13, s19
	v_lshlrev_b32_e32 v35, 2, v35
	v_fma_mix_f32 v65, s10, v59, v63 op_sel_hi:[0,0,1]
	v_add_f32_e32 v59, 0x40051340, v64
	v_add_f32_e32 v61, 0x40051340, v65
	v_max3_f32 v61, v58, v59, v61
	v_xor_b32_e32 v59, 8, v40
	ds_bpermute_b32 v35, v35, v61
	v_cmp_gt_i32_e32 vcc_lo, 32, v59
	v_cndmask_b32_e32 v62, v40, v59, vcc_lo
	v_lshlrev_b32_e32 v62, 2, v62
	s_waitcnt lgkmcnt(0)
	v_max_f32_e32 v35, v35, v35
	v_max_f32_e32 v35, v61, v35
	v_xor_b32_e32 v61, 4, v40
	ds_bpermute_b32 v62, v62, v35
	v_cmp_gt_i32_e32 vcc_lo, 32, v61
	v_cndmask_b32_e32 v63, v40, v61, vcc_lo
	v_lshlrev_b32_e32 v63, 2, v63
	s_waitcnt lgkmcnt(0)
	v_max_f32_e32 v62, v62, v62
	v_max_f32_e32 v35, v35, v62
	;; [unrolled: 8-line block ×4, first 2 shown]
	ds_bpermute_b32 v66, v67, v35
	s_waitcnt lgkmcnt(0)
	v_max_f32_e32 v66, v66, v66
	v_max_f32_e32 v35, v35, v66
	v_add_nc_u32_e32 v66, 0x1800, v36
	v_sub_f32_e32 v68, v64, v35
	v_sub_f32_e32 v67, v65, v35
	;; [unrolled: 1-line block ×3, first 2 shown]
	v_add_nc_u32_e32 v65, 0x800, v36
	v_add_nc_u32_e32 v64, 0x1000, v36
	v_mul_f32_e32 v69, 0x3fb8aa3b, v68
	v_mul_f32_e32 v70, 0x3fb8aa3b, v67
	v_fma_f32 v71, 0x3fb8aa3b, v68, -v69
	v_rndne_f32_e32 v72, v69
	v_fma_f32 v73, 0x3fb8aa3b, v67, -v70
	v_rndne_f32_e32 v74, v70
	v_fmac_f32_e32 v71, 0x32a5705f, v68
	v_sub_f32_e32 v69, v69, v72
	v_fmac_f32_e32 v73, 0x32a5705f, v67
	v_sub_f32_e32 v58, v70, v74
	v_cvt_i32_f32_e32 v72, v72
	v_mul_f32_e32 v70, 0x3fb8aa3b, v75
	v_add_f32_e32 v69, v69, v71
	v_cvt_i32_f32_e32 v74, v74
	v_add_f32_e32 v58, v58, v73
	v_fma_f32 v71, 0x3fb8aa3b, v75, -v70
	v_exp_f32_e32 v69, v69
	v_rndne_f32_e32 v73, v70
	v_exp_f32_e32 v58, v58
	v_fmac_f32_e32 v71, 0x32a5705f, v75
	v_sub_f32_e32 v70, v70, v73
	v_ldexp_f32 v69, v69, v72
	v_add_co_u32 v72, vcc_lo, s18, v27
	v_add_co_ci_u32_e64 v76, null, s19, v28, vcc_lo
	v_cmp_ngt_f32_e32 vcc_lo, 0xc2ce8ed0, v68
	v_ldexp_f32 v58, v58, v74
	v_add_f32_e32 v70, v70, v71
	v_cndmask_b32_e32 v69, 0, v69, vcc_lo
	v_cmp_ngt_f32_e32 vcc_lo, 0xc2ce8ed0, v67
	v_exp_f32_e32 v70, v70
	v_cndmask_b32_e32 v71, 0, v58, vcc_lo
	v_cmp_nlt_f32_e32 vcc_lo, 0x42b17218, v68
	v_cndmask_b32_e32 v58, 0x7f800000, v69, vcc_lo
	v_cmp_nlt_f32_e32 vcc_lo, 0x42b17218, v67
	v_cndmask_b32_e32 v67, 0x7f800000, v71, vcc_lo
	v_cvt_i32_f32_e32 v71, v73
	v_cvt_f16_f32_e32 v73, v58
	v_add_co_u32 v68, vcc_lo, s18, v29
	v_cvt_f16_f32_e32 v74, v67
	v_add_co_ci_u32_e64 v69, null, s19, v30, vcc_lo
	v_add_co_u32 v77, vcc_lo, s18, v31
	ds_write_b16 v48, v73
	ds_write_b16 v48, v74 offset:64
	s_waitcnt vmcnt(3)
	ds_write_b128 v47, v[1:4]
	s_waitcnt vmcnt(2)
	ds_write_b128 v49, v[5:8]
	;; [unrolled: 2-line block ×4, first 2 shown]
	s_waitcnt lgkmcnt(0)
	s_barrier
	buffer_gl0_inv
	ds_read_b128 v[2:5], v46
	ds_read_b128 v[10:13], v46 offset:16
	v_add_co_ci_u32_e64 v78, null, s19, v32, vcc_lo
	v_add_co_u32 v16, vcc_lo, s18, v33
	v_ldexp_f32 v70, v70, v71
	v_add_co_ci_u32_e64 v73, null, s19, v34, vcc_lo
	v_cmp_ngt_f32_e32 vcc_lo, 0xc2ce8ed0, v75
	ds_read2_b64 v[6:9], v36 offset1:32
	v_cndmask_b32_e32 v1, 0, v70, vcc_lo
	v_add_co_u32 v14, vcc_lo, v72, v53
	v_add_co_ci_u32_e64 v15, null, 0, v76, vcc_lo
	v_cmp_nlt_f32_e32 vcc_lo, 0x42b17218, v75
	s_waitcnt lgkmcnt(2)
	v_mul_u32_u24_sdwa v74, v2, v54 dst_sel:DWORD dst_unused:UNUSED_PAD src0_sel:WORD_0 src1_sel:DWORD
	v_mul_u32_u24_sdwa v2, v2, v54 dst_sel:DWORD dst_unused:UNUSED_PAD src0_sel:WORD_1 src1_sel:DWORD
	v_cndmask_b32_e32 v1, 0x7f800000, v1, vcc_lo
	v_add_co_u32 v120, vcc_lo, v68, v53
	v_add_co_ci_u32_e64 v121, null, 0, v69, vcc_lo
	v_cvt_f16_f32_e32 v72, v1
	ds_read2_b64 v[68:71], v36 offset0:64 offset1:96
	s_waitcnt lgkmcnt(1)
	v_pk_mul_f16 v6, v6, v74
	v_pk_mul_f16 v7, v7, v74
	v_add_co_u32 v124, vcc_lo, v77, v53
	v_mul_u32_u24_sdwa v76, v72, v54 dst_sel:DWORD dst_unused:UNUSED_PAD src0_sel:WORD_0 src1_sel:DWORD
	v_add_co_ci_u32_e64 v125, null, 0, v78, vcc_lo
	v_add_co_u32 v126, vcc_lo, v16, v53
	v_add_co_ci_u32_e64 v127, null, 0, v73, vcc_lo
	ds_read2_b64 v[72:75], v36 offset0:128 offset1:160
	v_pk_fma_f16 v6, v56, v76, v6
	v_pk_fma_f16 v7, v57, v76, v7
	v_mul_u32_u24_sdwa v16, v3, v54 dst_sel:DWORD dst_unused:UNUSED_PAD src0_sel:WORD_0 src1_sel:DWORD
	v_mul_u32_u24_sdwa v3, v3, v54 dst_sel:DWORD dst_unused:UNUSED_PAD src0_sel:WORD_1 src1_sel:DWORD
	ds_read2_b64 v[76:79], v36 offset0:192 offset1:224
	ds_read2_b64 v[80:83], v65 offset1:32
	v_pk_fma_f16 v56, v8, v2, v6
	v_pk_fma_f16 v2, v9, v2, v7
	ds_read2_b64 v[6:9], v65 offset0:64 offset1:96
	ds_read2_b64 v[84:87], v65 offset0:128 offset1:160
	;; [unrolled: 1-line block ×3, first 2 shown]
	ds_read2_b64 v[92:95], v64 offset1:32
	s_waitcnt lgkmcnt(7)
	v_pk_fma_f16 v56, v68, v16, v56
	v_pk_fma_f16 v2, v69, v16, v2
	v_mul_u32_u24_sdwa v16, v4, v54 dst_sel:DWORD dst_unused:UNUSED_PAD src0_sel:WORD_0 src1_sel:DWORD
	v_pk_fma_f16 v56, v70, v3, v56
	v_pk_fma_f16 v2, v71, v3, v2
	v_mul_u32_u24_sdwa v3, v4, v54 dst_sel:DWORD dst_unused:UNUSED_PAD src0_sel:WORD_1 src1_sel:DWORD
	ds_read_b128 v[68:71], v46 offset:32
	ds_read_b128 v[96:99], v46 offset:48
	ds_read2_b64 v[100:103], v64 offset0:64 offset1:96
	ds_read2_b64 v[104:107], v64 offset0:128 offset1:160
	ds_read2_b64 v[108:111], v64 offset0:192 offset1:224
	s_waitcnt lgkmcnt(11)
	v_pk_fma_f16 v4, v72, v16, v56
	v_pk_fma_f16 v2, v73, v16, v2
	v_mul_u32_u24_sdwa v16, v5, v54 dst_sel:DWORD dst_unused:UNUSED_PAD src0_sel:WORD_0 src1_sel:DWORD
	v_mul_u32_u24_sdwa v56, v5, v54 dst_sel:DWORD dst_unused:UNUSED_PAD src0_sel:WORD_1 src1_sel:DWORD
	v_pk_fma_f16 v4, v74, v3, v4
	v_pk_fma_f16 v2, v75, v3, v2
	ds_read2_b64 v[72:75], v66 offset1:32
	ds_read2_b64 v[112:115], v66 offset0:64 offset1:96
	s_waitcnt lgkmcnt(12)
	v_pk_fma_f16 v57, v76, v16, v4
	v_pk_fma_f16 v16, v77, v16, v2
	v_mul_u32_u24_sdwa v76, v10, v54 dst_sel:DWORD dst_unused:UNUSED_PAD src0_sel:WORD_0 src1_sel:DWORD
	v_mul_u32_u24_sdwa v10, v10, v54 dst_sel:DWORD dst_unused:UNUSED_PAD src0_sel:WORD_1 src1_sel:DWORD
	ds_read2_b64 v[2:5], v66 offset0:128 offset1:160
	ds_read2_b64 v[116:119], v66 offset0:192 offset1:224
	v_pk_fma_f16 v57, v78, v56, v57
	v_pk_fma_f16 v16, v79, v56, v16
	s_waitcnt lgkmcnt(0)
	s_barrier
	buffer_gl0_inv
	v_pk_fma_f16 v56, v80, v76, v57
	v_pk_fma_f16 v16, v81, v76, v16
	s_clause 0x1
	global_load_dwordx4 v[76:79], v[14:15], off
	global_load_dwordx4 v[120:123], v[120:121], off
	v_mul_u32_u24_sdwa v15, v11, v54 dst_sel:DWORD dst_unused:UNUSED_PAD src0_sel:WORD_0 src1_sel:DWORD
	v_mul_u32_u24_sdwa v11, v11, v54 dst_sel:DWORD dst_unused:UNUSED_PAD src0_sel:WORD_1 src1_sel:DWORD
	v_pk_fma_f16 v14, v82, v10, v56
	v_pk_fma_f16 v10, v83, v10, v16
	s_clause 0x1
	global_load_dwordx4 v[80:83], v[124:125], off
	global_load_dwordx4 v[124:127], v[126:127], off
	v_mul_u32_u24_sdwa v16, v98, v54 dst_sel:DWORD dst_unused:UNUSED_PAD src0_sel:WORD_1 src1_sel:DWORD
	s_waitcnt vmcnt(3)
	ds_write_b128 v47, v[76:79]
	s_waitcnt vmcnt(2)
	ds_write_b128 v49, v[120:123]
	;; [unrolled: 2-line block ×4, first 2 shown]
	v_pk_fma_f16 v6, v6, v15, v14
	v_pk_fma_f16 v7, v7, v15, v10
	v_mul_u32_u24_sdwa v10, v12, v54 dst_sel:DWORD dst_unused:UNUSED_PAD src0_sel:WORD_0 src1_sel:DWORD
	v_mul_u32_u24_sdwa v14, v98, v54 dst_sel:DWORD dst_unused:UNUSED_PAD src0_sel:WORD_0 src1_sel:DWORD
	s_waitcnt lgkmcnt(0)
	v_pk_fma_f16 v6, v8, v11, v6
	v_pk_fma_f16 v7, v9, v11, v7
	v_mul_u32_u24_sdwa v8, v12, v54 dst_sel:DWORD dst_unused:UNUSED_PAD src0_sel:WORD_1 src1_sel:DWORD
	v_mul_u32_u24_sdwa v9, v13, v54 dst_sel:DWORD dst_unused:UNUSED_PAD src0_sel:WORD_0 src1_sel:DWORD
	s_barrier
	v_pk_fma_f16 v6, v84, v10, v6
	v_pk_fma_f16 v7, v85, v10, v7
	v_mul_u32_u24_sdwa v10, v13, v54 dst_sel:DWORD dst_unused:UNUSED_PAD src0_sel:WORD_1 src1_sel:DWORD
	buffer_gl0_inv
	v_pk_fma_f16 v6, v86, v8, v6
	v_pk_fma_f16 v7, v87, v8, v7
	v_mul_u32_u24_sdwa v8, v68, v54 dst_sel:DWORD dst_unused:UNUSED_PAD src0_sel:WORD_0 src1_sel:DWORD
	v_pk_fma_f16 v6, v88, v9, v6
	v_pk_fma_f16 v7, v89, v9, v7
	v_mul_u32_u24_sdwa v9, v68, v54 dst_sel:DWORD dst_unused:UNUSED_PAD src0_sel:WORD_1 src1_sel:DWORD
	v_pk_fma_f16 v6, v90, v10, v6
	v_pk_fma_f16 v7, v91, v10, v7
	v_mul_u32_u24_sdwa v10, v69, v54 dst_sel:DWORD dst_unused:UNUSED_PAD src0_sel:WORD_0 src1_sel:DWORD
	v_pk_fma_f16 v6, v92, v8, v6
	v_pk_fma_f16 v7, v93, v8, v7
	v_mul_u32_u24_sdwa v8, v69, v54 dst_sel:DWORD dst_unused:UNUSED_PAD src0_sel:WORD_1 src1_sel:DWORD
	;; [unrolled: 6-line block ×4, first 2 shown]
	ds_read_b128 v[68:71], v46 offset:80
	v_pk_fma_f16 v6, v106, v10, v6
	v_pk_fma_f16 v7, v107, v10, v7
	v_mul_u32_u24_sdwa v10, v96, v54 dst_sel:DWORD dst_unused:UNUSED_PAD src0_sel:WORD_0 src1_sel:DWORD
	v_pk_fma_f16 v6, v108, v8, v6
	v_pk_fma_f16 v7, v109, v8, v7
	v_mul_u32_u24_sdwa v8, v96, v54 dst_sel:DWORD dst_unused:UNUSED_PAD src0_sel:WORD_1 src1_sel:DWORD
	v_pk_fma_f16 v6, v110, v9, v6
	v_pk_fma_f16 v7, v111, v9, v7
	v_mul_u32_u24_sdwa v9, v97, v54 dst_sel:DWORD dst_unused:UNUSED_PAD src0_sel:WORD_0 src1_sel:DWORD
	v_pk_fma_f16 v6, v72, v10, v6
	v_pk_fma_f16 v7, v73, v10, v7
	v_mul_u32_u24_sdwa v10, v97, v54 dst_sel:DWORD dst_unused:UNUSED_PAD src0_sel:WORD_1 src1_sel:DWORD
	v_pk_fma_f16 v6, v74, v8, v6
	v_pk_fma_f16 v7, v75, v8, v7
	ds_read2_b64 v[72:75], v36 offset0:128 offset1:160
	v_pk_fma_f16 v6, v112, v9, v6
	v_pk_fma_f16 v11, v113, v9, v7
	v_pk_fma_f16 v12, v114, v10, v6
	ds_read_b128 v[6:9], v46 offset:64
	v_pk_fma_f16 v15, v115, v10, v11
	v_pk_fma_f16 v2, v2, v14, v12
	ds_read2_b64 v[10:13], v36 offset1:32
	v_pk_fma_f16 v3, v3, v14, v15
	v_mul_u32_u24_sdwa v14, v99, v54 dst_sel:DWORD dst_unused:UNUSED_PAD src0_sel:WORD_0 src1_sel:DWORD
	v_pk_fma_f16 v2, v4, v16, v2
	v_pk_fma_f16 v15, v5, v16, v3
	v_mul_u32_u24_sdwa v16, v99, v54 dst_sel:DWORD dst_unused:UNUSED_PAD src0_sel:WORD_1 src1_sel:DWORD
	v_pk_fma_f16 v56, v116, v14, v2
	ds_read2_b64 v[2:5], v36 offset0:64 offset1:96
	v_pk_fma_f16 v14, v117, v14, v15
	v_pk_fma_f16 v15, v118, v16, v56
	s_waitcnt lgkmcnt(2)
	v_mul_u32_u24_sdwa v56, v6, v54 dst_sel:DWORD dst_unused:UNUSED_PAD src0_sel:WORD_0 src1_sel:DWORD
	v_pk_fma_f16 v14, v119, v16, v14
	v_mul_u32_u24_sdwa v6, v6, v54 dst_sel:DWORD dst_unused:UNUSED_PAD src0_sel:WORD_1 src1_sel:DWORD
	s_waitcnt lgkmcnt(1)
	v_pk_fma_f16 v10, v10, v56, v15
	v_pk_fma_f16 v11, v11, v56, v14
	v_mul_u32_u24_sdwa v14, v7, v54 dst_sel:DWORD dst_unused:UNUSED_PAD src0_sel:WORD_0 src1_sel:DWORD
	v_mul_u32_u24_sdwa v7, v7, v54 dst_sel:DWORD dst_unused:UNUSED_PAD src0_sel:WORD_1 src1_sel:DWORD
	v_mul_u32_u24_sdwa v56, v70, v54 dst_sel:DWORD dst_unused:UNUSED_PAD src0_sel:WORD_0 src1_sel:DWORD
	v_pk_fma_f16 v15, v12, v6, v10
	v_pk_fma_f16 v6, v13, v6, v11
	ds_read2_b64 v[10:13], v36 offset0:192 offset1:224
	s_waitcnt lgkmcnt(1)
	v_pk_fma_f16 v2, v2, v14, v15
	v_pk_fma_f16 v3, v3, v14, v6
	v_mul_u32_u24_sdwa v6, v8, v54 dst_sel:DWORD dst_unused:UNUSED_PAD src0_sel:WORD_0 src1_sel:DWORD
	v_mul_u32_u24_sdwa v8, v8, v54 dst_sel:DWORD dst_unused:UNUSED_PAD src0_sel:WORD_1 src1_sel:DWORD
	v_pk_fma_f16 v14, v4, v7, v2
	v_pk_fma_f16 v7, v5, v7, v3
	ds_read2_b64 v[2:5], v65 offset1:32
	v_pk_fma_f16 v14, v72, v6, v14
	v_pk_fma_f16 v6, v73, v6, v7
	v_mul_u32_u24_sdwa v7, v9, v54 dst_sel:DWORD dst_unused:UNUSED_PAD src0_sel:WORD_0 src1_sel:DWORD
	v_pk_fma_f16 v14, v74, v8, v14
	v_pk_fma_f16 v6, v75, v8, v6
	ds_read2_b64 v[72:75], v65 offset0:64 offset1:96
	v_mul_u32_u24_sdwa v8, v9, v54 dst_sel:DWORD dst_unused:UNUSED_PAD src0_sel:WORD_1 src1_sel:DWORD
	s_waitcnt lgkmcnt(2)
	v_pk_fma_f16 v9, v10, v7, v14
	v_pk_fma_f16 v6, v11, v7, v6
	v_mul_u32_u24_sdwa v10, v68, v54 dst_sel:DWORD dst_unused:UNUSED_PAD src0_sel:WORD_0 src1_sel:DWORD
	v_mul_u32_u24_sdwa v14, v69, v54 dst_sel:DWORD dst_unused:UNUSED_PAD src0_sel:WORD_1 src1_sel:DWORD
	v_pk_fma_f16 v11, v12, v8, v9
	v_pk_fma_f16 v12, v13, v8, v6
	ds_read2_b64 v[6:9], v65 offset0:128 offset1:160
	v_mul_u32_u24_sdwa v13, v68, v54 dst_sel:DWORD dst_unused:UNUSED_PAD src0_sel:WORD_1 src1_sel:DWORD
	s_waitcnt lgkmcnt(2)
	v_pk_fma_f16 v2, v2, v10, v11
	v_pk_fma_f16 v3, v3, v10, v12
	v_mul_u32_u24_sdwa v10, v69, v54 dst_sel:DWORD dst_unused:UNUSED_PAD src0_sel:WORD_0 src1_sel:DWORD
	v_pk_fma_f16 v11, v4, v13, v2
	v_pk_fma_f16 v12, v5, v13, v3
	ds_read2_b64 v[2:5], v65 offset0:192 offset1:224
	s_waitcnt lgkmcnt(2)
	v_pk_fma_f16 v15, v72, v10, v11
	v_pk_fma_f16 v16, v73, v10, v12
	ds_read_b128 v[10:13], v46 offset:96
	v_pk_fma_f16 v15, v74, v14, v15
	v_pk_fma_f16 v14, v75, v14, v16
	ds_read2_b64 v[72:75], v64 offset1:32
	v_mul_u32_u24_sdwa v16, v70, v54 dst_sel:DWORD dst_unused:UNUSED_PAD src0_sel:WORD_1 src1_sel:DWORD
	s_waitcnt lgkmcnt(3)
	v_pk_fma_f16 v6, v6, v56, v15
	v_pk_fma_f16 v7, v7, v56, v14
	v_mul_u32_u24_sdwa v14, v71, v54 dst_sel:DWORD dst_unused:UNUSED_PAD src0_sel:WORD_0 src1_sel:DWORD
	v_mul_u32_u24_sdwa v56, v71, v54 dst_sel:DWORD dst_unused:UNUSED_PAD src0_sel:WORD_1 src1_sel:DWORD
	ds_read_b128 v[68:71], v46 offset:112
	v_pk_fma_f16 v15, v8, v16, v6
	v_pk_fma_f16 v16, v9, v16, v7
	ds_read2_b64 v[6:9], v64 offset0:64 offset1:96
	s_waitcnt lgkmcnt(4)
	v_pk_fma_f16 v2, v2, v14, v15
	v_pk_fma_f16 v3, v3, v14, v16
	s_waitcnt lgkmcnt(3)
	v_mul_u32_u24_sdwa v14, v10, v54 dst_sel:DWORD dst_unused:UNUSED_PAD src0_sel:WORD_0 src1_sel:DWORD
	v_mul_u32_u24_sdwa v10, v10, v54 dst_sel:DWORD dst_unused:UNUSED_PAD src0_sel:WORD_1 src1_sel:DWORD
	v_pk_fma_f16 v15, v4, v56, v2
	v_pk_fma_f16 v16, v5, v56, v3
	ds_read2_b64 v[2:5], v64 offset0:128 offset1:160
	s_waitcnt lgkmcnt(3)
	v_pk_fma_f16 v15, v72, v14, v15
	v_pk_fma_f16 v14, v73, v14, v16
	v_mul_u32_u24_sdwa v16, v11, v54 dst_sel:DWORD dst_unused:UNUSED_PAD src0_sel:WORD_0 src1_sel:DWORD
	v_mul_u32_u24_sdwa v11, v11, v54 dst_sel:DWORD dst_unused:UNUSED_PAD src0_sel:WORD_1 src1_sel:DWORD
	s_waitcnt lgkmcnt(2)
	v_mul_u32_u24_sdwa v56, v68, v54 dst_sel:DWORD dst_unused:UNUSED_PAD src0_sel:WORD_1 src1_sel:DWORD
	v_pk_fma_f16 v15, v74, v10, v15
	v_pk_fma_f16 v10, v75, v10, v14
	ds_read2_b64 v[72:75], v64 offset0:192 offset1:224
	s_waitcnt lgkmcnt(2)
	v_pk_fma_f16 v6, v6, v16, v15
	v_pk_fma_f16 v7, v7, v16, v10
	v_mul_u32_u24_sdwa v10, v12, v54 dst_sel:DWORD dst_unused:UNUSED_PAD src0_sel:WORD_0 src1_sel:DWORD
	v_mul_u32_u24_sdwa v12, v12, v54 dst_sel:DWORD dst_unused:UNUSED_PAD src0_sel:WORD_1 src1_sel:DWORD
	v_pk_fma_f16 v14, v8, v11, v6
	v_pk_fma_f16 v11, v9, v11, v7
	ds_read2_b64 v[6:9], v66 offset1:32
	s_waitcnt lgkmcnt(2)
	v_pk_fma_f16 v2, v2, v10, v14
	v_pk_fma_f16 v3, v3, v10, v11
	v_mul_u32_u24_sdwa v10, v13, v54 dst_sel:DWORD dst_unused:UNUSED_PAD src0_sel:WORD_0 src1_sel:DWORD
	v_mul_u32_u24_sdwa v13, v13, v54 dst_sel:DWORD dst_unused:UNUSED_PAD src0_sel:WORD_1 src1_sel:DWORD
	v_mul_u32_u24_sdwa v14, v68, v54 dst_sel:DWORD dst_unused:UNUSED_PAD src0_sel:WORD_0 src1_sel:DWORD
	v_pk_fma_f16 v11, v4, v12, v2
	v_pk_fma_f16 v12, v5, v12, v3
	ds_read2_b64 v[2:5], v66 offset0:64 offset1:96
	s_waitcnt lgkmcnt(2)
	v_pk_fma_f16 v11, v72, v10, v11
	v_pk_fma_f16 v10, v73, v10, v12
	;; [unrolled: 1-line block ×4, first 2 shown]
	ds_read2_b64 v[10:13], v66 offset0:128 offset1:160
	ds_read2_b64 v[72:75], v66 offset0:192 offset1:224
	s_waitcnt lgkmcnt(0)
	v_pk_fma_f16 v6, v6, v14, v15
	v_pk_fma_f16 v7, v7, v14, v16
	v_mul_u32_u24_sdwa v14, v69, v54 dst_sel:DWORD dst_unused:UNUSED_PAD src0_sel:WORD_0 src1_sel:DWORD
	s_barrier
	buffer_gl0_inv
	v_pk_fma_f16 v6, v8, v56, v6
	v_pk_fma_f16 v7, v9, v56, v7
	v_mul_u32_u24_sdwa v8, v69, v54 dst_sel:DWORD dst_unused:UNUSED_PAD src0_sel:WORD_1 src1_sel:DWORD
	s_load_dword s18, s[0:1], 0x4
	v_pk_fma_f16 v2, v2, v14, v6
	v_pk_fma_f16 v3, v3, v14, v7
	v_mul_u32_u24_sdwa v6, v70, v54 dst_sel:DWORD dst_unused:UNUSED_PAD src0_sel:WORD_0 src1_sel:DWORD
	v_pk_fma_f16 v2, v4, v8, v2
	v_pk_fma_f16 v3, v5, v8, v3
	v_mul_u32_u24_sdwa v4, v70, v54 dst_sel:DWORD dst_unused:UNUSED_PAD src0_sel:WORD_1 src1_sel:DWORD
	v_mul_u32_u24_sdwa v5, v71, v54 dst_sel:DWORD dst_unused:UNUSED_PAD src0_sel:WORD_0 src1_sel:DWORD
	v_pk_fma_f16 v2, v10, v6, v2
	v_pk_fma_f16 v3, v11, v6, v3
	;; [unrolled: 1-line block ×4, first 2 shown]
	v_add_f32_e32 v2, v58, v67
	v_mul_u32_u24_sdwa v4, v71, v54 dst_sel:DWORD dst_unused:UNUSED_PAD src0_sel:WORD_1 src1_sel:DWORD
	s_waitcnt lgkmcnt(0)
	s_lshl_b32 s18, s18, 6
	v_pk_fma_f16 v6, v72, v5, v6
	v_pk_fma_f16 v3, v73, v5, v3
	v_fmac_f32_e32 v2, v55, v1
	s_add_i32 s6, s18, s6
	v_pk_fma_f16 v56, v74, v4, v6
	v_pk_fma_f16 v57, v75, v4, v3
	s_cmp_ge_i32 s6, s30
	s_cbranch_scc1 .LBB84_19
; %bb.18:                               ;   in Loop: Header=BB84_9 Depth=1
	v_mov_b32_e32 v58, v35
	v_mov_b32_e32 v55, v2
	s_branch .LBB84_9
.LBB84_19:
	v_mov_b32_e32 v3, 32
	v_mov_b32_e32 v4, v40
.LBB84_20:
	v_cmp_lt_i32_e32 vcc_lo, v60, v3
	s_cmp_lg_u64 s[16:17], 0
	s_cselect_b32 s0, -1, 0
	s_cmp_eq_u32 s28, 0
	v_cndmask_b32_e32 v1, v4, v60, vcc_lo
	v_cmp_lt_i32_e32 vcc_lo, v59, v3
	s_cselect_b32 s1, -1, 0
	s_and_b32 s0, s1, s0
	v_lshlrev_b32_e32 v1, 2, v1
	v_cndmask_b32_e32 v5, v4, v59, vcc_lo
	v_cmp_lt_i32_e32 vcc_lo, v61, v3
	ds_bpermute_b32 v1, v1, v2
	v_lshlrev_b32_e32 v5, 2, v5
	s_waitcnt lgkmcnt(0)
	v_add_f32_e32 v1, v2, v1
	ds_bpermute_b32 v2, v5, v1
	v_cndmask_b32_e32 v5, v4, v61, vcc_lo
	v_cmp_lt_i32_e32 vcc_lo, v62, v3
	v_lshlrev_b32_e32 v5, 2, v5
	s_waitcnt lgkmcnt(0)
	v_add_f32_e32 v1, v1, v2
	ds_bpermute_b32 v2, v5, v1
	v_cndmask_b32_e32 v5, v4, v62, vcc_lo
	v_cmp_lt_i32_e32 vcc_lo, v63, v3
	v_lshlrev_b32_e32 v5, 2, v5
	v_cndmask_b32_e32 v3, v4, v63, vcc_lo
	s_and_b32 vcc_lo, exec_lo, s0
	v_lshlrev_b32_e32 v3, 2, v3
	s_waitcnt lgkmcnt(0)
	v_add_f32_e32 v1, v1, v2
	ds_bpermute_b32 v2, v5, v1
	s_waitcnt lgkmcnt(0)
	v_add_f32_e32 v1, v1, v2
	ds_bpermute_b32 v2, v3, v1
	s_waitcnt lgkmcnt(0)
	v_add_f32_e32 v36, v1, v2
	s_cbranch_vccz .LBB84_22
; %bb.21:
	v_add_nc_u32_e32 v1, s29, v37
	v_ashrrev_i32_e32 v2, 31, v1
	v_lshlrev_b64 v[1:2], 2, v[1:2]
	v_add_co_u32 v1, vcc_lo, s16, v1
	v_add_co_ci_u32_e64 v2, null, s17, v2, vcc_lo
	global_load_dword v1, v[1:2], off
	v_max_f32_e32 v2, v35, v35
	s_waitcnt vmcnt(0)
	v_max_f32_e32 v3, v1, v1
	v_max_f32_e32 v2, v2, v3
	v_sub_f32_e32 v3, v35, v2
	v_sub_f32_e32 v1, v1, v2
	v_mov_b32_e32 v35, v2
	v_mul_f32_e32 v4, 0x3fb8aa3b, v3
	v_mul_f32_e32 v5, 0x3fb8aa3b, v1
	v_cmp_ngt_f32_e32 vcc_lo, 0xc2ce8ed0, v3
	v_fma_f32 v6, 0x3fb8aa3b, v3, -v4
	v_rndne_f32_e32 v7, v4
	v_fma_f32 v8, 0x3fb8aa3b, v1, -v5
	v_rndne_f32_e32 v9, v5
	v_fmac_f32_e32 v6, 0x32a5705f, v3
	v_sub_f32_e32 v4, v4, v7
	v_fmac_f32_e32 v8, 0x32a5705f, v1
	v_sub_f32_e32 v5, v5, v9
	v_add_f32_e32 v4, v4, v6
	v_cvt_i32_f32_e32 v6, v7
	v_add_f32_e32 v5, v5, v8
	v_cvt_i32_f32_e32 v7, v9
	v_exp_f32_e32 v4, v4
	v_exp_f32_e32 v5, v5
	v_ldexp_f32 v4, v4, v6
	v_ldexp_f32 v5, v5, v7
	v_cndmask_b32_e32 v4, 0, v4, vcc_lo
	v_cmp_ngt_f32_e32 vcc_lo, 0xc2ce8ed0, v1
	v_cndmask_b32_e32 v5, 0, v5, vcc_lo
	v_cmp_nlt_f32_e32 vcc_lo, 0x42b17218, v3
	v_cndmask_b32_e32 v3, 0x7f800000, v4, vcc_lo
	v_cmp_nlt_f32_e32 vcc_lo, 0x42b17218, v1
	v_mov_b32_e32 v4, 0x10001
	v_cndmask_b32_e32 v1, 0x7f800000, v5, vcc_lo
	v_cvt_f16_f32_e32 v5, v3
	v_fmac_f32_e32 v1, v36, v3
	v_mul_u32_u24_sdwa v3, v5, v4 dst_sel:DWORD dst_unused:UNUSED_PAD src0_sel:WORD_0 src1_sel:DWORD
	v_mov_b32_e32 v36, v1
	v_pk_mul_f16 v56, v56, v3
	v_pk_mul_f16 v57, v57, v3
.LBB84_22:
	s_mov_b32 s0, exec_lo
	v_cmpx_gt_i32_e64 s2, v17
	s_cbranch_execz .LBB84_25
; %bb.23:
	v_div_scale_f32 v3, null, v36, v36, 1.0
	v_mad_u64_u32 v[1:2], null, s7, s2, v[17:18]
	s_load_dword s1, s[4:5], 0xd4
	v_rcp_f32_e32 v4, v3
	v_div_scale_f32 v6, vcc_lo, 1.0, v36, 1.0
	v_cmp_eq_u32_e64 s0, 0, v0
	v_cvt_f32_f16_e32 v8, v57
	v_mul_lo_u32 v1, v1, s3
	v_cvt_f32_f16_sdwa v9, v57 dst_sel:DWORD dst_unused:UNUSED_PAD src0_sel:WORD_1
	v_fma_f32 v5, -v3, v4, 1.0
	v_add3_u32 v1, s29, v37, v1
	v_fmac_f32_e32 v4, v5, v4
	s_waitcnt lgkmcnt(0)
	s_cmp_lg_u32 s1, 1
	v_mul_f32_e32 v5, v6, v4
	v_fma_f32 v2, -v3, v5, v6
	v_fmac_f32_e32 v5, v2, v4
	v_mad_u64_u32 v[1:2], null, s1, v1, s[28:29]
	s_cselect_b32 s1, -1, 0
	s_and_b32 s0, s0, s1
	v_fma_f32 v2, -v3, v5, v6
	v_mov_b32_e32 v3, 0
	v_div_fmas_f32 v0, v2, v4, v5
	v_lshl_add_u32 v2, v1, 7, v38
	v_cvt_f32_f16_e32 v4, v56
	v_cvt_f32_f16_sdwa v5, v56 dst_sel:DWORD dst_unused:UNUSED_PAD src0_sel:WORD_1
	v_div_fixup_f32 v0, v0, v36, 1.0
	v_lshlrev_b64 v[2:3], 2, v[2:3]
	v_cndmask_b32_e64 v0, v0, 1.0, s1
	v_add_co_u32 v6, vcc_lo, s20, v2
	v_add_co_ci_u32_e64 v7, null, s21, v3, vcc_lo
	v_mul_f32_e32 v2, v0, v4
	v_mul_f32_e32 v3, v0, v5
	;; [unrolled: 1-line block ×4, first 2 shown]
	global_store_dwordx4 v[6:7], v[2:5], off
	s_and_b32 exec_lo, exec_lo, s0
	s_cbranch_execz .LBB84_25
; %bb.24:
	v_ashrrev_i32_e32 v2, 31, v1
	v_lshlrev_b64 v[0:1], 3, v[1:2]
	v_add_co_u32 v0, vcc_lo, s22, v0
	v_add_co_ci_u32_e64 v1, null, s23, v1, vcc_lo
	global_store_dwordx2 v[0:1], v[35:36], off
.LBB84_25:
	s_endpgm
	.section	.rodata,"a",@progbits
	.p2align	6, 0x0
	.amdhsa_kernel _ZL15flash_attn_tileILi128ELi128ELi2ELi2ELb1EEvPKcS1_S1_S1_S1_PKiPfP15HIP_vector_typeIfLj2EEffffjfiS5_IjLj3EEiiiiiiiiiiiliiliiiiil
		.amdhsa_group_segment_fixed_size 10752
		.amdhsa_private_segment_fixed_size 0
		.amdhsa_kernarg_size 464
		.amdhsa_user_sgpr_count 6
		.amdhsa_user_sgpr_private_segment_buffer 1
		.amdhsa_user_sgpr_dispatch_ptr 0
		.amdhsa_user_sgpr_queue_ptr 0
		.amdhsa_user_sgpr_kernarg_segment_ptr 1
		.amdhsa_user_sgpr_dispatch_id 0
		.amdhsa_user_sgpr_flat_scratch_init 0
		.amdhsa_user_sgpr_private_segment_size 0
		.amdhsa_wavefront_size32 1
		.amdhsa_uses_dynamic_stack 0
		.amdhsa_system_sgpr_private_segment_wavefront_offset 0
		.amdhsa_system_sgpr_workgroup_id_x 1
		.amdhsa_system_sgpr_workgroup_id_y 1
		.amdhsa_system_sgpr_workgroup_id_z 1
		.amdhsa_system_sgpr_workgroup_info 0
		.amdhsa_system_vgpr_workitem_id 1
		.amdhsa_next_free_vgpr 128
		.amdhsa_next_free_sgpr 40
		.amdhsa_reserve_vcc 1
		.amdhsa_reserve_flat_scratch 0
		.amdhsa_float_round_mode_32 0
		.amdhsa_float_round_mode_16_64 0
		.amdhsa_float_denorm_mode_32 3
		.amdhsa_float_denorm_mode_16_64 3
		.amdhsa_dx10_clamp 1
		.amdhsa_ieee_mode 1
		.amdhsa_fp16_overflow 0
		.amdhsa_workgroup_processor_mode 1
		.amdhsa_memory_ordered 1
		.amdhsa_forward_progress 1
		.amdhsa_shared_vgpr_count 0
		.amdhsa_exception_fp_ieee_invalid_op 0
		.amdhsa_exception_fp_denorm_src 0
		.amdhsa_exception_fp_ieee_div_zero 0
		.amdhsa_exception_fp_ieee_overflow 0
		.amdhsa_exception_fp_ieee_underflow 0
		.amdhsa_exception_fp_ieee_inexact 0
		.amdhsa_exception_int_div_zero 0
	.end_amdhsa_kernel
	.section	.text._ZL15flash_attn_tileILi128ELi128ELi2ELi2ELb1EEvPKcS1_S1_S1_S1_PKiPfP15HIP_vector_typeIfLj2EEffffjfiS5_IjLj3EEiiiiiiiiiiiliiliiiiil,"axG",@progbits,_ZL15flash_attn_tileILi128ELi128ELi2ELi2ELb1EEvPKcS1_S1_S1_S1_PKiPfP15HIP_vector_typeIfLj2EEffffjfiS5_IjLj3EEiiiiiiiiiiiliiliiiiil,comdat
.Lfunc_end84:
	.size	_ZL15flash_attn_tileILi128ELi128ELi2ELi2ELb1EEvPKcS1_S1_S1_S1_PKiPfP15HIP_vector_typeIfLj2EEffffjfiS5_IjLj3EEiiiiiiiiiiiliiliiiiil, .Lfunc_end84-_ZL15flash_attn_tileILi128ELi128ELi2ELi2ELb1EEvPKcS1_S1_S1_S1_PKiPfP15HIP_vector_typeIfLj2EEffffjfiS5_IjLj3EEiiiiiiiiiiiliiliiiiil
                                        ; -- End function
	.set _ZL15flash_attn_tileILi128ELi128ELi2ELi2ELb1EEvPKcS1_S1_S1_S1_PKiPfP15HIP_vector_typeIfLj2EEffffjfiS5_IjLj3EEiiiiiiiiiiiliiliiiiil.num_vgpr, 128
	.set _ZL15flash_attn_tileILi128ELi128ELi2ELi2ELb1EEvPKcS1_S1_S1_S1_PKiPfP15HIP_vector_typeIfLj2EEffffjfiS5_IjLj3EEiiiiiiiiiiiliiliiiiil.num_agpr, 0
	.set _ZL15flash_attn_tileILi128ELi128ELi2ELi2ELb1EEvPKcS1_S1_S1_S1_PKiPfP15HIP_vector_typeIfLj2EEffffjfiS5_IjLj3EEiiiiiiiiiiiliiliiiiil.numbered_sgpr, 40
	.set _ZL15flash_attn_tileILi128ELi128ELi2ELi2ELb1EEvPKcS1_S1_S1_S1_PKiPfP15HIP_vector_typeIfLj2EEffffjfiS5_IjLj3EEiiiiiiiiiiiliiliiiiil.num_named_barrier, 0
	.set _ZL15flash_attn_tileILi128ELi128ELi2ELi2ELb1EEvPKcS1_S1_S1_S1_PKiPfP15HIP_vector_typeIfLj2EEffffjfiS5_IjLj3EEiiiiiiiiiiiliiliiiiil.private_seg_size, 0
	.set _ZL15flash_attn_tileILi128ELi128ELi2ELi2ELb1EEvPKcS1_S1_S1_S1_PKiPfP15HIP_vector_typeIfLj2EEffffjfiS5_IjLj3EEiiiiiiiiiiiliiliiiiil.uses_vcc, 1
	.set _ZL15flash_attn_tileILi128ELi128ELi2ELi2ELb1EEvPKcS1_S1_S1_S1_PKiPfP15HIP_vector_typeIfLj2EEffffjfiS5_IjLj3EEiiiiiiiiiiiliiliiiiil.uses_flat_scratch, 0
	.set _ZL15flash_attn_tileILi128ELi128ELi2ELi2ELb1EEvPKcS1_S1_S1_S1_PKiPfP15HIP_vector_typeIfLj2EEffffjfiS5_IjLj3EEiiiiiiiiiiiliiliiiiil.has_dyn_sized_stack, 0
	.set _ZL15flash_attn_tileILi128ELi128ELi2ELi2ELb1EEvPKcS1_S1_S1_S1_PKiPfP15HIP_vector_typeIfLj2EEffffjfiS5_IjLj3EEiiiiiiiiiiiliiliiiiil.has_recursion, 0
	.set _ZL15flash_attn_tileILi128ELi128ELi2ELi2ELb1EEvPKcS1_S1_S1_S1_PKiPfP15HIP_vector_typeIfLj2EEffffjfiS5_IjLj3EEiiiiiiiiiiiliiliiiiil.has_indirect_call, 0
	.section	.AMDGPU.csdata,"",@progbits
; Kernel info:
; codeLenInByte = 9276
; TotalNumSgprs: 42
; NumVgprs: 128
; ScratchSize: 0
; MemoryBound: 0
; FloatMode: 240
; IeeeMode: 1
; LDSByteSize: 10752 bytes/workgroup (compile time only)
; SGPRBlocks: 0
; VGPRBlocks: 15
; NumSGPRsForWavesPerEU: 42
; NumVGPRsForWavesPerEU: 128
; Occupancy: 8
; WaveLimiterHint : 1
; COMPUTE_PGM_RSRC2:SCRATCH_EN: 0
; COMPUTE_PGM_RSRC2:USER_SGPR: 6
; COMPUTE_PGM_RSRC2:TRAP_HANDLER: 0
; COMPUTE_PGM_RSRC2:TGID_X_EN: 1
; COMPUTE_PGM_RSRC2:TGID_Y_EN: 1
; COMPUTE_PGM_RSRC2:TGID_Z_EN: 1
; COMPUTE_PGM_RSRC2:TIDIG_COMP_CNT: 1
	.section	.text._ZL15flash_attn_tileILi128ELi128ELi1ELi2ELb1EEvPKcS1_S1_S1_S1_PKiPfP15HIP_vector_typeIfLj2EEffffjfiS5_IjLj3EEiiiiiiiiiiiliiliiiiil,"axG",@progbits,_ZL15flash_attn_tileILi128ELi128ELi1ELi2ELb1EEvPKcS1_S1_S1_S1_PKiPfP15HIP_vector_typeIfLj2EEffffjfiS5_IjLj3EEiiiiiiiiiiiliiliiiiil,comdat
	.globl	_ZL15flash_attn_tileILi128ELi128ELi1ELi2ELb1EEvPKcS1_S1_S1_S1_PKiPfP15HIP_vector_typeIfLj2EEffffjfiS5_IjLj3EEiiiiiiiiiiiliiliiiiil ; -- Begin function _ZL15flash_attn_tileILi128ELi128ELi1ELi2ELb1EEvPKcS1_S1_S1_S1_PKiPfP15HIP_vector_typeIfLj2EEffffjfiS5_IjLj3EEiiiiiiiiiiiliiliiiiil
	.p2align	8
	.type	_ZL15flash_attn_tileILi128ELi128ELi1ELi2ELb1EEvPKcS1_S1_S1_S1_PKiPfP15HIP_vector_typeIfLj2EEffffjfiS5_IjLj3EEiiiiiiiiiiiliiliiiiil,@function
_ZL15flash_attn_tileILi128ELi128ELi1ELi2ELb1EEvPKcS1_S1_S1_S1_PKiPfP15HIP_vector_typeIfLj2EEffffjfiS5_IjLj3EEiiiiiiiiiiiliiliiiiil: ; @_ZL15flash_attn_tileILi128ELi128ELi1ELi2ELb1EEvPKcS1_S1_S1_S1_PKiPfP15HIP_vector_typeIfLj2EEffffjfiS5_IjLj3EEiiiiiiiiiiiliiliiiiil
; %bb.0:
	s_clause 0x1
	s_load_dwordx4 s[0:3], s[4:5], 0x5c
	s_load_dwordx2 s[30:31], s[4:5], 0x80
	s_mov_b32 s28, s7
	s_mov_b64 s[34:35], 0
	s_waitcnt lgkmcnt(0)
	s_lshr_b32 s7, s3, 31
	s_add_i32 s7, s3, s7
	s_ashr_i32 s7, s7, 1
	v_cvt_f32_u32_e32 v2, s7
	s_sub_i32 s10, 0, s7
	v_rcp_iflag_f32_e32 v2, v2
	v_mul_f32_e32 v2, 0x4f7ffffe, v2
	v_cvt_u32_f32_e32 v2, v2
	v_readfirstlane_b32 s9, v2
	s_mul_i32 s10, s10, s9
	s_mul_hi_u32 s10, s9, s10
	s_add_i32 s9, s9, s10
	s_mul_hi_u32 s9, s8, s9
	s_mul_i32 s10, s9, s7
	s_add_i32 s11, s9, 1
	s_sub_i32 s10, s8, s10
	s_sub_i32 s12, s10, s7
	s_cmp_ge_u32 s10, s7
	s_cselect_b32 s9, s11, s9
	s_cselect_b32 s10, s12, s10
	s_add_i32 s11, s9, 1
	s_cmp_ge_u32 s10, s7
	s_cselect_b32 s7, s11, s9
	s_abs_i32 s9, s31
	s_lshl_b32 s8, s8, 1
	v_cvt_f32_u32_e32 v2, s9
	s_sub_i32 s11, 0, s9
	s_mul_i32 s12, s7, s3
	s_abs_i32 s13, s3
	s_sub_i32 s29, s8, s12
	v_rcp_iflag_f32_e32 v2, v2
	v_mul_f32_e32 v2, 0x4f7ffffe, v2
	v_cvt_u32_f32_e32 v2, v2
	v_readfirstlane_b32 s10, v2
	s_mul_i32 s11, s11, s10
	s_mul_hi_u32 s11, s10, s11
	s_add_i32 s10, s10, s11
	s_mul_hi_u32 s8, s13, s10
	s_xor_b32 s10, s3, s31
	s_mul_i32 s11, s8, s9
	s_ashr_i32 s10, s10, 31
	s_sub_i32 s11, s13, s11
	s_add_i32 s12, s8, 1
	s_sub_i32 s13, s11, s9
	s_cmp_ge_u32 s11, s9
	s_cselect_b32 s8, s12, s8
	s_cselect_b32 s11, s13, s11
	s_add_i32 s12, s8, 1
	s_cmp_ge_u32 s11, s9
	s_cselect_b32 s8, s12, s8
	s_xor_b32 s8, s8, s10
	s_sub_i32 s33, s8, s10
	s_clause 0x1
	s_load_dwordx16 s[8:23], s[4:5], 0x0
	s_load_dwordx2 s[36:37], s[4:5], 0xb8
	s_abs_i32 s31, s33
	v_cvt_f32_u32_e32 v2, s31
	v_rcp_iflag_f32_e32 v2, v2
	v_mul_f32_e32 v2, 0x4f7ffffe, v2
	s_waitcnt lgkmcnt(0)
	s_cmp_eq_u64 s[14:15], 0
	v_cvt_u32_f32_e32 v2, v2
	v_readfirstlane_b32 s38, v2
	s_cbranch_scc1 .LBB85_2
; %bb.1:
	s_abs_i32 s26, s36
	s_abs_i32 s27, s7
	v_cvt_f32_u32_e32 v2, s26
	s_sub_i32 s25, 0, s26
	v_rcp_iflag_f32_e32 v2, v2
	v_mul_f32_e32 v2, 0x4f7ffffe, v2
	v_cvt_u32_f32_e32 v2, v2
	v_readfirstlane_b32 s24, v2
	s_mul_i32 s25, s25, s24
	s_mul_hi_u32 s25, s24, s25
	s_add_i32 s24, s24, s25
	s_mul_hi_u32 s34, s27, s24
	s_load_dwordx2 s[24:25], s[4:5], 0xc8
	s_mul_i32 s34, s34, s26
	s_sub_i32 s27, s27, s34
	s_ashr_i32 s34, s7, 31
	s_sub_i32 s35, s27, s26
	s_cmp_ge_u32 s27, s26
	s_cselect_b32 s27, s35, s27
	s_sub_i32 s35, s27, s26
	s_cmp_ge_u32 s27, s26
	s_cselect_b32 s26, s35, s27
	s_xor_b32 s26, s26, s34
	s_sub_i32 s26, s26, s34
	s_ashr_i32 s27, s26, 31
	s_waitcnt lgkmcnt(0)
	s_mul_hi_u32 s34, s24, s26
	s_mul_i32 s27, s24, s27
	s_mul_i32 s25, s25, s26
	s_add_i32 s27, s34, s27
	s_mul_i32 s24, s24, s26
	s_add_i32 s27, s27, s25
	s_add_u32 s34, s14, s24
	s_addc_u32 s35, s15, s27
.LBB85_2:
	v_lshrrev_b32_e32 v2, 1, v1
	s_load_dwordx4 s[24:27], s[4:5], 0x70
	v_and_b32_e32 v36, 1, v1
	v_lshlrev_b32_e32 v7, 4, v0
	v_lshlrev_b32_e32 v38, 3, v0
	v_add_nc_u32_e32 v17, s6, v2
	v_lshl_add_u32 v39, v1, 8, 0x1200
	v_mul_hi_u32 v2, s0, v17
	v_add_nc_u32_e32 v2, v17, v2
	s_waitcnt lgkmcnt(0)
	s_mul_i32 s14, s29, s25
	s_mov_b32 s0, s25
	v_lshrrev_b32_e32 v2, s1, v2
	s_mul_i32 s1, s7, s26
	s_ashr_i32 s15, s1, 31
	s_add_u32 s1, s8, s1
	v_mul_lo_u32 v2, v2, s2
	s_addc_u32 s8, s9, s15
	s_ashr_i32 s9, s14, 31
	s_add_u32 s14, s1, s14
	s_addc_u32 s15, s8, s9
	s_ashr_i32 s1, s25, 31
	s_ashr_i32 s25, s24, 31
	s_lshr_b64 s[8:9], s[24:25], 2
	v_sub_nc_u32_e32 v2, v17, v2
	v_mad_u64_u32 v[3:4], null, s8, v2, 0
	s_lshr_b64 s[8:9], s[0:1], 2
	s_lshr_b32 s0, s1, 2
	s_lshr_b32 s1, s25, 2
	v_mul_lo_u32 v6, s0, v36
	s_load_dword s0, s[4:5], 0x40
	s_cmp_eq_u64 s[18:19], 0
	v_mad_u64_u32 v[4:5], null, s1, v2, v[4:5]
	v_mul_lo_u32 v5, s8, v36
	v_lshlrev_b64 v[3:4], 2, v[3:4]
	v_lshlrev_b64 v[5:6], 2, v[5:6]
	v_add_co_u32 v5, vcc_lo, s14, v5
	v_add_co_ci_u32_e64 v6, null, s15, v6, vcc_lo
	v_add_co_u32 v3, vcc_lo, v5, v3
	v_add_co_ci_u32_e64 v4, null, v6, v4, vcc_lo
	;; [unrolled: 2-line block ×3, first 2 shown]
	v_add_nc_u32_e32 v7, v39, v38
	global_load_dwordx4 v[3:6], v[3:4], off
	s_waitcnt vmcnt(0) lgkmcnt(0)
	v_fma_mixlo_f16 v4, s0, v4, 0
	v_fma_mixlo_f16 v3, s0, v3, 0
	;; [unrolled: 1-line block ×4, first 2 shown]
	v_lshlrev_b32_e32 v4, 16, v4
	v_and_b32_e32 v3, 0xffff, v3
	v_and_b32_e32 v5, 0xffff, v5
	v_lshlrev_b32_e32 v6, 16, v6
	v_or_b32_e32 v3, v4, v3
	v_or3_b32 v4, v6, v5, 0
	v_or3_b32 v3, 0, 0, v3
	ds_write_b64 v7, v[3:4]
	s_waitcnt lgkmcnt(0)
	s_barrier
	buffer_gl0_inv
	s_cbranch_scc1 .LBB85_4
; %bb.3:
	s_load_dword s0, s[4:5], 0xd0
	s_mov_b32 s1, 0
	s_waitcnt lgkmcnt(0)
	s_mul_i32 s0, s0, s7
	s_add_i32 s0, s0, s6
	s_lshl_b64 s[0:1], s[0:1], 2
	s_add_u32 s0, s18, s0
	s_addc_u32 s1, s19, s1
	s_load_dword s30, s[0:1], 0x0
.LBB85_4:
	v_mbcnt_lo_u32_b32 v40, -1, 0
	s_lshl_b32 s6, s28, 5
	s_waitcnt lgkmcnt(0)
	s_cmp_lt_i32 s6, s30
	s_cbranch_scc1 .LBB85_7
; %bb.5:
	v_mbcnt_lo_u32_b32 v3, -1, 0
	v_mov_b32_e32 v41, 32
	v_xor_b32_e32 v61, 16, v3
	v_xor_b32_e32 v60, 8, v3
	;; [unrolled: 1-line block ×5, first 2 shown]
	v_lshlrev_b32_e32 v37, 2, v0
	s_cbranch_execz .LBB85_8
; %bb.6:
	v_mov_b32_e32 v53, 0
	v_mov_b32_e32 v66, 0
	;; [unrolled: 1-line block ×4, first 2 shown]
	s_branch .LBB85_16
.LBB85_7:
                                        ; implicit-def: $vgpr3
                                        ; implicit-def: $vgpr41
                                        ; implicit-def: $vgpr61
                                        ; implicit-def: $vgpr60
                                        ; implicit-def: $vgpr62
                                        ; implicit-def: $vgpr63
                                        ; implicit-def: $vgpr64
	v_lshlrev_b32_e32 v37, 2, v0
.LBB85_8:
	s_clause 0x1
	s_load_dwordx4 s[24:27], s[4:5], 0x98
	s_load_dwordx2 s[0:1], s[4:5], 0x8c
	s_sub_i32 s8, 0, s31
	s_abs_i32 s14, s29
	s_mul_i32 s8, s8, s38
	s_ashr_i32 s36, s37, 1
	s_mul_hi_u32 s8, s38, s8
	s_ashr_i32 s15, s29, 31
	s_add_i32 s38, s38, s8
	s_ashr_i32 s33, s33, 31
	s_mul_hi_u32 s37, s14, s38
	s_ashr_i32 s38, s7, 31
	s_load_dwordx2 s[18:19], s[4:5], 0xa8
	s_mul_i32 s39, s37, s31
	v_lshrrev_b32_e32 v3, 3, v0
	v_and_b32_e32 v21, 28, v37
	v_lshrrev_b32_e32 v6, 4, v0
	v_and_b32_e32 v29, 60, v37
	v_lshl_add_u32 v48, v1, 6, 0x1400
	v_lshl_add_u32 v4, v1, 2, v3
	s_waitcnt lgkmcnt(0)
	s_mul_i32 s40, s24, s38
	s_ashr_i32 s9, s0, 2
	s_mul_hi_u32 s0, s24, s7
	s_mul_i32 s25, s25, s7
	s_add_i32 s0, s0, s40
	s_mul_i32 s24, s24, s7
	s_ashr_i32 s8, s26, 2
	s_add_i32 s0, s0, s25
	s_add_u32 s24, s10, s24
	s_addc_u32 s0, s11, s0
	s_sub_i32 s10, s14, s39
	s_xor_b32 s11, s15, s33
	s_add_i32 s14, s37, 1
	s_sub_i32 s15, s10, s31
	s_cmp_ge_u32 s10, s31
	v_mul_lo_u32 v3, s9, v4
	s_cselect_b32 s14, s14, s37
	s_cselect_b32 s10, s15, s10
	s_add_i32 s15, s14, 1
	s_cmp_ge_u32 s10, s31
	s_load_dword s10, s[4:5], 0x54
	s_cselect_b32 s14, s15, s14
	s_mul_hi_u32 s15, s18, s7
	s_xor_b32 s14, s14, s11
	s_mul_i32 s31, s18, s38
	s_sub_i32 s25, s14, s11
	s_mul_i32 s19, s19, s7
	s_mul_i32 s1, s25, s1
	;; [unrolled: 1-line block ×3, first 2 shown]
	s_ashr_i32 s14, s1, 31
	s_add_u32 s11, s24, s1
	s_addc_u32 s14, s0, s14
	s_add_i32 s0, s15, s31
	s_mul_i32 s1, s18, s7
	s_add_i32 s0, s0, s19
	s_add_u32 s1, s12, s1
	v_lshlrev_b32_e32 v5, 2, v21
	s_addc_u32 s0, s13, s0
	s_ashr_i32 s13, s25, 31
	s_add_u32 s12, s1, s25
	s_addc_u32 s13, s0, s13
	s_lshl_b32 s0, s9, 3
	v_lshl_add_u32 v10, v1, 1, v6
	v_mad_u32_u24 v43, 0x90, v4, v5
	v_add_nc_u32_e32 v5, s0, v3
	v_lshlrev_b32_e32 v14, 2, v29
	v_ashrrev_i32_e32 v4, 31, v3
	v_mul_lo_u32 v9, s8, v10
	v_lshlrev_b32_e32 v55, 2, v21
	v_add_nc_u32_e32 v7, s0, v5
	v_ashrrev_i32_e32 v6, 31, v5
	v_lshl_or_b32 v49, v10, 8, v14
	v_lshlrev_b32_e32 v56, 2, v29
	v_mov_b32_e32 v42, 0
	v_add_nc_u32_e32 v11, s0, v7
	s_and_b32 s0, s26, -4
	v_ashrrev_i32_e32 v8, 31, v7
	v_add_nc_u32_e32 v13, s0, v9
	v_ashrrev_i32_e32 v10, 31, v9
	v_ashrrev_i32_e32 v12, 31, v11
	v_lshlrev_b64 v[21:22], 2, v[5:6]
	v_lshlrev_b64 v[23:24], 2, v[7:8]
	v_add_nc_u32_e32 v1, s0, v13
	v_ashrrev_i32_e32 v14, 31, v13
	v_lshlrev_b64 v[25:26], 2, v[11:12]
	v_lshlrev_b64 v[27:28], 2, v[9:10]
	v_add_nc_u32_e32 v44, 0x480, v43
	v_add_nc_u32_e32 v15, s0, v1
	v_mad_u64_u32 v[18:19], null, v2, s36, v[0:1]
	v_ashrrev_i32_e32 v2, 31, v1
	v_lshlrev_b64 v[19:20], 2, v[3:4]
	v_ashrrev_i32_e32 v16, 31, v15
	v_lshlrev_b64 v[29:30], 2, v[13:14]
	v_add_nc_u32_e32 v45, 0x900, v43
	v_lshlrev_b64 v[31:32], 2, v[1:2]
	v_add_nc_u32_e32 v46, 0xd80, v43
	v_lshlrev_b64 v[33:34], 2, v[15:16]
	v_mul_u32_u24_e32 v47, 0x90, v0
	v_lshl_add_u32 v50, v0, 1, v48
	v_add_nc_u32_e32 v51, 0x400, v49
	v_add_nc_u32_e32 v52, 0x800, v49
	v_add_nc_u32_e32 v54, 0xc00, v49
	v_mov_b32_e32 v59, 0xfeffffff
	v_mov_b32_e32 v41, 32
	;; [unrolled: 1-line block ×5, first 2 shown]
	s_add_u32 s0, s4, 0xd0
	s_addc_u32 s1, s5, 0
	s_mov_b32 s15, 0xbbbac73d
.LBB85_9:                               ; =>This Inner Loop Header: Depth=1
	s_mul_hi_i32 s19, s6, s9
	s_mul_i32 s18, s6, s9
	v_mov_b32_e32 v35, 0
	s_lshl_b64 s[18:19], s[18:19], 2
	s_add_u32 s18, s11, s18
	s_addc_u32 s19, s14, s19
	v_add_co_u32 v1, vcc_lo, s18, v19
	v_add_co_ci_u32_e64 v2, null, s19, v20, vcc_lo
	v_add_co_u32 v3, vcc_lo, s18, v21
	v_add_co_ci_u32_e64 v4, null, s19, v22, vcc_lo
	;; [unrolled: 2-line block ×8, first 2 shown]
	s_clause 0x3
	global_load_dwordx4 v[1:4], v[60:61], off
	global_load_dwordx4 v[5:8], v[62:63], off
	global_load_dwordx4 v[9:12], v[64:65], off
	global_load_dwordx4 v[13:16], v[66:67], off
	s_waitcnt vmcnt(3)
	ds_write_b128 v43, v[1:4]
	s_waitcnt vmcnt(2)
	ds_write_b128 v44, v[5:8]
	;; [unrolled: 2-line block ×4, first 2 shown]
	s_waitcnt lgkmcnt(0)
	s_barrier
	buffer_gl0_inv
	ds_read_b128 v[1:4], v47
	ds_read_b128 v[5:8], v39
	s_waitcnt lgkmcnt(0)
	;;#ASMSTART
	v_dot2_f32_f16 v35, v1, v5, v35
	;;#ASMEND
	;;#ASMSTART
	v_dot2_f32_f16 v35, v2, v6, v35
	;;#ASMEND
	;;#ASMSTART
	v_dot2_f32_f16 v35, v3, v7, v35
	;;#ASMEND
	;;#ASMSTART
	v_dot2_f32_f16 v35, v4, v8, v35
	;;#ASMEND
	ds_read_b128 v[1:4], v47 offset:16
	ds_read_b128 v[5:8], v39 offset:16
	s_waitcnt lgkmcnt(0)
	;;#ASMSTART
	v_dot2_f32_f16 v35, v1, v5, v35
	;;#ASMEND
	;;#ASMSTART
	v_dot2_f32_f16 v35, v2, v6, v35
	;;#ASMEND
	;;#ASMSTART
	v_dot2_f32_f16 v35, v3, v7, v35
	;;#ASMEND
	;;#ASMSTART
	v_dot2_f32_f16 v35, v4, v8, v35
	;;#ASMEND
	ds_read_b128 v[1:4], v47 offset:32
	ds_read_b128 v[5:8], v39 offset:32
	;; [unrolled: 15-line block ×7, first 2 shown]
	s_waitcnt lgkmcnt(0)
	;;#ASMSTART
	v_dot2_f32_f16 v35, v1, v5, v35
	;;#ASMEND
	;;#ASMSTART
	v_dot2_f32_f16 v35, v2, v6, v35
	;;#ASMEND
	;; [unrolled: 3-line block ×4, first 2 shown]
	s_barrier
	buffer_gl0_inv
	s_clause 0x3
	global_load_dwordx4 v[1:4], v[60:61], off offset:128
	global_load_dwordx4 v[5:8], v[62:63], off offset:128
	;; [unrolled: 1-line block ×4, first 2 shown]
                                        ; implicit-def: $vgpr61
	s_waitcnt vmcnt(3)
	ds_write_b128 v43, v[1:4]
	s_waitcnt vmcnt(2)
	ds_write_b128 v44, v[5:8]
	s_waitcnt vmcnt(1)
	ds_write_b128 v45, v[9:12]
	s_waitcnt vmcnt(0)
	ds_write_b128 v46, v[13:16]
	s_waitcnt lgkmcnt(0)
	s_barrier
	buffer_gl0_inv
	ds_read_b128 v[1:4], v47
	ds_read_b128 v[5:8], v39 offset:128
	s_waitcnt lgkmcnt(0)
	;;#ASMSTART
	v_dot2_f32_f16 v35, v1, v5, v35
	;;#ASMEND
	;;#ASMSTART
	v_dot2_f32_f16 v35, v2, v6, v35
	;;#ASMEND
	;;#ASMSTART
	v_dot2_f32_f16 v35, v3, v7, v35
	;;#ASMEND
	;;#ASMSTART
	v_dot2_f32_f16 v35, v4, v8, v35
	;;#ASMEND
	ds_read_b128 v[1:4], v47 offset:16
	ds_read_b128 v[5:8], v39 offset:144
	s_waitcnt lgkmcnt(0)
	;;#ASMSTART
	v_dot2_f32_f16 v35, v1, v5, v35
	;;#ASMEND
	;;#ASMSTART
	v_dot2_f32_f16 v35, v2, v6, v35
	;;#ASMEND
	;;#ASMSTART
	v_dot2_f32_f16 v35, v3, v7, v35
	;;#ASMEND
	;;#ASMSTART
	v_dot2_f32_f16 v35, v4, v8, v35
	;;#ASMEND
	ds_read_b128 v[1:4], v47 offset:32
	ds_read_b128 v[5:8], v39 offset:160
	s_waitcnt lgkmcnt(0)
	;;#ASMSTART
	v_dot2_f32_f16 v35, v1, v5, v35
	;;#ASMEND
	;;#ASMSTART
	v_dot2_f32_f16 v35, v2, v6, v35
	;;#ASMEND
	;;#ASMSTART
	v_dot2_f32_f16 v35, v3, v7, v35
	;;#ASMEND
	;;#ASMSTART
	v_dot2_f32_f16 v35, v4, v8, v35
	;;#ASMEND
	ds_read_b128 v[1:4], v47 offset:48
	ds_read_b128 v[5:8], v39 offset:176
	s_waitcnt lgkmcnt(0)
	;;#ASMSTART
	v_dot2_f32_f16 v35, v1, v5, v35
	;;#ASMEND
	;;#ASMSTART
	v_dot2_f32_f16 v35, v2, v6, v35
	;;#ASMEND
	;;#ASMSTART
	v_dot2_f32_f16 v35, v3, v7, v35
	;;#ASMEND
	;;#ASMSTART
	v_dot2_f32_f16 v35, v4, v8, v35
	;;#ASMEND
	ds_read_b128 v[1:4], v47 offset:64
	ds_read_b128 v[5:8], v39 offset:192
	s_waitcnt lgkmcnt(0)
	;;#ASMSTART
	v_dot2_f32_f16 v35, v1, v5, v35
	;;#ASMEND
	;;#ASMSTART
	v_dot2_f32_f16 v35, v2, v6, v35
	;;#ASMEND
	;;#ASMSTART
	v_dot2_f32_f16 v35, v3, v7, v35
	;;#ASMEND
	;;#ASMSTART
	v_dot2_f32_f16 v35, v4, v8, v35
	;;#ASMEND
	ds_read_b128 v[1:4], v47 offset:80
	ds_read_b128 v[5:8], v39 offset:208
	s_waitcnt lgkmcnt(0)
	;;#ASMSTART
	v_dot2_f32_f16 v35, v1, v5, v35
	;;#ASMEND
	;;#ASMSTART
	v_dot2_f32_f16 v35, v2, v6, v35
	;;#ASMEND
	;;#ASMSTART
	v_dot2_f32_f16 v35, v3, v7, v35
	;;#ASMEND
	;;#ASMSTART
	v_dot2_f32_f16 v35, v4, v8, v35
	;;#ASMEND
	ds_read_b128 v[1:4], v47 offset:96
	ds_read_b128 v[5:8], v39 offset:224
	s_waitcnt lgkmcnt(0)
	;;#ASMSTART
	v_dot2_f32_f16 v35, v1, v5, v35
	;;#ASMEND
	;;#ASMSTART
	v_dot2_f32_f16 v35, v2, v6, v35
	;;#ASMEND
	;;#ASMSTART
	v_dot2_f32_f16 v35, v3, v7, v35
	;;#ASMEND
	;;#ASMSTART
	v_dot2_f32_f16 v35, v4, v8, v35
	;;#ASMEND
	ds_read_b128 v[1:4], v47 offset:112
	ds_read_b128 v[5:8], v39 offset:240
	v_add_nc_u32_e32 v9, s6, v18
	s_waitcnt lgkmcnt(0)
	;;#ASMSTART
	v_dot2_f32_f16 v35, v1, v5, v35
	;;#ASMEND
	v_ashrrev_i32_e32 v10, 31, v9
	;;#ASMSTART
	v_dot2_f32_f16 v35, v2, v6, v35
	;;#ASMEND
	;;#ASMSTART
	v_dot2_f32_f16 v35, v3, v7, v35
	;;#ASMEND
	;; [unrolled: 3-line block ×3, first 2 shown]
	v_cmp_ngt_f32_e64 s18, 0x3f200000, |v35|
	v_lshlrev_b64 v[9:10], 1, v[9:10]
	v_add_co_u32 v9, vcc_lo, s34, v9
	v_add_co_ci_u32_e64 v10, null, s35, v10, vcc_lo
	global_load_ushort v60, v[9:10], off
	s_and_saveexec_b32 s19, s18
	s_xor_b32 s18, exec_lo, s19
	s_cbranch_execz .LBB85_11
; %bb.10:                               ;   in Loop: Header=BB85_9 Depth=1
	v_add_f32_e64 v1, |v35|, |v35|
	v_mul_f32_e32 v2, 0x3fb8aa3b, v1
	v_cmp_ngt_f32_e32 vcc_lo, 0xc2ce8ed0, v1
	v_rndne_f32_e32 v3, v2
	v_fma_f32 v4, 0x3fb8aa3b, v1, -v2
	v_sub_f32_e32 v2, v2, v3
	v_fmac_f32_e32 v4, 0x32a5705f, v1
	v_cvt_i32_f32_e32 v3, v3
	v_add_f32_e32 v2, v2, v4
	v_exp_f32_e32 v2, v2
	v_ldexp_f32 v2, v2, v3
	v_cndmask_b32_e32 v2, 0, v2, vcc_lo
	v_cmp_nlt_f32_e32 vcc_lo, 0x42b17218, v1
	v_cndmask_b32_e32 v1, 0x7f800000, v2, vcc_lo
	v_add_f32_e32 v1, 1.0, v1
	v_rcp_f32_e32 v1, v1
	v_fma_f32 v61, v1, -2.0, 1.0
.LBB85_11:                              ;   in Loop: Header=BB85_9 Depth=1
	s_andn2_saveexec_b32 s18, s18
	s_cbranch_execz .LBB85_13
; %bb.12:                               ;   in Loop: Header=BB85_9 Depth=1
	v_mul_f32_e32 v1, v35, v35
	v_fmaak_f32 v2, s15, v1, 0x3ca908c9
	v_fmaak_f32 v2, v1, v2, 0xbd5c1c4e
	;; [unrolled: 1-line block ×4, first 2 shown]
	v_mul_f32_e64 v2, |v35|, v2
	v_fma_f32 v61, v1, v2, |v35|
.LBB85_13:                              ;   in Loop: Header=BB85_9 Depth=1
	s_or_b32 exec_lo, exec_lo, s18
	s_mul_hi_i32 s19, s6, s8
	s_mul_i32 s18, s6, s8
	s_waitcnt vmcnt(0)
	s_lshl_b64 s[18:19], s[18:19], 2
	s_barrier
	s_add_u32 s18, s12, s18
	s_addc_u32 s19, s13, s19
	v_add_co_u32 v1, vcc_lo, s18, v27
	v_add_co_ci_u32_e64 v2, null, s19, v28, vcc_lo
	v_add_co_u32 v3, vcc_lo, s18, v29
	v_add_co_ci_u32_e64 v4, null, s19, v30, vcc_lo
	;; [unrolled: 2-line block ×8, first 2 shown]
	buffer_gl0_inv
	s_clause 0x3
	global_load_dwordx4 v[1:4], v[1:2], off
	global_load_dwordx4 v[5:8], v[5:6], off
	;; [unrolled: 1-line block ×4, first 2 shown]
	v_bfi_b32 v35, 0x7fffffff, v61, v35
	v_xor_b32_e32 v61, 16, v40
	s_or_b32 s18, s6, 16
	s_mul_hi_i32 s19, s18, s8
	v_fma_mix_f32 v65, s10, v35, v60 op_sel_hi:[0,0,1]
	v_cmp_gt_i32_e32 vcc_lo, 32, v61
	v_max_f32_e32 v35, v59, v59
	s_mul_i32 s18, s18, s8
	v_add_f32_e32 v62, 0x40051340, v65
	v_cndmask_b32_e32 v60, v40, v61, vcc_lo
	s_lshl_b64 s[18:19], s[18:19], 2
	s_add_u32 s18, s12, s18
	v_max_f32_e32 v35, v35, v62
	v_lshlrev_b32_e32 v60, 2, v60
	s_addc_u32 s19, s13, s19
	ds_bpermute_b32 v62, v60, v35
	v_xor_b32_e32 v60, 8, v40
	v_cmp_gt_i32_e32 vcc_lo, 32, v60
	v_cndmask_b32_e32 v63, v40, v60, vcc_lo
	v_lshlrev_b32_e32 v63, 2, v63
	s_waitcnt lgkmcnt(0)
	v_max_f32_e32 v62, v62, v62
	v_max_f32_e32 v35, v35, v62
	v_xor_b32_e32 v62, 4, v40
	ds_bpermute_b32 v63, v63, v35
	v_cmp_gt_i32_e32 vcc_lo, 32, v62
	v_cndmask_b32_e32 v64, v40, v62, vcc_lo
	v_lshlrev_b32_e32 v64, 2, v64
	s_waitcnt lgkmcnt(0)
	v_max_f32_e32 v63, v63, v63
	v_max_f32_e32 v35, v35, v63
	v_xor_b32_e32 v63, 2, v40
	ds_bpermute_b32 v64, v64, v35
	;; [unrolled: 8-line block ×3, first 2 shown]
	v_cmp_gt_i32_e32 vcc_lo, 32, v64
	v_cndmask_b32_e32 v67, v40, v64, vcc_lo
	v_add_co_u32 v70, vcc_lo, s18, v27
	v_add_co_ci_u32_e64 v71, null, s19, v28, vcc_lo
	v_lshlrev_b32_e32 v67, 2, v67
	s_waitcnt lgkmcnt(0)
	v_max_f32_e32 v66, v66, v66
	v_max_f32_e32 v35, v35, v66
	ds_bpermute_b32 v66, v67, v35
	s_waitcnt lgkmcnt(0)
	v_max_f32_e32 v66, v66, v66
	v_max_f32_e32 v35, v35, v66
	v_sub_f32_e32 v66, v65, v35
	v_add_nc_u32_e32 v65, 0x800, v38
	v_sub_f32_e32 v59, v59, v35
	v_mul_f32_e32 v67, 0x3fb8aa3b, v66
	v_mul_f32_e32 v107, 0x3fb8aa3b, v59
	v_fma_f32 v68, 0x3fb8aa3b, v66, -v67
	v_rndne_f32_e32 v69, v67
	v_fma_f32 v108, 0x3fb8aa3b, v59, -v107
	v_rndne_f32_e32 v109, v107
	v_fmac_f32_e32 v68, 0x32a5705f, v66
	v_sub_f32_e32 v67, v67, v69
	v_cvt_i32_f32_e32 v69, v69
	v_fmac_f32_e32 v108, 0x32a5705f, v59
	v_sub_f32_e32 v107, v107, v109
	v_add_f32_e32 v67, v67, v68
	v_add_co_u32 v68, vcc_lo, s18, v29
	v_add_co_ci_u32_e64 v72, null, s19, v30, vcc_lo
	v_exp_f32_e32 v67, v67
	v_add_co_u32 v73, vcc_lo, s18, v31
	v_add_co_ci_u32_e64 v74, null, s19, v32, vcc_lo
	v_add_co_u32 v75, vcc_lo, s18, v33
	v_add_co_ci_u32_e64 v76, null, s19, v34, vcc_lo
	v_add_co_u32 v91, vcc_lo, v70, v56
	v_ldexp_f32 v67, v67, v69
	v_add_co_ci_u32_e64 v92, null, 0, v71, vcc_lo
	v_cmp_ngt_f32_e32 vcc_lo, 0xc2ce8ed0, v66
	v_add_f32_e32 v107, v107, v108
	v_cvt_i32_f32_e32 v108, v109
	v_cndmask_b32_e32 v67, 0, v67, vcc_lo
	v_add_co_u32 v95, vcc_lo, v68, v56
	v_add_co_ci_u32_e64 v96, null, 0, v72, vcc_lo
	v_cmp_nlt_f32_e32 vcc_lo, 0x42b17218, v66
	v_exp_f32_e32 v107, v107
	v_cndmask_b32_e32 v66, 0x7f800000, v67, vcc_lo
	v_add_co_u32 v99, vcc_lo, v73, v56
	v_add_co_ci_u32_e64 v100, null, 0, v74, vcc_lo
	v_cvt_f16_f32_e32 v67, v66
	v_add_co_u32 v103, vcc_lo, v75, v56
	v_add_co_ci_u32_e64 v104, null, 0, v76, vcc_lo
	v_ldexp_f32 v107, v107, v108
	v_cmp_ngt_f32_e32 vcc_lo, 0xc2ce8ed0, v59
	ds_write_b16 v50, v67
	s_waitcnt vmcnt(3)
	ds_write_b128 v49, v[1:4]
	s_waitcnt vmcnt(2)
	ds_write_b128 v51, v[5:8]
	;; [unrolled: 2-line block ×4, first 2 shown]
	s_waitcnt lgkmcnt(0)
	s_barrier
	buffer_gl0_inv
	ds_read2_b64 v[1:4], v38 offset1:32
	ds_read2_b64 v[5:8], v38 offset0:64 offset1:96
	ds_read2_b64 v[9:12], v38 offset0:128 offset1:160
	;; [unrolled: 1-line block ×3, first 2 shown]
	ds_read_b128 v[67:70], v48
	ds_read_b128 v[71:74], v48 offset:16
	ds_read2_b64 v[75:78], v65 offset1:32
	ds_read2_b64 v[79:82], v65 offset0:64 offset1:96
	ds_read2_b64 v[83:86], v65 offset0:128 offset1:160
	;; [unrolled: 1-line block ×3, first 2 shown]
	s_waitcnt lgkmcnt(0)
	s_barrier
	buffer_gl0_inv
	s_clause 0x3
	global_load_dwordx4 v[91:94], v[91:92], off
	global_load_dwordx4 v[95:98], v[95:96], off
	;; [unrolled: 1-line block ×4, first 2 shown]
	v_cndmask_b32_e32 v107, 0, v107, vcc_lo
	v_cmp_nlt_f32_e32 vcc_lo, 0x42b17218, v59
	s_waitcnt vmcnt(3)
	ds_write_b128 v49, v[91:94]
	s_waitcnt vmcnt(2)
	ds_write_b128 v51, v[95:98]
	;; [unrolled: 2-line block ×4, first 2 shown]
	v_cndmask_b32_e32 v59, 0x7f800000, v107, vcc_lo
	v_mul_u32_u24_sdwa v108, v67, v57 dst_sel:DWORD dst_unused:UNUSED_PAD src0_sel:WORD_0 src1_sel:DWORD
	v_mul_u32_u24_sdwa v67, v67, v57 dst_sel:DWORD dst_unused:UNUSED_PAD src0_sel:WORD_1 src1_sel:DWORD
	s_waitcnt lgkmcnt(0)
	s_barrier
	v_cvt_f16_f32_e32 v107, v59
	v_pk_mul_f16 v1, v1, v108
	v_pk_mul_f16 v2, v2, v108
	buffer_gl0_inv
	v_fmac_f32_e32 v66, v58, v59
	v_mul_u32_u24_sdwa v107, v107, v57 dst_sel:DWORD dst_unused:UNUSED_PAD src0_sel:WORD_0 src1_sel:DWORD
	v_pk_fma_f16 v1, v42, v107, v1
	v_pk_fma_f16 v2, v53, v107, v2
	v_mul_u32_u24_sdwa v42, v68, v57 dst_sel:DWORD dst_unused:UNUSED_PAD src0_sel:WORD_0 src1_sel:DWORD
	v_pk_fma_f16 v1, v3, v67, v1
	v_pk_fma_f16 v2, v4, v67, v2
	v_mul_u32_u24_sdwa v3, v68, v57 dst_sel:DWORD dst_unused:UNUSED_PAD src0_sel:WORD_1 src1_sel:DWORD
	v_mul_u32_u24_sdwa v4, v69, v57 dst_sel:DWORD dst_unused:UNUSED_PAD src0_sel:WORD_0 src1_sel:DWORD
	v_pk_fma_f16 v1, v5, v42, v1
	v_pk_fma_f16 v2, v6, v42, v2
	v_mul_u32_u24_sdwa v5, v69, v57 dst_sel:DWORD dst_unused:UNUSED_PAD src0_sel:WORD_1 src1_sel:DWORD
	v_mul_u32_u24_sdwa v42, v74, v57 dst_sel:DWORD dst_unused:UNUSED_PAD src0_sel:WORD_1 src1_sel:DWORD
	v_pk_fma_f16 v1, v7, v3, v1
	v_pk_fma_f16 v2, v8, v3, v2
	v_mul_u32_u24_sdwa v3, v70, v57 dst_sel:DWORD dst_unused:UNUSED_PAD src0_sel:WORD_0 src1_sel:DWORD
	v_pk_fma_f16 v1, v9, v4, v1
	v_pk_fma_f16 v2, v10, v4, v2
	v_mul_u32_u24_sdwa v4, v70, v57 dst_sel:DWORD dst_unused:UNUSED_PAD src0_sel:WORD_1 src1_sel:DWORD
	v_mul_u32_u24_sdwa v9, v73, v57 dst_sel:DWORD dst_unused:UNUSED_PAD src0_sel:WORD_0 src1_sel:DWORD
	ds_read2_b64 v[67:70], v38 offset0:128 offset1:160
	v_pk_fma_f16 v1, v11, v5, v1
	v_pk_fma_f16 v2, v12, v5, v2
	v_mul_u32_u24_sdwa v5, v71, v57 dst_sel:DWORD dst_unused:UNUSED_PAD src0_sel:WORD_0 src1_sel:DWORD
	v_mul_u32_u24_sdwa v11, v73, v57 dst_sel:DWORD dst_unused:UNUSED_PAD src0_sel:WORD_1 src1_sel:DWORD
	v_pk_fma_f16 v1, v13, v3, v1
	v_pk_fma_f16 v2, v14, v3, v2
	v_mul_u32_u24_sdwa v3, v71, v57 dst_sel:DWORD dst_unused:UNUSED_PAD src0_sel:WORD_1 src1_sel:DWORD
	v_mul_u32_u24_sdwa v13, v74, v57 dst_sel:DWORD dst_unused:UNUSED_PAD src0_sel:WORD_0 src1_sel:DWORD
	v_pk_fma_f16 v1, v15, v4, v1
	v_pk_fma_f16 v2, v16, v4, v2
	v_mul_u32_u24_sdwa v4, v72, v57 dst_sel:DWORD dst_unused:UNUSED_PAD src0_sel:WORD_0 src1_sel:DWORD
	v_pk_fma_f16 v1, v75, v5, v1
	v_pk_fma_f16 v2, v76, v5, v2
	v_mul_u32_u24_sdwa v5, v72, v57 dst_sel:DWORD dst_unused:UNUSED_PAD src0_sel:WORD_1 src1_sel:DWORD
	v_pk_fma_f16 v1, v77, v3, v1
	v_pk_fma_f16 v2, v78, v3, v2
	v_pk_fma_f16 v1, v79, v4, v1
	v_pk_fma_f16 v6, v80, v4, v2
	v_pk_fma_f16 v7, v81, v5, v1
	ds_read_b128 v[1:4], v48 offset:32
	v_pk_fma_f16 v10, v82, v5, v6
	v_pk_fma_f16 v12, v83, v9, v7
	ds_read2_b64 v[5:8], v38 offset1:32
	v_pk_fma_f16 v9, v84, v9, v10
	v_pk_fma_f16 v10, v85, v11, v12
	v_pk_fma_f16 v14, v86, v11, v9
	v_pk_fma_f16 v15, v87, v13, v10
	ds_read2_b64 v[9:12], v38 offset0:64 offset1:96
	v_pk_fma_f16 v53, v88, v13, v14
	v_pk_fma_f16 v71, v89, v42, v15
	ds_read_b128 v[13:16], v48 offset:48
	s_waitcnt lgkmcnt(3)
	v_mul_u32_u24_sdwa v72, v1, v57 dst_sel:DWORD dst_unused:UNUSED_PAD src0_sel:WORD_0 src1_sel:DWORD
	v_pk_fma_f16 v42, v90, v42, v53
	v_mul_u32_u24_sdwa v1, v1, v57 dst_sel:DWORD dst_unused:UNUSED_PAD src0_sel:WORD_1 src1_sel:DWORD
	s_waitcnt lgkmcnt(2)
	v_pk_fma_f16 v5, v5, v72, v71
	v_pk_fma_f16 v6, v6, v72, v42
	v_mul_u32_u24_sdwa v42, v2, v57 dst_sel:DWORD dst_unused:UNUSED_PAD src0_sel:WORD_0 src1_sel:DWORD
	v_mul_u32_u24_sdwa v2, v2, v57 dst_sel:DWORD dst_unused:UNUSED_PAD src0_sel:WORD_1 src1_sel:DWORD
	v_pk_fma_f16 v53, v7, v1, v5
	v_pk_fma_f16 v1, v8, v1, v6
	ds_read2_b64 v[5:8], v38 offset0:192 offset1:224
	s_waitcnt lgkmcnt(2)
	v_pk_fma_f16 v9, v9, v42, v53
	v_pk_fma_f16 v1, v10, v42, v1
	v_mul_u32_u24_sdwa v42, v3, v57 dst_sel:DWORD dst_unused:UNUSED_PAD src0_sel:WORD_0 src1_sel:DWORD
	v_pk_fma_f16 v53, v11, v2, v9
	v_pk_fma_f16 v1, v12, v2, v1
	ds_read2_b64 v[9:12], v65 offset1:32
	v_mul_u32_u24_sdwa v2, v3, v57 dst_sel:DWORD dst_unused:UNUSED_PAD src0_sel:WORD_1 src1_sel:DWORD
	v_pk_fma_f16 v3, v67, v42, v53
	v_pk_fma_f16 v1, v68, v42, v1
	v_mul_u32_u24_sdwa v42, v4, v57 dst_sel:DWORD dst_unused:UNUSED_PAD src0_sel:WORD_0 src1_sel:DWORD
	v_pk_fma_f16 v3, v69, v2, v3
	v_pk_fma_f16 v1, v70, v2, v1
	ds_read2_b64 v[67:70], v65 offset0:64 offset1:96
	v_mul_u32_u24_sdwa v2, v4, v57 dst_sel:DWORD dst_unused:UNUSED_PAD src0_sel:WORD_1 src1_sel:DWORD
	s_waitcnt lgkmcnt(2)
	v_pk_fma_f16 v3, v5, v42, v3
	v_pk_fma_f16 v1, v6, v42, v1
	v_mul_u32_u24_sdwa v5, v13, v57 dst_sel:DWORD dst_unused:UNUSED_PAD src0_sel:WORD_0 src1_sel:DWORD
	v_mul_u32_u24_sdwa v13, v13, v57 dst_sel:DWORD dst_unused:UNUSED_PAD src0_sel:WORD_1 src1_sel:DWORD
	v_mul_u32_u24_sdwa v42, v14, v57 dst_sel:DWORD dst_unused:UNUSED_PAD src0_sel:WORD_0 src1_sel:DWORD
	v_pk_fma_f16 v6, v7, v2, v3
	v_pk_fma_f16 v7, v8, v2, v1
	ds_read2_b64 v[1:4], v65 offset0:128 offset1:160
	s_waitcnt lgkmcnt(2)
	v_pk_fma_f16 v9, v9, v5, v6
	v_pk_fma_f16 v10, v10, v5, v7
	ds_read2_b64 v[5:8], v65 offset0:192 offset1:224
	s_waitcnt lgkmcnt(0)
	s_barrier
	v_pk_fma_f16 v9, v11, v13, v9
	v_pk_fma_f16 v10, v12, v13, v10
	v_mul_u32_u24_sdwa v11, v14, v57 dst_sel:DWORD dst_unused:UNUSED_PAD src0_sel:WORD_1 src1_sel:DWORD
	buffer_gl0_inv
	s_load_dword s18, s[0:1], 0x4
	v_pk_fma_f16 v9, v67, v42, v9
	v_pk_fma_f16 v10, v68, v42, v10
	v_mul_u32_u24_sdwa v12, v15, v57 dst_sel:DWORD dst_unused:UNUSED_PAD src0_sel:WORD_0 src1_sel:DWORD
	v_pk_fma_f16 v9, v69, v11, v9
	v_pk_fma_f16 v10, v70, v11, v10
	v_mul_u32_u24_sdwa v11, v15, v57 dst_sel:DWORD dst_unused:UNUSED_PAD src0_sel:WORD_1 src1_sel:DWORD
	v_pk_fma_f16 v1, v1, v12, v9
	v_pk_fma_f16 v2, v2, v12, v10
	v_mul_u32_u24_sdwa v9, v16, v57 dst_sel:DWORD dst_unused:UNUSED_PAD src0_sel:WORD_0 src1_sel:DWORD
	v_pk_fma_f16 v1, v3, v11, v1
	v_pk_fma_f16 v2, v4, v11, v2
	v_mul_u32_u24_sdwa v3, v16, v57 dst_sel:DWORD dst_unused:UNUSED_PAD src0_sel:WORD_1 src1_sel:DWORD
	s_waitcnt lgkmcnt(0)
	s_lshl_b32 s18, s18, 5
	v_pk_fma_f16 v1, v5, v9, v1
	v_pk_fma_f16 v2, v6, v9, v2
	s_add_i32 s6, s18, s6
	s_cmp_ge_i32 s6, s30
	v_pk_fma_f16 v42, v7, v3, v1
	v_pk_fma_f16 v53, v8, v3, v2
	s_cbranch_scc1 .LBB85_15
; %bb.14:                               ;   in Loop: Header=BB85_9 Depth=1
	v_mov_b32_e32 v59, v35
	v_mov_b32_e32 v58, v66
	s_branch .LBB85_9
.LBB85_15:
	v_mov_b32_e32 v3, v40
.LBB85_16:
	v_cmp_lt_i32_e32 vcc_lo, v61, v41
	s_cmp_lg_u64 s[16:17], 0
	s_cselect_b32 s0, -1, 0
	s_cmp_eq_u32 s28, 0
	v_cndmask_b32_e32 v1, v3, v61, vcc_lo
	v_cmp_lt_i32_e32 vcc_lo, v60, v41
	s_cselect_b32 s1, -1, 0
	s_and_b32 s0, s1, s0
	v_lshlrev_b32_e32 v1, 2, v1
	v_cndmask_b32_e32 v2, v3, v60, vcc_lo
	v_cmp_lt_i32_e32 vcc_lo, v62, v41
	ds_bpermute_b32 v1, v1, v66
	v_lshlrev_b32_e32 v2, 2, v2
	v_cndmask_b32_e32 v4, v3, v62, vcc_lo
	v_cmp_lt_i32_e32 vcc_lo, v63, v41
	v_lshlrev_b32_e32 v4, 2, v4
	s_waitcnt lgkmcnt(0)
	v_add_f32_e32 v1, v66, v1
	ds_bpermute_b32 v2, v2, v1
	s_waitcnt lgkmcnt(0)
	v_add_f32_e32 v1, v1, v2
	ds_bpermute_b32 v2, v4, v1
	v_cndmask_b32_e32 v4, v3, v63, vcc_lo
	v_cmp_lt_i32_e32 vcc_lo, v64, v41
	v_lshlrev_b32_e32 v4, 2, v4
	v_cndmask_b32_e32 v3, v3, v64, vcc_lo
	s_and_b32 vcc_lo, exec_lo, s0
	v_lshlrev_b32_e32 v3, 2, v3
	s_waitcnt lgkmcnt(0)
	v_add_f32_e32 v1, v1, v2
	ds_bpermute_b32 v2, v4, v1
	s_waitcnt lgkmcnt(0)
	v_add_f32_e32 v2, v1, v2
	v_add_nc_u32_e32 v1, s29, v36
	ds_bpermute_b32 v3, v3, v2
	s_waitcnt lgkmcnt(0)
	v_add_f32_e32 v36, v2, v3
	s_cbranch_vccz .LBB85_18
; %bb.17:
	v_ashrrev_i32_e32 v2, 31, v1
	v_lshlrev_b64 v[2:3], 2, v[1:2]
	v_add_co_u32 v2, vcc_lo, s16, v2
	v_add_co_ci_u32_e64 v3, null, s17, v3, vcc_lo
	global_load_dword v2, v[2:3], off
	v_max_f32_e32 v3, v35, v35
	s_waitcnt vmcnt(0)
	v_max_f32_e32 v4, v2, v2
	v_max_f32_e32 v3, v3, v4
	v_sub_f32_e32 v4, v35, v3
	v_sub_f32_e32 v2, v2, v3
	v_mov_b32_e32 v35, v3
	v_mul_f32_e32 v5, 0x3fb8aa3b, v4
	v_mul_f32_e32 v6, 0x3fb8aa3b, v2
	v_cmp_ngt_f32_e32 vcc_lo, 0xc2ce8ed0, v4
	v_fma_f32 v7, 0x3fb8aa3b, v4, -v5
	v_rndne_f32_e32 v8, v5
	v_fma_f32 v9, 0x3fb8aa3b, v2, -v6
	v_rndne_f32_e32 v10, v6
	v_fmac_f32_e32 v7, 0x32a5705f, v4
	v_sub_f32_e32 v5, v5, v8
	v_fmac_f32_e32 v9, 0x32a5705f, v2
	v_sub_f32_e32 v6, v6, v10
	v_add_f32_e32 v5, v5, v7
	v_cvt_i32_f32_e32 v7, v8
	v_add_f32_e32 v6, v6, v9
	v_cvt_i32_f32_e32 v8, v10
	v_exp_f32_e32 v5, v5
	v_exp_f32_e32 v6, v6
	v_ldexp_f32 v5, v5, v7
	v_ldexp_f32 v6, v6, v8
	v_cndmask_b32_e32 v5, 0, v5, vcc_lo
	v_cmp_ngt_f32_e32 vcc_lo, 0xc2ce8ed0, v2
	v_cndmask_b32_e32 v6, 0, v6, vcc_lo
	v_cmp_nlt_f32_e32 vcc_lo, 0x42b17218, v4
	v_cndmask_b32_e32 v4, 0x7f800000, v5, vcc_lo
	v_cmp_nlt_f32_e32 vcc_lo, 0x42b17218, v2
	v_mov_b32_e32 v5, 0x10001
	v_cndmask_b32_e32 v2, 0x7f800000, v6, vcc_lo
	v_cvt_f16_f32_e32 v6, v4
	v_fmac_f32_e32 v2, v36, v4
	v_mul_u32_u24_sdwa v4, v6, v5 dst_sel:DWORD dst_unused:UNUSED_PAD src0_sel:WORD_0 src1_sel:DWORD
	v_mov_b32_e32 v36, v2
	v_pk_mul_f16 v42, v42, v4
	v_pk_mul_f16 v53, v53, v4
.LBB85_18:
	v_div_scale_f32 v4, null, v36, v36, 1.0
	v_div_scale_f32 v6, vcc_lo, 1.0, v36, 1.0
	s_load_dword s0, s[4:5], 0xd4
	v_rcp_f32_e32 v5, v4
	v_cvt_f32_f16_e32 v8, v53
	v_cvt_f32_f16_sdwa v9, v53 dst_sel:DWORD dst_unused:UNUSED_PAD src0_sel:WORD_1
	v_fma_f32 v2, -v4, v5, 1.0
	v_fmac_f32_e32 v5, v2, v5
	v_mad_u64_u32 v[2:3], null, s7, s2, v[17:18]
	s_waitcnt lgkmcnt(0)
	s_cmp_lg_u32 s0, 1
	v_mul_f32_e32 v7, v6, v5
	s_cselect_b32 s1, -1, 0
	v_mad_u64_u32 v[1:2], null, v2, s3, v[1:2]
	v_fma_f32 v3, -v4, v7, v6
	v_fmac_f32_e32 v7, v3, v5
	v_mad_u64_u32 v[1:2], null, s0, v1, s[28:29]
	v_fma_f32 v3, -v4, v7, v6
	v_cvt_f32_f16_e32 v4, v42
	v_div_fmas_f32 v2, v3, v5, v7
	v_mov_b32_e32 v3, 0
	v_cmp_eq_u32_e32 vcc_lo, 0, v0
	v_cvt_f32_f16_sdwa v5, v42 dst_sel:DWORD dst_unused:UNUSED_PAD src0_sel:WORD_1
	v_div_fixup_f32 v0, v2, v36, 1.0
	v_lshl_add_u32 v2, v1, 7, v37
	v_cndmask_b32_e64 v0, v0, 1.0, s1
	v_lshlrev_b64 v[6:7], 2, v[2:3]
	v_mul_f32_e32 v2, v0, v4
	v_mul_f32_e32 v3, v0, v5
	v_add_co_u32 v6, s0, s20, v6
	v_mul_f32_e32 v4, v0, v8
	v_mul_f32_e32 v5, v0, v9
	v_add_co_ci_u32_e64 v7, null, s21, v7, s0
	s_and_b32 s0, vcc_lo, s1
	global_store_dwordx4 v[6:7], v[2:5], off
	s_and_saveexec_b32 s1, s0
	s_cbranch_execz .LBB85_20
; %bb.19:
	v_ashrrev_i32_e32 v2, 31, v1
	v_lshlrev_b64 v[0:1], 3, v[1:2]
	v_add_co_u32 v0, vcc_lo, s22, v0
	v_add_co_ci_u32_e64 v1, null, s23, v1, vcc_lo
	global_store_dwordx2 v[0:1], v[35:36], off
.LBB85_20:
	s_endpgm
	.section	.rodata,"a",@progbits
	.p2align	6, 0x0
	.amdhsa_kernel _ZL15flash_attn_tileILi128ELi128ELi1ELi2ELb1EEvPKcS1_S1_S1_S1_PKiPfP15HIP_vector_typeIfLj2EEffffjfiS5_IjLj3EEiiiiiiiiiiiliiliiiiil
		.amdhsa_group_segment_fixed_size 5248
		.amdhsa_private_segment_fixed_size 0
		.amdhsa_kernarg_size 464
		.amdhsa_user_sgpr_count 6
		.amdhsa_user_sgpr_private_segment_buffer 1
		.amdhsa_user_sgpr_dispatch_ptr 0
		.amdhsa_user_sgpr_queue_ptr 0
		.amdhsa_user_sgpr_kernarg_segment_ptr 1
		.amdhsa_user_sgpr_dispatch_id 0
		.amdhsa_user_sgpr_flat_scratch_init 0
		.amdhsa_user_sgpr_private_segment_size 0
		.amdhsa_wavefront_size32 1
		.amdhsa_uses_dynamic_stack 0
		.amdhsa_system_sgpr_private_segment_wavefront_offset 0
		.amdhsa_system_sgpr_workgroup_id_x 1
		.amdhsa_system_sgpr_workgroup_id_y 1
		.amdhsa_system_sgpr_workgroup_id_z 1
		.amdhsa_system_sgpr_workgroup_info 0
		.amdhsa_system_vgpr_workitem_id 1
		.amdhsa_next_free_vgpr 110
		.amdhsa_next_free_sgpr 41
		.amdhsa_reserve_vcc 1
		.amdhsa_reserve_flat_scratch 0
		.amdhsa_float_round_mode_32 0
		.amdhsa_float_round_mode_16_64 0
		.amdhsa_float_denorm_mode_32 3
		.amdhsa_float_denorm_mode_16_64 3
		.amdhsa_dx10_clamp 1
		.amdhsa_ieee_mode 1
		.amdhsa_fp16_overflow 0
		.amdhsa_workgroup_processor_mode 1
		.amdhsa_memory_ordered 1
		.amdhsa_forward_progress 1
		.amdhsa_shared_vgpr_count 0
		.amdhsa_exception_fp_ieee_invalid_op 0
		.amdhsa_exception_fp_denorm_src 0
		.amdhsa_exception_fp_ieee_div_zero 0
		.amdhsa_exception_fp_ieee_overflow 0
		.amdhsa_exception_fp_ieee_underflow 0
		.amdhsa_exception_fp_ieee_inexact 0
		.amdhsa_exception_int_div_zero 0
	.end_amdhsa_kernel
	.section	.text._ZL15flash_attn_tileILi128ELi128ELi1ELi2ELb1EEvPKcS1_S1_S1_S1_PKiPfP15HIP_vector_typeIfLj2EEffffjfiS5_IjLj3EEiiiiiiiiiiiliiliiiiil,"axG",@progbits,_ZL15flash_attn_tileILi128ELi128ELi1ELi2ELb1EEvPKcS1_S1_S1_S1_PKiPfP15HIP_vector_typeIfLj2EEffffjfiS5_IjLj3EEiiiiiiiiiiiliiliiiiil,comdat
.Lfunc_end85:
	.size	_ZL15flash_attn_tileILi128ELi128ELi1ELi2ELb1EEvPKcS1_S1_S1_S1_PKiPfP15HIP_vector_typeIfLj2EEffffjfiS5_IjLj3EEiiiiiiiiiiiliiliiiiil, .Lfunc_end85-_ZL15flash_attn_tileILi128ELi128ELi1ELi2ELb1EEvPKcS1_S1_S1_S1_PKiPfP15HIP_vector_typeIfLj2EEffffjfiS5_IjLj3EEiiiiiiiiiiiliiliiiiil
                                        ; -- End function
	.set _ZL15flash_attn_tileILi128ELi128ELi1ELi2ELb1EEvPKcS1_S1_S1_S1_PKiPfP15HIP_vector_typeIfLj2EEffffjfiS5_IjLj3EEiiiiiiiiiiiliiliiiiil.num_vgpr, 110
	.set _ZL15flash_attn_tileILi128ELi128ELi1ELi2ELb1EEvPKcS1_S1_S1_S1_PKiPfP15HIP_vector_typeIfLj2EEffffjfiS5_IjLj3EEiiiiiiiiiiiliiliiiiil.num_agpr, 0
	.set _ZL15flash_attn_tileILi128ELi128ELi1ELi2ELb1EEvPKcS1_S1_S1_S1_PKiPfP15HIP_vector_typeIfLj2EEffffjfiS5_IjLj3EEiiiiiiiiiiiliiliiiiil.numbered_sgpr, 41
	.set _ZL15flash_attn_tileILi128ELi128ELi1ELi2ELb1EEvPKcS1_S1_S1_S1_PKiPfP15HIP_vector_typeIfLj2EEffffjfiS5_IjLj3EEiiiiiiiiiiiliiliiiiil.num_named_barrier, 0
	.set _ZL15flash_attn_tileILi128ELi128ELi1ELi2ELb1EEvPKcS1_S1_S1_S1_PKiPfP15HIP_vector_typeIfLj2EEffffjfiS5_IjLj3EEiiiiiiiiiiiliiliiiiil.private_seg_size, 0
	.set _ZL15flash_attn_tileILi128ELi128ELi1ELi2ELb1EEvPKcS1_S1_S1_S1_PKiPfP15HIP_vector_typeIfLj2EEffffjfiS5_IjLj3EEiiiiiiiiiiiliiliiiiil.uses_vcc, 1
	.set _ZL15flash_attn_tileILi128ELi128ELi1ELi2ELb1EEvPKcS1_S1_S1_S1_PKiPfP15HIP_vector_typeIfLj2EEffffjfiS5_IjLj3EEiiiiiiiiiiiliiliiiiil.uses_flat_scratch, 0
	.set _ZL15flash_attn_tileILi128ELi128ELi1ELi2ELb1EEvPKcS1_S1_S1_S1_PKiPfP15HIP_vector_typeIfLj2EEffffjfiS5_IjLj3EEiiiiiiiiiiiliiliiiiil.has_dyn_sized_stack, 0
	.set _ZL15flash_attn_tileILi128ELi128ELi1ELi2ELb1EEvPKcS1_S1_S1_S1_PKiPfP15HIP_vector_typeIfLj2EEffffjfiS5_IjLj3EEiiiiiiiiiiiliiliiiiil.has_recursion, 0
	.set _ZL15flash_attn_tileILi128ELi128ELi1ELi2ELb1EEvPKcS1_S1_S1_S1_PKiPfP15HIP_vector_typeIfLj2EEffffjfiS5_IjLj3EEiiiiiiiiiiiliiliiiiil.has_indirect_call, 0
	.section	.AMDGPU.csdata,"",@progbits
; Kernel info:
; codeLenInByte = 6428
; TotalNumSgprs: 43
; NumVgprs: 110
; ScratchSize: 0
; MemoryBound: 0
; FloatMode: 240
; IeeeMode: 1
; LDSByteSize: 5248 bytes/workgroup (compile time only)
; SGPRBlocks: 0
; VGPRBlocks: 13
; NumSGPRsForWavesPerEU: 43
; NumVGPRsForWavesPerEU: 110
; Occupancy: 9
; WaveLimiterHint : 1
; COMPUTE_PGM_RSRC2:SCRATCH_EN: 0
; COMPUTE_PGM_RSRC2:USER_SGPR: 6
; COMPUTE_PGM_RSRC2:TRAP_HANDLER: 0
; COMPUTE_PGM_RSRC2:TGID_X_EN: 1
; COMPUTE_PGM_RSRC2:TGID_Y_EN: 1
; COMPUTE_PGM_RSRC2:TGID_Z_EN: 1
; COMPUTE_PGM_RSRC2:TIDIG_COMP_CNT: 1
	.section	.text._ZL15flash_attn_tileILi128ELi128ELi64ELi1ELb1EEvPKcS1_S1_S1_S1_PKiPfP15HIP_vector_typeIfLj2EEffffjfiS5_IjLj3EEiiiiiiiiiiiliiliiiiil,"axG",@progbits,_ZL15flash_attn_tileILi128ELi128ELi64ELi1ELb1EEvPKcS1_S1_S1_S1_PKiPfP15HIP_vector_typeIfLj2EEffffjfiS5_IjLj3EEiiiiiiiiiiiliiliiiiil,comdat
	.globl	_ZL15flash_attn_tileILi128ELi128ELi64ELi1ELb1EEvPKcS1_S1_S1_S1_PKiPfP15HIP_vector_typeIfLj2EEffffjfiS5_IjLj3EEiiiiiiiiiiiliiliiiiil ; -- Begin function _ZL15flash_attn_tileILi128ELi128ELi64ELi1ELb1EEvPKcS1_S1_S1_S1_PKiPfP15HIP_vector_typeIfLj2EEffffjfiS5_IjLj3EEiiiiiiiiiiiliiliiiiil
	.p2align	8
	.type	_ZL15flash_attn_tileILi128ELi128ELi64ELi1ELb1EEvPKcS1_S1_S1_S1_PKiPfP15HIP_vector_typeIfLj2EEffffjfiS5_IjLj3EEiiiiiiiiiiiliiliiiiil,@function
_ZL15flash_attn_tileILi128ELi128ELi64ELi1ELb1EEvPKcS1_S1_S1_S1_PKiPfP15HIP_vector_typeIfLj2EEffffjfiS5_IjLj3EEiiiiiiiiiiiliiliiiiil: ; @_ZL15flash_attn_tileILi128ELi128ELi64ELi1ELb1EEvPKcS1_S1_S1_S1_PKiPfP15HIP_vector_typeIfLj2EEffffjfiS5_IjLj3EEiiiiiiiiiiiliiliiiiil
; %bb.0:
	s_add_u32 s6, s6, s11
	s_addc_u32 s7, s7, 0
	s_setreg_b32 hwreg(HW_REG_FLAT_SCR_LO), s6
	s_setreg_b32 hwreg(HW_REG_FLAT_SCR_HI), s7
	s_clause 0x1
	s_load_dwordx4 s[28:31], s[4:5], 0x5c
	s_load_dwordx2 s[48:49], s[4:5], 0x80
	s_add_u32 s0, s0, s11
	s_addc_u32 s1, s1, 0
	s_mov_b32 s34, s9
	s_load_dwordx2 s[50:51], s[4:5], 0xb8
	s_mov_b64 s[46:47], 0
	s_waitcnt lgkmcnt(0)
	v_cvt_f32_u32_e32 v2, s31
	s_sub_i32 s7, 0, s31
	v_rcp_iflag_f32_e32 v2, v2
	v_mul_f32_e32 v2, 0x4f7ffffe, v2
	v_cvt_u32_f32_e32 v2, v2
	v_readfirstlane_b32 s6, v2
	s_mul_i32 s7, s7, s6
	s_mul_hi_u32 s7, s6, s7
	s_add_i32 s6, s6, s7
	s_mul_hi_u32 s6, s10, s6
	s_mul_i32 s7, s6, s31
	s_add_i32 s9, s6, 1
	s_sub_i32 s7, s10, s7
	s_sub_i32 s11, s7, s31
	s_cmp_ge_u32 s7, s31
	s_cselect_b32 s6, s9, s6
	s_cselect_b32 s7, s11, s7
	s_add_i32 s9, s6, 1
	s_cmp_ge_u32 s7, s31
	s_cselect_b32 s33, s9, s6
	s_abs_i32 s6, s49
	s_abs_i32 s12, s31
	v_cvt_f32_u32_e32 v2, s6
	s_sub_i32 s9, 0, s6
	s_mul_i32 s11, s33, s31
	s_sub_i32 s44, s10, s11
	v_rcp_iflag_f32_e32 v2, v2
	v_mul_f32_e32 v2, 0x4f7ffffe, v2
	v_cvt_u32_f32_e32 v2, v2
	v_readfirstlane_b32 s7, v2
	s_mul_i32 s9, s9, s7
	s_mul_hi_u32 s9, s7, s9
	s_add_i32 s7, s7, s9
	s_xor_b32 s9, s31, s49
	s_mul_hi_u32 s7, s12, s7
	s_ashr_i32 s9, s9, 31
	s_mul_i32 s10, s7, s6
	s_add_i32 s11, s7, 1
	s_sub_i32 s10, s12, s10
	s_sub_i32 s12, s10, s6
	s_cmp_ge_u32 s10, s6
	s_cselect_b32 s7, s11, s7
	s_cselect_b32 s10, s12, s10
	s_add_i32 s11, s7, 1
	s_cmp_ge_u32 s10, s6
	s_load_dwordx16 s[12:27], s[4:5], 0x0
	s_cselect_b32 s6, s11, s7
	s_abs_i32 s49, s44
	s_xor_b32 s6, s6, s9
	s_sub_i32 s10, s6, s9
	s_abs_i32 s35, s10
	v_cvt_f32_u32_e32 v2, s35
	s_sub_i32 s7, 0, s35
	v_rcp_iflag_f32_e32 v2, v2
	v_mul_f32_e32 v2, 0x4f7ffffe, v2
	v_cvt_u32_f32_e32 v2, v2
	v_readfirstlane_b32 s6, v2
	s_mul_i32 s7, s7, s6
	s_mul_hi_u32 s7, s6, s7
	s_add_i32 s6, s6, s7
	s_waitcnt lgkmcnt(0)
	s_cmp_eq_u64 s[18:19], 0
	s_cbranch_scc1 .LBB86_2
; %bb.1:
	s_abs_i32 s7, s50
	s_abs_i32 s38, s33
	v_cvt_f32_u32_e32 v2, s7
	s_sub_i32 s11, 0, s7
	s_load_dwordx2 s[36:37], s[4:5], 0xc8
	v_rcp_iflag_f32_e32 v2, v2
	v_mul_f32_e32 v2, 0x4f7ffffe, v2
	v_cvt_u32_f32_e32 v2, v2
	v_readfirstlane_b32 s9, v2
	s_mul_i32 s11, s11, s9
	s_mul_hi_u32 s11, s9, s11
	s_add_i32 s9, s9, s11
	s_ashr_i32 s11, s33, 31
	s_mul_hi_u32 s9, s38, s9
	s_mul_i32 s9, s9, s7
	s_sub_i32 s9, s38, s9
	s_sub_i32 s38, s9, s7
	s_cmp_ge_u32 s9, s7
	s_cselect_b32 s9, s38, s9
	s_sub_i32 s38, s9, s7
	s_cmp_ge_u32 s9, s7
	s_cselect_b32 s7, s38, s9
	s_xor_b32 s7, s7, s11
	s_sub_i32 s7, s7, s11
	s_ashr_i32 s9, s7, 31
	s_waitcnt lgkmcnt(0)
	s_mul_hi_u32 s11, s36, s7
	s_mul_i32 s9, s36, s9
	s_add_i32 s9, s11, s9
	s_mul_i32 s11, s37, s7
	s_mul_i32 s7, s36, s7
	s_add_i32 s9, s9, s11
	s_add_u32 s46, s18, s7
	s_addc_u32 s47, s19, s9
.LBB86_2:
	s_clause 0x1
	s_load_dwordx4 s[36:39], s[4:5], 0x40
	s_load_dwordx2 s[18:19], s[4:5], 0x50
	v_mov_b32_e32 v24, 1.0
	s_waitcnt lgkmcnt(0)
	v_cmp_le_f32_e64 s7, s37, 0
	s_mul_hi_u32 s37, s49, s6
	s_and_b32 vcc_lo, exec_lo, s7
	s_cbranch_vccnz .LBB86_4
; %bb.3:
	v_sub_co_u32 v3, vcc_lo, s44, s18
	v_mov_b32_e32 v2, s38
	s_add_i32 s6, s44, 1
	v_lshlrev_b32_e32 v3, 1, v3
	v_cndmask_b32_e32 v2, s39, v2, vcc_lo
	v_or_b32_e32 v3, 1, v3
	v_cndmask_b32_e64 v3, v3, s6, vcc_lo
	v_cmp_neq_f32_e32 vcc_lo, 1.0, v2
	s_mov_b32 s6, 0x3e76c4e1
	v_cvt_f32_i32_e32 v3, v3
	v_cndmask_b32_e32 v4, 1.0, v3, vcc_lo
	v_cmp_neq_f32_e32 vcc_lo, 0, v4
	v_cndmask_b32_e32 v5, 1.0, v2, vcc_lo
	v_frexp_mant_f32_e64 v2, |v5|
	v_cmp_eq_f32_e64 s9, 0, v5
	v_cmp_gt_f32_e32 vcc_lo, 0x3f2aaaab, v2
	v_cndmask_b32_e64 v3, 1.0, 2.0, vcc_lo
	v_mul_f32_e32 v2, v2, v3
	v_add_f32_e32 v3, 1.0, v2
	v_add_f32_e32 v7, -1.0, v2
	v_rcp_f32_e32 v6, v3
	v_add_f32_e32 v9, -1.0, v3
	v_sub_f32_e32 v2, v2, v9
	v_mul_f32_e32 v8, v7, v6
	v_mul_f32_e32 v10, v3, v8
	v_fma_f32 v3, v8, v3, -v10
	v_fmac_f32_e32 v3, v8, v2
	v_add_f32_e32 v2, v10, v3
	v_sub_f32_e32 v9, v7, v2
	v_sub_f32_e32 v10, v2, v10
	;; [unrolled: 1-line block ×5, first 2 shown]
	v_add_f32_e32 v2, v3, v2
	v_add_f32_e32 v2, v9, v2
	v_mul_f32_e32 v2, v6, v2
	v_add_f32_e32 v6, v8, v2
	v_sub_f32_e32 v3, v6, v8
	v_mul_f32_e32 v7, v6, v6
	v_sub_f32_e32 v8, v2, v3
	v_fma_f32 v2, v6, v6, -v7
	v_add_f32_e32 v3, v8, v8
	v_fmac_f32_e32 v2, v6, v3
	v_add_f32_e32 v9, v7, v2
	v_fmaak_f32 v3, s6, v9, 0x3e91f4c4
	v_sub_f32_e32 v7, v9, v7
	v_mul_f32_e32 v14, v6, v9
	v_fmaak_f32 v3, v9, v3, 0x3ecccdef
	v_sub_f32_e32 v7, v2, v7
	v_fma_f32 v15, v9, v6, -v14
	v_mul_f32_e32 v10, v9, v3
	v_fmac_f32_e32 v15, v9, v8
	v_ldexp_f32 v8, v8, 1
	v_fma_f32 v11, v9, v3, -v10
	v_fmac_f32_e32 v15, v7, v6
	v_fmac_f32_e32 v11, v7, v3
	v_cvt_f64_f32_e64 v[2:3], |v5|
	v_add_f32_e32 v12, v10, v11
	v_sub_f32_e32 v10, v12, v10
	v_add_f32_e32 v13, 0x3f2aaaaa, v12
	v_sub_f32_e32 v10, v11, v10
	v_add_f32_e32 v11, 0xbf2aaaaa, v13
	v_add_f32_e32 v10, 0x31739010, v10
	v_sub_f32_e32 v11, v12, v11
	v_frexp_exp_i32_f64_e32 v2, v[2:3]
	v_add_f32_e32 v9, v10, v11
	v_add_f32_e32 v10, v14, v15
	;; [unrolled: 1-line block ×3, first 2 shown]
	v_sub_f32_e32 v12, v10, v14
	v_sub_f32_e32 v3, v13, v7
	v_mul_f32_e32 v11, v10, v7
	v_sub_f32_e32 v12, v15, v12
	v_add_f32_e32 v3, v9, v3
	v_fma_f32 v9, v10, v7, -v11
	v_subrev_co_ci_u32_e64 v2, null, 0, v2, vcc_lo
	v_fmac_f32_e32 v9, v10, v3
	v_ldexp_f32 v3, v6, 1
	v_cvt_f32_i32_e32 v2, v2
	v_fmac_f32_e32 v9, v12, v7
	v_add_f32_e32 v6, v11, v9
	v_add_f32_e32 v7, v3, v6
	v_sub_f32_e32 v10, v6, v11
	v_mul_f32_e32 v11, 0x3f317218, v2
	v_sub_f32_e32 v3, v7, v3
	v_sub_f32_e32 v9, v9, v10
	v_fma_f32 v10, 0x3f317218, v2, -v11
	v_sub_f32_e32 v3, v6, v3
	v_add_f32_e32 v6, v8, v9
	v_fmamk_f32 v2, v2, 0xb102e308, v10
	v_add_f32_e32 v3, v6, v3
	v_add_f32_e32 v6, v11, v2
	;; [unrolled: 1-line block ×3, first 2 shown]
	v_sub_f32_e32 v11, v6, v11
	v_add_f32_e32 v9, v6, v8
	v_sub_f32_e32 v7, v8, v7
	v_sub_f32_e32 v2, v2, v11
	;; [unrolled: 1-line block ×6, first 2 shown]
	v_add_f32_e32 v8, v2, v3
	v_sub_f32_e32 v6, v6, v12
	v_add_f32_e32 v6, v7, v6
	v_sub_f32_e32 v7, v8, v2
	;; [unrolled: 2-line block ×3, first 2 shown]
	v_sub_f32_e32 v3, v3, v7
	v_add_f32_e32 v10, v9, v6
	v_sub_f32_e32 v2, v2, v8
	v_sub_f32_e32 v7, v10, v9
	v_add_f32_e32 v2, v3, v2
	v_sub_f32_e32 v3, v6, v7
	v_add_f32_e32 v2, v2, v3
	v_add_f32_e32 v3, v10, v2
	v_sub_f32_e32 v6, v3, v10
	v_mul_f32_e32 v7, v4, v3
	v_sub_f32_e32 v2, v2, v6
	v_fma_f32 v3, v4, v3, -v7
	v_cmp_class_f32_e64 vcc_lo, v7, 0x204
	v_fmac_f32_e32 v3, v4, v2
	v_add_f32_e32 v2, v7, v3
	v_cndmask_b32_e32 v6, v2, v7, vcc_lo
	v_sub_f32_e32 v2, v2, v7
	v_cmp_eq_f32_e32 vcc_lo, 0x42b17218, v6
	v_sub_f32_e32 v2, v3, v2
	v_cndmask_b32_e64 v8, 0, 0x37000000, vcc_lo
	v_cmp_neq_f32_e64 vcc_lo, 0x7f800000, |v6|
	v_sub_f32_e32 v9, v6, v8
	v_cndmask_b32_e32 v2, 0, v2, vcc_lo
	v_trunc_f32_e32 v6, v4
	v_mul_f32_e32 v10, 0x3fb8aa3b, v9
	v_cmp_ngt_f32_e32 vcc_lo, 0xc2ce8ed0, v9
	v_add_f32_e32 v2, v8, v2
	v_fma_f32 v11, 0x3fb8aa3b, v9, -v10
	v_rndne_f32_e32 v12, v10
	v_fmamk_f32 v11, v9, 0x32a5705f, v11
	v_sub_f32_e32 v10, v10, v12
	v_cvt_i32_f32_e32 v7, v12
	v_add_f32_e32 v10, v10, v11
	v_exp_f32_e32 v10, v10
	v_ldexp_f32 v3, v10, v7
	v_mul_f32_e32 v7, 0.5, v4
	v_cndmask_b32_e32 v3, 0, v3, vcc_lo
	v_cmp_nlt_f32_e32 vcc_lo, 0x42b17218, v9
	v_trunc_f32_e32 v10, v7
	v_cndmask_b32_e32 v3, 0x7f800000, v3, vcc_lo
	v_cmp_eq_f32_e32 vcc_lo, v6, v4
	v_cmp_neq_f32_e64 s6, v10, v7
	v_fma_f32 v2, v3, v2, v3
	v_cmp_class_f32_e64 s7, v3, 0x204
	s_and_b32 s6, vcc_lo, s6
	v_cndmask_b32_e64 v6, 1.0, v5, s6
	v_cndmask_b32_e64 v2, v2, v3, s7
	v_cmp_gt_f32_e64 s7, 0, v4
	v_bfi_b32 v2, 0x7fffffff, v2, v6
	s_xor_b32 s7, s7, s9
	v_cndmask_b32_e64 v6, 0, v5, s6
	v_cndmask_b32_e64 v3, 0x7f800000, 0, s7
	v_cmp_class_f32_e64 s6, v5, 0x204
	v_cndmask_b32_e32 v4, 0x7fc00000, v2, vcc_lo
	v_cmp_gt_f32_e32 vcc_lo, 0, v5
	v_bfi_b32 v3, 0x7fffffff, v3, v6
	v_cndmask_b32_e32 v2, v2, v4, vcc_lo
	s_or_b32 vcc_lo, s9, s6
	v_cndmask_b32_e32 v2, v2, v3, vcc_lo
	v_cmp_o_f32_e32 vcc_lo, v5, v5
	v_cndmask_b32_e32 v24, 0x7fc00000, v2, vcc_lo
.LBB86_4:
	v_lshlrev_b32_e32 v26, 3, v1
	s_lshl_b32 s18, s8, 6
	s_load_dwordx4 s[40:43], s[4:5], 0x70
	s_ashr_i32 s45, s44, 31
	s_ashr_i32 s38, s10, 31
	v_or_b32_e32 v40, 1, v26
	v_add_nc_u32_e32 v27, s18, v26
	v_or_b32_e32 v37, 2, v26
	v_or_b32_e32 v36, 3, v26
	;; [unrolled: 1-line block ×3, first 2 shown]
	v_add_nc_u32_e32 v42, s18, v40
	v_mul_hi_u32 v2, v27, s28
	v_add_nc_u32_e32 v41, s18, v37
	v_add_nc_u32_e32 v39, s18, v36
	;; [unrolled: 1-line block ×3, first 2 shown]
	v_mul_hi_u32 v3, v42, s28
	v_or_b32_e32 v31, 5, v26
	v_mul_hi_u32 v4, v41, s28
	v_mul_hi_u32 v5, v39, s28
	v_add_nc_u32_e32 v2, v27, v2
	v_mul_hi_u32 v12, v35, s28
	v_add_nc_u32_e32 v34, s18, v31
	s_waitcnt lgkmcnt(0)
	s_mul_i32 s6, s33, s42
	v_add_nc_u32_e32 v3, v42, v3
	v_lshrrev_b32_e32 v2, s29, v2
	v_add_nc_u32_e32 v4, v41, v4
	s_mul_i32 s7, s44, s41
	s_ashr_i32 s9, s6, 31
	v_lshrrev_b32_e32 v3, s29, v3
	v_mul_lo_u32 v2, v2, s30
	v_lshrrev_b32_e32 v4, s29, v4
	s_add_u32 s6, s12, s6
	s_addc_u32 s9, s13, s9
	v_mul_lo_u32 v6, v3, s30
	s_ashr_i32 s10, s7, 31
	s_add_u32 s11, s6, s7
	s_addc_u32 s9, s9, s10
	v_sub_nc_u32_e32 v18, v27, v2
	s_ashr_i32 s41, s40, 31
	v_mul_lo_u32 v7, v4, s30
	s_lshr_b64 s[6:7], s[40:41], 2
	v_sub_nc_u32_e32 v11, v42, v6
	v_mad_u64_u32 v[3:4], null, s6, v18, 0
	v_add_nc_u32_e32 v13, v39, v5
	s_lshr_b32 s7, s41, 2
	v_mad_u64_u32 v[5:6], null, s6, v11, 0
	v_sub_nc_u32_e32 v14, v41, v7
	v_lshrrev_b32_e32 v13, s29, v13
	v_lshlrev_b32_e32 v2, 4, v0
	v_add_nc_u32_e32 v12, v35, v12
	v_or_b32_e32 v30, 6, v26
	v_mad_u64_u32 v[7:8], null, s6, v14, 0
	v_mad_u64_u32 v[9:10], null, s7, v18, v[4:5]
	v_mov_b32_e32 v4, v6
	v_add_co_u32 v25, s10, s11, v2
	v_add_co_ci_u32_e64 v38, null, s9, 0, s10
	v_mad_u64_u32 v[10:11], null, s7, v11, v[4:5]
	v_mul_lo_u32 v11, v13, s30
	v_mov_b32_e32 v6, v8
	v_mov_b32_e32 v4, v9
	v_mul_hi_u32 v13, v34, s28
	v_or_b32_e32 v28, 7, v26
	v_add_nc_u32_e32 v33, s18, v30
	v_mad_u64_u32 v[8:9], null, s7, v14, v[6:7]
	v_mov_b32_e32 v6, v10
	v_sub_nc_u32_e32 v11, v39, v11
	v_lshlrev_b64 v[3:4], 2, v[3:4]
	v_lshrrev_b32_e32 v9, s29, v12
	v_add_nc_u32_e32 v29, s18, v28
	v_lshlrev_b64 v[5:6], 2, v[5:6]
	v_mad_u64_u32 v[15:16], null, s6, v11, 0
	v_add_co_u32 v3, vcc_lo, v25, v3
	v_mul_lo_u32 v12, v9, s30
	v_add_co_ci_u32_e64 v4, null, v38, v4, vcc_lo
	v_add_co_u32 v9, vcc_lo, v25, v5
	v_add_co_ci_u32_e64 v10, null, v38, v6, vcc_lo
	v_lshlrev_b64 v[5:6], 2, v[7:8]
	v_add_nc_u32_e32 v8, v34, v13
	v_mov_b32_e32 v7, v16
	v_sub_nc_u32_e32 v13, v35, v12
	v_mul_hi_u32 v12, v33, s28
	v_mov_b32_e32 v65, 0
	v_lshrrev_b32_e32 v14, s29, v8
	v_mad_u64_u32 v[7:8], null, s7, v11, v[7:8]
	v_mul_hi_u32 v8, v29, s28
	v_add_co_u32 v11, vcc_lo, v25, v5
	v_add_nc_u32_e32 v17, v33, v12
	v_add_co_ci_u32_e64 v12, null, v38, v6, vcc_lo
	v_mad_u64_u32 v[19:20], null, s6, v13, 0
	v_add_nc_u32_e32 v6, v29, v8
	v_mul_lo_u32 v14, v14, s30
	v_mov_b32_e32 v16, v7
	v_lshrrev_b32_e32 v7, s29, v17
	s_cmp_eq_u64 s[22:23], 0
	v_lshrrev_b32_e32 v6, s29, v6
	v_mov_b32_e32 v5, v20
	v_lshlrev_b64 v[15:16], 2, v[15:16]
	v_mul_lo_u32 v17, v7, s30
	v_sub_nc_u32_e32 v23, v34, v14
	v_mul_lo_u32 v43, v6, s30
	v_mad_u64_u32 v[20:21], null, s7, v13, v[5:6]
	v_add_co_u32 v15, vcc_lo, v25, v15
	v_mad_u64_u32 v[21:22], null, s6, v23, 0
	v_sub_nc_u32_e32 v45, v33, v17
	v_sub_nc_u32_e32 v46, v29, v43
	v_lshlrev_b64 v[19:20], 2, v[19:20]
	v_add_co_ci_u32_e64 v16, null, v38, v16, vcc_lo
	v_mad_u64_u32 v[43:44], null, s6, v45, 0
	v_mad_u64_u32 v[55:56], null, s6, v46, 0
	v_mov_b32_e32 v17, v22
	v_add_co_u32 v19, vcc_lo, v25, v19
	v_add_co_ci_u32_e64 v20, null, v38, v20, vcc_lo
	v_mad_u64_u32 v[22:23], null, s7, v23, v[17:18]
	v_mov_b32_e32 v17, v44
	v_mov_b32_e32 v23, v56
	s_clause 0x2
	global_load_dwordx4 v[3:6], v[3:4], off
	global_load_dwordx4 v[7:10], v[9:10], off
	;; [unrolled: 1-line block ×3, first 2 shown]
	v_mad_u64_u32 v[44:45], null, s7, v45, v[17:18]
	v_mad_u64_u32 v[45:46], null, s7, v46, v[23:24]
	v_lshlrev_b64 v[21:22], 2, v[21:22]
	s_mov_b32 s7, 0
	v_lshlrev_b64 v[57:58], 2, v[43:44]
	v_add_co_u32 v21, vcc_lo, v25, v21
	v_mov_b32_e32 v56, v45
	v_add_co_ci_u32_e64 v22, null, v38, v22, vcc_lo
	s_clause 0x2
	global_load_dwordx4 v[43:46], v[15:16], off
	global_load_dwordx4 v[47:50], v[19:20], off
	;; [unrolled: 1-line block ×3, first 2 shown]
	v_lshlrev_b64 v[15:16], 2, v[55:56]
	v_add_co_u32 v19, vcc_lo, v25, v57
	v_add_co_ci_u32_e64 v20, null, v38, v58, vcc_lo
	v_lshlrev_b32_e32 v21, 3, v0
	v_add_co_u32 v15, vcc_lo, v25, v15
	v_add_co_ci_u32_e64 v16, null, v38, v16, vcc_lo
	s_clause 0x1
	global_load_dwordx4 v[55:58], v[19:20], off
	global_load_dwordx4 v[59:62], v[15:16], off
	v_lshlrev_b32_e32 v19, 11, v1
	v_lshl_add_u32 v20, v40, 8, v21
	v_lshl_add_u32 v22, v37, 8, v21
	v_lshl_add_u32 v23, v36, 8, v21
	v_lshl_add_u32 v25, v32, 8, v21
	v_or_b32_e32 v16, v21, v19
	v_lshl_add_u32 v38, v31, 8, v21
	v_lshl_add_u32 v63, v30, 8, v21
	;; [unrolled: 1-line block ×3, first 2 shown]
	s_waitcnt vmcnt(7)
	v_fma_mixlo_f16 v4, s36, v4, 0
	v_fma_mixlo_f16 v3, s36, v3, 0
	;; [unrolled: 1-line block ×4, first 2 shown]
	s_waitcnt vmcnt(6)
	v_fma_mixlo_f16 v7, s36, v7, 0
	v_lshlrev_b32_e32 v4, 16, v4
	v_and_b32_e32 v3, 0xffff, v3
	v_lshlrev_b32_e32 v6, 16, v6
	v_and_b32_e32 v5, 0xffff, v5
	v_fma_mixlo_f16 v8, s36, v8, 0
	v_fma_mixlo_f16 v9, s36, v9, 0
	;; [unrolled: 1-line block ×3, first 2 shown]
	s_waitcnt vmcnt(5)
	v_fma_mixlo_f16 v11, s36, v11, 0
	v_fma_mixlo_f16 v12, s36, v12, 0
	;; [unrolled: 1-line block ×4, first 2 shown]
	v_or_b32_e32 v3, v4, v3
	v_or3_b32 v4, v6, v5, 0
	v_lshlrev_b32_e32 v5, 16, v8
	s_waitcnt vmcnt(4)
	v_fma_mixlo_f16 v15, s36, v43, 0
	v_fma_mixlo_f16 v17, s36, v44, 0
	v_fma_mixlo_f16 v43, s36, v45, 0
	v_fma_mixlo_f16 v44, s36, v46, 0
	s_waitcnt vmcnt(3)
	v_fma_mixlo_f16 v45, s36, v47, 0
	v_fma_mixlo_f16 v46, s36, v48, 0
	v_fma_mixlo_f16 v47, s36, v49, 0
	v_fma_mixlo_f16 v48, s36, v50, 0
	;; [unrolled: 5-line block ×3, first 2 shown]
	v_and_b32_e32 v6, 0xffff, v7
	v_lshlrev_b32_e32 v7, 16, v10
	s_waitcnt vmcnt(1)
	v_fma_mixlo_f16 v53, s36, v55, 0
	v_fma_mixlo_f16 v54, s36, v56, 0
	;; [unrolled: 1-line block ×4, first 2 shown]
	s_waitcnt vmcnt(0)
	v_fma_mixlo_f16 v57, s36, v59, 0
	v_fma_mixlo_f16 v58, s36, v60, 0
	v_and_b32_e32 v8, 0xffff, v9
	v_lshlrev_b32_e32 v9, 16, v12
	v_and_b32_e32 v10, 0xffff, v11
	v_lshlrev_b32_e32 v11, 16, v14
	;; [unrolled: 2-line block ×7, first 2 shown]
	v_and_b32_e32 v48, 0xffff, v49
	v_fma_mixlo_f16 v59, s36, v61, 0
	v_fma_mixlo_f16 v60, s36, v62, 0
	v_lshlrev_b32_e32 v49, 16, v52
	v_and_b32_e32 v50, 0xffff, v51
	v_lshlrev_b32_e32 v51, 16, v54
	v_and_b32_e32 v52, 0xffff, v53
	;; [unrolled: 2-line block ×4, first 2 shown]
	v_or3_b32 v3, 0, 0, v3
	v_or_b32_e32 v6, v5, v6
	v_or3_b32 v5, v7, v8, 0
	v_or_b32_e32 v8, v9, v10
	v_or_b32_e32 v10, v13, v14
	v_or3_b32 v7, v11, v12, 0
	v_or_b32_e32 v12, v43, v44
	v_or_b32_e32 v14, v47, v48
	v_lshlrev_b32_e32 v57, 16, v60
	v_and_b32_e32 v58, 0xffff, v59
	v_or_b32_e32 v43, v51, v52
	v_or_b32_e32 v44, v55, v56
	ds_write_b64 v16, v[3:4]
	v_or3_b32 v4, 0, 0, v6
	v_or3_b32 v6, 0, 0, v8
	;; [unrolled: 1-line block ×12, first 2 shown]
	ds_write_b64 v20, v[4:5]
	ds_write_b64 v22, v[6:7]
	;; [unrolled: 1-line block ×7, first 2 shown]
	s_waitcnt lgkmcnt(0)
	s_barrier
	buffer_gl0_inv
	s_cbranch_scc1 .LBB86_6
; %bb.5:
	s_load_dword s6, s[4:5], 0xd0
	s_waitcnt lgkmcnt(0)
	s_mul_i32 s6, s6, s33
	s_add_i32 s6, s6, s8
	s_lshl_b64 s[6:7], s[6:7], 2
	s_add_u32 s6, s22, s6
	s_addc_u32 s7, s23, s7
	s_load_dword s48, s[6:7], 0x0
.LBB86_6:
	s_clause 0x1
	s_load_dwordx2 s[6:7], s[4:5], 0x8c
	s_load_dwordx4 s[8:11], s[4:5], 0x98
	s_ashr_i32 s13, s33, 31
	s_load_dwordx2 s[40:41], s[4:5], 0xa8
	s_ashr_i32 s22, s51, 1
	s_mul_i32 s36, s37, s35
	v_lshlrev_b32_e32 v38, 2, v0
	v_lshrrev_b32_e32 v73, 3, v0
	v_or_b32_e32 v48, 1, v27
	v_or_b32_e32 v47, 2, v27
	;; [unrolled: 1-line block ×4, first 2 shown]
	v_and_b32_e32 v74, 28, v38
	v_or_b32_e32 v44, 5, v27
	v_or_b32_e32 v43, 6, v27
	;; [unrolled: 1-line block ×3, first 2 shown]
	v_lshrrev_b32_e32 v22, 4, v0
	v_and_b32_e32 v23, 60, v38
	v_mbcnt_lo_u32_b32 v20, -1, 0
	s_waitcnt lgkmcnt(0)
	s_ashr_i32 s23, s6, 2
	s_ashr_i32 s12, s10, 2
	s_mul_hi_u32 s6, s8, s33
	s_mul_i32 s10, s8, s13
	s_mul_i32 s9, s9, s33
	s_add_i32 s6, s6, s10
	s_mul_i32 s8, s8, s33
	s_add_i32 s6, s6, s9
	s_add_u32 s8, s14, s8
	s_addc_u32 s6, s15, s6
	s_sub_i32 s10, s49, s36
	s_xor_b32 s9, s45, s38
	s_add_i32 s14, s37, 1
	s_sub_i32 s15, s10, s35
	s_cmp_ge_u32 s10, s35
	s_mul_i32 s13, s40, s13
	s_cselect_b32 s14, s14, s37
	s_cselect_b32 s10, s15, s10
	s_add_i32 s15, s14, 1
	s_cmp_ge_u32 s10, s35
	s_mul_hi_u32 s35, s40, s33
	s_cselect_b32 s10, s15, s14
	s_mul_i32 s36, s40, s33
	s_xor_b32 s10, s10, s9
	s_sub_i32 s9, s10, s9
	s_mul_i32 s10, s41, s33
	s_mul_i32 s7, s9, s7
	;; [unrolled: 1-line block ×3, first 2 shown]
	s_ashr_i32 s15, s7, 31
	s_add_u32 s14, s8, s7
	s_addc_u32 s15, s6, s15
	s_add_i32 s6, s35, s13
	s_add_i32 s6, s6, s10
	s_add_u32 s7, s16, s36
	s_addc_u32 s6, s17, s6
	s_ashr_i32 s8, s9, 31
	s_add_u32 s9, s7, s9
	s_addc_u32 s13, s6, s8
	s_lshl_b32 s8, s34, 6
	s_sub_i32 s10, s48, 64
	s_cmp_ge_i32 s8, s10
	s_cbranch_scc1 .LBB86_114
; %bb.7:
	v_mul_hi_u32 v3, s28, v48
	v_mul_hi_u32 v6, s28, v47
	;; [unrolled: 1-line block ×7, first 2 shown]
	v_lshl_add_u32 v4, v1, 2, v73
	v_add_nc_u32_e32 v7, v48, v3
	v_add_nc_u32_e32 v6, v47, v6
	;; [unrolled: 1-line block ×4, first 2 shown]
	v_mul_lo_u32 v3, s23, v4
	v_lshrrev_b32_e32 v7, s29, v7
	v_lshrrev_b32_e32 v11, s29, v6
	;; [unrolled: 1-line block ×4, first 2 shown]
	v_lshlrev_b32_e32 v5, 2, v74
	v_mul_lo_u32 v7, v7, s30
	v_mul_lo_u32 v11, v11, s30
	;; [unrolled: 1-line block ×4, first 2 shown]
	v_mad_u32_u24 v4, 0x90, v4, v5
	v_lshl_add_u32 v5, s23, 5, v3
	v_lshl_add_u32 v86, v1, 10, 0x6400
	v_mul_lo_u32 v75, v18, s22
	v_sub_nc_u32_e32 v7, v48, v7
	v_sub_nc_u32_e32 v11, v47, v11
	;; [unrolled: 1-line block ×3, first 2 shown]
	v_add_nc_u32_e32 v77, 0x4000, v4
	v_add_nc_u32_e32 v78, 0x5200, v4
	v_mul_lo_u32 v79, v7, s22
	v_add_nc_u32_e32 v7, v44, v10
	v_add_nc_u32_e32 v10, v43, v12
	;; [unrolled: 1-line block ×3, first 2 shown]
	v_mul_lo_u32 v80, v11, s22
	v_mul_lo_u32 v81, v8, s22
	v_lshrrev_b32_e32 v7, s29, v7
	v_lshrrev_b32_e32 v10, s29, v10
	;; [unrolled: 1-line block ×3, first 2 shown]
	v_sub_nc_u32_e32 v8, v45, v9
	v_lshlrev_b32_e32 v13, 2, v23
	v_mul_lo_u32 v7, v7, s30
	v_mul_lo_u32 v10, v10, s30
	;; [unrolled: 1-line block ×3, first 2 shown]
	v_lshl_add_u32 v12, v1, 1, v22
	v_ashrrev_i32_e32 v4, 31, v3
	v_ashrrev_i32_e32 v6, 31, v5
	v_mul_lo_u32 v82, v8, s22
	s_movk_i32 s6, 0x4000
	v_sub_nc_u32_e32 v9, v44, v7
	v_mul_lo_u32 v7, s12, v12
	v_sub_nc_u32_e32 v10, v43, v10
	v_sub_nc_u32_e32 v11, v25, v11
	v_mov_b32_e32 v49, 0
	v_mul_lo_u32 v83, v9, s22
	v_lshl_or_b32 v9, v12, 8, v13
	v_mul_lo_u32 v84, v10, s22
	v_mul_lo_u32 v85, v11, s22
	v_lshl_add_u32 v16, s12, 4, v7
	v_ashrrev_i32_e32 v8, 31, v7
	v_lshlrev_b64 v[10:11], 2, v[3:4]
	v_lshlrev_b64 v[12:13], 2, v[5:6]
	s_cmp_lg_u64 s[46:47], 0
	v_ashrrev_i32_e32 v17, 31, v16
	v_lshlrev_b64 v[14:15], 2, v[7:8]
	v_mad_u32_u24 v76, 0x90, v0, s6
	v_add_nc_u32_e32 v87, 0x4000, v9
	v_add_nc_u32_e32 v88, 0x5000, v9
	v_lshlrev_b64 v[16:17], 2, v[16:17]
	v_or_b32_e32 v89, 0x4000, v21
	v_mov_b32_e32 v110, 0xfeffffff
	v_lshlrev_b32_e32 v90, 2, v74
	v_add_nc_u32_e32 v91, v86, v2
	v_lshlrev_b32_e32 v92, 2, v23
	v_mbcnt_lo_u32_b32 v93, -1, 0
	v_mov_b32_e32 v94, 0x10001
	v_mov_b32_e32 v50, 0
	v_mov_b32_e32 v52, 0
	v_mov_b32_e32 v51, 0
	v_mov_b32_e32 v54, 0
	v_mov_b32_e32 v53, 0
	v_mov_b32_e32 v56, 0
	v_mov_b32_e32 v55, 0
	v_mov_b32_e32 v58, 0
	v_mov_b32_e32 v57, 0
	v_mov_b32_e32 v60, 0
	v_mov_b32_e32 v59, 0
	v_mov_b32_e32 v62, 0
	v_mov_b32_e32 v61, 0
	v_mov_b32_e32 v64, 0
	v_mov_b32_e32 v63, 0
	v_mov_b32_e32 v108, 0xfeffffff
	v_mov_b32_e32 v106, 0xfeffffff
	v_mov_b32_e32 v104, 0xfeffffff
	v_mov_b32_e32 v102, 0xfeffffff
	v_mov_b32_e32 v100, 0xfeffffff
	v_mov_b32_e32 v98, 0xfeffffff
	v_mov_b32_e32 v96, 0xfeffffff
	v_mov_b32_e32 v109, 0
	v_mov_b32_e32 v107, 0
	v_mov_b32_e32 v105, 0
	v_mov_b32_e32 v103, 0
	v_mov_b32_e32 v101, 0
	v_mov_b32_e32 v99, 0
	v_mov_b32_e32 v97, 0
	v_mov_b32_e32 v95, 0
	s_cselect_b32 s11, -1, 0
	s_add_u32 s6, s4, 0xd0
	s_addc_u32 s7, s5, 0
	s_mov_b32 s16, 0xbbbac73d
.LBB86_8:                               ; =>This Inner Loop Header: Depth=1
	s_mul_hi_i32 s37, s8, s23
	s_mul_i32 s36, s8, s23
	v_mov_b32_e32 v113, 0
	s_lshl_b64 s[36:37], s[36:37], 2
	v_mov_b32_e32 v111, 0
	s_add_u32 s17, s14, s36
	s_addc_u32 s35, s15, s37
	v_add_co_u32 v2, vcc_lo, s17, v10
	v_add_co_ci_u32_e64 v3, null, s35, v11, vcc_lo
	v_add_co_u32 v4, vcc_lo, s17, v12
	v_add_co_ci_u32_e64 v5, null, s35, v13, vcc_lo
	;; [unrolled: 2-line block ×4, first 2 shown]
	s_clause 0x1
	global_load_dwordx4 v[6:9], v[2:3], off
	global_load_dwordx4 v[114:117], v[4:5], off
	v_mov_b32_e32 v71, 0
	v_mov_b32_e32 v69, 0
	v_mov_b32_e32 v67, 0
	v_mov_b32_e32 v65, 0
	v_mov_b32_e32 v112, 0
	v_mov_b32_e32 v72, 0
	v_mov_b32_e32 v70, 0
	v_mov_b32_e32 v68, 0
	v_mov_b32_e32 v66, 0
	s_waitcnt vmcnt(1)
	ds_write_b128 v77, v[6:9]
	s_waitcnt vmcnt(0)
	ds_write_b128 v78, v[114:117]
	s_waitcnt lgkmcnt(0)
	s_barrier
	buffer_gl0_inv
	ds_read_b128 v[115:118], v76
	ds_read_b128 v[119:122], v19
	ds_read_b128 v[123:126], v19 offset:256
	ds_read_b128 v[127:130], v19 offset:512
	;; [unrolled: 1-line block ×8, first 2 shown]
	v_mov_b32_e32 v8, 0
	v_mov_b32_e32 v6, 0
	;; [unrolled: 1-line block ×5, first 2 shown]
	s_waitcnt lgkmcnt(8)
	;;#ASMSTART
	v_dot2_f32_f16 v113, v115, v119, v113
	;;#ASMEND
	;;#ASMSTART
	v_dot2_f32_f16 v113, v116, v120, v113
	;;#ASMEND
	;;#ASMSTART
	v_dot2_f32_f16 v113, v117, v121, v113
	;;#ASMEND
	;;#ASMSTART
	v_dot2_f32_f16 v113, v118, v122, v113
	;;#ASMEND
	s_waitcnt lgkmcnt(7)
	;;#ASMSTART
	v_dot2_f32_f16 v111, v115, v123, v111
	;;#ASMEND
	;;#ASMSTART
	v_dot2_f32_f16 v111, v116, v124, v111
	;;#ASMEND
	;;#ASMSTART
	v_dot2_f32_f16 v111, v117, v125, v111
	;;#ASMEND
	;;#ASMSTART
	v_dot2_f32_f16 v111, v118, v126, v111
	;;#ASMEND
	;; [unrolled: 13-line block ×8, first 2 shown]
	;;#ASMSTART
	v_dot2_f32_f16 v114, v135, v119, v114
	;;#ASMEND
	;;#ASMSTART
	v_dot2_f32_f16 v114, v136, v120, v114
	;;#ASMEND
	;; [unrolled: 3-line block ×32, first 2 shown]
	ds_read_b128 v[115:118], v76 offset:16
	ds_read_b128 v[119:122], v19 offset:16
	;; [unrolled: 1-line block ×10, first 2 shown]
	s_waitcnt lgkmcnt(8)
	;;#ASMSTART
	v_dot2_f32_f16 v113, v115, v119, v113
	;;#ASMEND
	;;#ASMSTART
	v_dot2_f32_f16 v113, v116, v120, v113
	;;#ASMEND
	;;#ASMSTART
	v_dot2_f32_f16 v113, v117, v121, v113
	;;#ASMEND
	;;#ASMSTART
	v_dot2_f32_f16 v113, v118, v122, v113
	;;#ASMEND
	s_waitcnt lgkmcnt(7)
	;;#ASMSTART
	v_dot2_f32_f16 v111, v115, v123, v111
	;;#ASMEND
	;;#ASMSTART
	v_dot2_f32_f16 v111, v116, v124, v111
	;;#ASMEND
	;;#ASMSTART
	v_dot2_f32_f16 v111, v117, v125, v111
	;;#ASMEND
	;;#ASMSTART
	v_dot2_f32_f16 v111, v118, v126, v111
	;;#ASMEND
	;; [unrolled: 13-line block ×8, first 2 shown]
	;;#ASMSTART
	v_dot2_f32_f16 v114, v135, v119, v114
	;;#ASMEND
	;;#ASMSTART
	v_dot2_f32_f16 v114, v136, v120, v114
	;;#ASMEND
	;; [unrolled: 3-line block ×32, first 2 shown]
	ds_read_b128 v[115:118], v76 offset:32
	ds_read_b128 v[119:122], v19 offset:32
	;; [unrolled: 1-line block ×10, first 2 shown]
	s_waitcnt lgkmcnt(8)
	;;#ASMSTART
	v_dot2_f32_f16 v113, v115, v119, v113
	;;#ASMEND
	;;#ASMSTART
	v_dot2_f32_f16 v113, v116, v120, v113
	;;#ASMEND
	;;#ASMSTART
	v_dot2_f32_f16 v113, v117, v121, v113
	;;#ASMEND
	;;#ASMSTART
	v_dot2_f32_f16 v113, v118, v122, v113
	;;#ASMEND
	s_waitcnt lgkmcnt(7)
	;;#ASMSTART
	v_dot2_f32_f16 v111, v115, v123, v111
	;;#ASMEND
	;;#ASMSTART
	v_dot2_f32_f16 v111, v116, v124, v111
	;;#ASMEND
	;;#ASMSTART
	v_dot2_f32_f16 v111, v117, v125, v111
	;;#ASMEND
	;;#ASMSTART
	v_dot2_f32_f16 v111, v118, v126, v111
	;;#ASMEND
	;; [unrolled: 13-line block ×8, first 2 shown]
	;;#ASMSTART
	v_dot2_f32_f16 v114, v135, v119, v114
	;;#ASMEND
	;;#ASMSTART
	v_dot2_f32_f16 v114, v136, v120, v114
	;;#ASMEND
	;; [unrolled: 3-line block ×32, first 2 shown]
	ds_read_b128 v[115:118], v76 offset:48
	ds_read_b128 v[119:122], v19 offset:48
	;; [unrolled: 1-line block ×10, first 2 shown]
	s_waitcnt lgkmcnt(8)
	;;#ASMSTART
	v_dot2_f32_f16 v113, v115, v119, v113
	;;#ASMEND
	;;#ASMSTART
	v_dot2_f32_f16 v113, v116, v120, v113
	;;#ASMEND
	;;#ASMSTART
	v_dot2_f32_f16 v113, v117, v121, v113
	;;#ASMEND
	;;#ASMSTART
	v_dot2_f32_f16 v113, v118, v122, v113
	;;#ASMEND
	s_waitcnt lgkmcnt(7)
	;;#ASMSTART
	v_dot2_f32_f16 v111, v115, v123, v111
	;;#ASMEND
	;;#ASMSTART
	v_dot2_f32_f16 v111, v116, v124, v111
	;;#ASMEND
	;;#ASMSTART
	v_dot2_f32_f16 v111, v117, v125, v111
	;;#ASMEND
	;;#ASMSTART
	v_dot2_f32_f16 v111, v118, v126, v111
	;;#ASMEND
	;; [unrolled: 13-line block ×8, first 2 shown]
	;;#ASMSTART
	v_dot2_f32_f16 v114, v135, v119, v114
	;;#ASMEND
	;;#ASMSTART
	v_dot2_f32_f16 v114, v136, v120, v114
	;;#ASMEND
	;; [unrolled: 3-line block ×32, first 2 shown]
	ds_read_b128 v[115:118], v76 offset:64
	ds_read_b128 v[119:122], v19 offset:64
	;; [unrolled: 1-line block ×10, first 2 shown]
	s_waitcnt lgkmcnt(8)
	;;#ASMSTART
	v_dot2_f32_f16 v113, v115, v119, v113
	;;#ASMEND
	;;#ASMSTART
	v_dot2_f32_f16 v113, v116, v120, v113
	;;#ASMEND
	;;#ASMSTART
	v_dot2_f32_f16 v113, v117, v121, v113
	;;#ASMEND
	;;#ASMSTART
	v_dot2_f32_f16 v113, v118, v122, v113
	;;#ASMEND
	s_waitcnt lgkmcnt(7)
	;;#ASMSTART
	v_dot2_f32_f16 v111, v115, v123, v111
	;;#ASMEND
	;;#ASMSTART
	v_dot2_f32_f16 v111, v116, v124, v111
	;;#ASMEND
	;;#ASMSTART
	v_dot2_f32_f16 v111, v117, v125, v111
	;;#ASMEND
	;;#ASMSTART
	v_dot2_f32_f16 v111, v118, v126, v111
	;;#ASMEND
	;; [unrolled: 13-line block ×8, first 2 shown]
	;;#ASMSTART
	v_dot2_f32_f16 v114, v135, v119, v114
	;;#ASMEND
	;;#ASMSTART
	v_dot2_f32_f16 v114, v136, v120, v114
	;;#ASMEND
	;; [unrolled: 3-line block ×32, first 2 shown]
	ds_read_b128 v[115:118], v76 offset:80
	ds_read_b128 v[119:122], v19 offset:80
	;; [unrolled: 1-line block ×10, first 2 shown]
	s_waitcnt lgkmcnt(8)
	;;#ASMSTART
	v_dot2_f32_f16 v113, v115, v119, v113
	;;#ASMEND
	;;#ASMSTART
	v_dot2_f32_f16 v113, v116, v120, v113
	;;#ASMEND
	;;#ASMSTART
	v_dot2_f32_f16 v113, v117, v121, v113
	;;#ASMEND
	;;#ASMSTART
	v_dot2_f32_f16 v113, v118, v122, v113
	;;#ASMEND
	s_waitcnt lgkmcnt(7)
	;;#ASMSTART
	v_dot2_f32_f16 v111, v115, v123, v111
	;;#ASMEND
	;;#ASMSTART
	v_dot2_f32_f16 v111, v116, v124, v111
	;;#ASMEND
	;;#ASMSTART
	v_dot2_f32_f16 v111, v117, v125, v111
	;;#ASMEND
	;;#ASMSTART
	v_dot2_f32_f16 v111, v118, v126, v111
	;;#ASMEND
	;; [unrolled: 13-line block ×8, first 2 shown]
	;;#ASMSTART
	v_dot2_f32_f16 v114, v135, v119, v114
	;;#ASMEND
	;;#ASMSTART
	v_dot2_f32_f16 v114, v136, v120, v114
	;;#ASMEND
	;;#ASMSTART
	v_dot2_f32_f16 v114, v137, v121, v114
	;;#ASMEND
	;;#ASMSTART
	v_dot2_f32_f16 v114, v138, v122, v114
	;;#ASMEND
	;;#ASMSTART
	v_dot2_f32_f16 v112, v135, v123, v112
	;;#ASMEND
	;;#ASMSTART
	v_dot2_f32_f16 v112, v136, v124, v112
	;;#ASMEND
	;;#ASMSTART
	v_dot2_f32_f16 v112, v137, v125, v112
	;;#ASMEND
	;;#ASMSTART
	v_dot2_f32_f16 v112, v138, v126, v112
	;;#ASMEND
	;;#ASMSTART
	v_dot2_f32_f16 v72, v135, v127, v72
	;;#ASMEND
	;;#ASMSTART
	v_dot2_f32_f16 v72, v136, v128, v72
	;;#ASMEND
	;;#ASMSTART
	v_dot2_f32_f16 v72, v137, v129, v72
	;;#ASMEND
	;;#ASMSTART
	v_dot2_f32_f16 v72, v138, v130, v72
	;;#ASMEND
	;;#ASMSTART
	v_dot2_f32_f16 v70, v135, v131, v70
	;;#ASMEND
	;;#ASMSTART
	v_dot2_f32_f16 v70, v136, v132, v70
	;;#ASMEND
	;;#ASMSTART
	v_dot2_f32_f16 v70, v137, v133, v70
	;;#ASMEND
	;;#ASMSTART
	v_dot2_f32_f16 v70, v138, v134, v70
	;;#ASMEND
	;;#ASMSTART
	v_dot2_f32_f16 v68, v135, v139, v68
	;;#ASMEND
	;;#ASMSTART
	v_dot2_f32_f16 v68, v136, v140, v68
	;;#ASMEND
	;;#ASMSTART
	v_dot2_f32_f16 v68, v137, v141, v68
	;;#ASMEND
	;;#ASMSTART
	v_dot2_f32_f16 v68, v138, v142, v68
	;;#ASMEND
	;;#ASMSTART
	v_dot2_f32_f16 v66, v135, v143, v66
	;;#ASMEND
	;;#ASMSTART
	v_dot2_f32_f16 v66, v136, v144, v66
	;;#ASMEND
	;;#ASMSTART
	v_dot2_f32_f16 v66, v137, v145, v66
	;;#ASMEND
	;;#ASMSTART
	v_dot2_f32_f16 v66, v138, v146, v66
	;;#ASMEND
	;;#ASMSTART
	v_dot2_f32_f16 v9, v135, v147, v9
	;;#ASMEND
	;;#ASMSTART
	v_dot2_f32_f16 v9, v136, v148, v9
	;;#ASMEND
	;;#ASMSTART
	v_dot2_f32_f16 v9, v137, v149, v9
	;;#ASMEND
	;;#ASMSTART
	v_dot2_f32_f16 v9, v138, v150, v9
	;;#ASMEND
	;;#ASMSTART
	v_dot2_f32_f16 v7, v135, v151, v7
	;;#ASMEND
	;;#ASMSTART
	v_dot2_f32_f16 v7, v136, v152, v7
	;;#ASMEND
	;;#ASMSTART
	v_dot2_f32_f16 v7, v137, v153, v7
	;;#ASMEND
	;;#ASMSTART
	v_dot2_f32_f16 v7, v138, v154, v7
	;;#ASMEND
	ds_read_b128 v[115:118], v76 offset:96
	ds_read_b128 v[119:122], v19 offset:96
	ds_read_b128 v[123:126], v19 offset:352
	ds_read_b128 v[127:130], v19 offset:608
	ds_read_b128 v[131:134], v19 offset:864
	ds_read_b128 v[135:138], v76 offset:4704
	ds_read_b128 v[139:142], v19 offset:1120
	ds_read_b128 v[143:146], v19 offset:1376
	ds_read_b128 v[147:150], v19 offset:1632
	ds_read_b128 v[151:154], v19 offset:1888
	s_waitcnt lgkmcnt(8)
	;;#ASMSTART
	v_dot2_f32_f16 v113, v115, v119, v113
	;;#ASMEND
	;;#ASMSTART
	v_dot2_f32_f16 v113, v116, v120, v113
	;;#ASMEND
	;;#ASMSTART
	v_dot2_f32_f16 v113, v117, v121, v113
	;;#ASMEND
	;;#ASMSTART
	v_dot2_f32_f16 v113, v118, v122, v113
	;;#ASMEND
	s_waitcnt lgkmcnt(7)
	;;#ASMSTART
	v_dot2_f32_f16 v111, v115, v123, v111
	;;#ASMEND
	;;#ASMSTART
	v_dot2_f32_f16 v111, v116, v124, v111
	;;#ASMEND
	;;#ASMSTART
	v_dot2_f32_f16 v111, v117, v125, v111
	;;#ASMEND
	;;#ASMSTART
	v_dot2_f32_f16 v111, v118, v126, v111
	;;#ASMEND
	;; [unrolled: 13-line block ×8, first 2 shown]
	;;#ASMSTART
	v_dot2_f32_f16 v114, v135, v119, v114
	;;#ASMEND
	;;#ASMSTART
	v_dot2_f32_f16 v114, v136, v120, v114
	;;#ASMEND
	;; [unrolled: 3-line block ×32, first 2 shown]
	ds_read_b128 v[115:118], v76 offset:112
	ds_read_b128 v[119:122], v19 offset:112
	;; [unrolled: 1-line block ×10, first 2 shown]
	s_waitcnt lgkmcnt(8)
	;;#ASMSTART
	v_dot2_f32_f16 v113, v115, v119, v113
	;;#ASMEND
	;;#ASMSTART
	v_dot2_f32_f16 v113, v116, v120, v113
	;;#ASMEND
	;;#ASMSTART
	v_dot2_f32_f16 v113, v117, v121, v113
	;;#ASMEND
	;;#ASMSTART
	v_dot2_f32_f16 v113, v118, v122, v113
	;;#ASMEND
	s_waitcnt lgkmcnt(7)
	;;#ASMSTART
	v_dot2_f32_f16 v111, v115, v123, v111
	;;#ASMEND
	;;#ASMSTART
	v_dot2_f32_f16 v111, v116, v124, v111
	;;#ASMEND
	;;#ASMSTART
	v_dot2_f32_f16 v111, v117, v125, v111
	;;#ASMEND
	;;#ASMSTART
	v_dot2_f32_f16 v111, v118, v126, v111
	;;#ASMEND
	;; [unrolled: 13-line block ×8, first 2 shown]
	;;#ASMSTART
	v_dot2_f32_f16 v114, v135, v119, v114
	;;#ASMEND
	;;#ASMSTART
	v_dot2_f32_f16 v114, v136, v120, v114
	;;#ASMEND
	;; [unrolled: 3-line block ×32, first 2 shown]
	s_barrier
	buffer_gl0_inv
	s_clause 0x1
	global_load_dwordx4 v[115:118], v[2:3], off offset:128
	global_load_dwordx4 v[2:5], v[4:5], off offset:128
	s_waitcnt vmcnt(1)
	ds_write_b128 v77, v[115:118]
	s_waitcnt vmcnt(0)
	ds_write_b128 v78, v[2:5]
	s_waitcnt lgkmcnt(0)
	s_barrier
	buffer_gl0_inv
	ds_read_b128 v[2:5], v76
	ds_read_b128 v[115:118], v19 offset:128
	ds_read_b128 v[119:122], v19 offset:384
	ds_read_b128 v[123:126], v19 offset:640
	ds_read_b128 v[127:130], v19 offset:896
	ds_read_b128 v[131:134], v76 offset:4608
	ds_read_b128 v[135:138], v19 offset:1152
	ds_read_b128 v[139:142], v19 offset:1408
	ds_read_b128 v[143:146], v19 offset:1664
	ds_read_b128 v[147:150], v19 offset:1920
	s_waitcnt lgkmcnt(8)
	;;#ASMSTART
	v_dot2_f32_f16 v113, v2, v115, v113
	;;#ASMEND
	;;#ASMSTART
	v_dot2_f32_f16 v113, v3, v116, v113
	;;#ASMEND
	;;#ASMSTART
	v_dot2_f32_f16 v113, v4, v117, v113
	;;#ASMEND
	;;#ASMSTART
	v_dot2_f32_f16 v113, v5, v118, v113
	;;#ASMEND
	s_waitcnt lgkmcnt(7)
	;;#ASMSTART
	v_dot2_f32_f16 v111, v2, v119, v111
	;;#ASMEND
	;;#ASMSTART
	v_dot2_f32_f16 v111, v3, v120, v111
	;;#ASMEND
	;;#ASMSTART
	v_dot2_f32_f16 v111, v4, v121, v111
	;;#ASMEND
	;;#ASMSTART
	v_dot2_f32_f16 v111, v5, v122, v111
	;;#ASMEND
	;; [unrolled: 13-line block ×8, first 2 shown]
	;;#ASMSTART
	v_dot2_f32_f16 v114, v131, v115, v114
	;;#ASMEND
	;;#ASMSTART
	v_dot2_f32_f16 v114, v132, v116, v114
	;;#ASMEND
	;; [unrolled: 3-line block ×32, first 2 shown]
	ds_read_b128 v[2:5], v76 offset:16
	ds_read_b128 v[115:118], v19 offset:144
	;; [unrolled: 1-line block ×10, first 2 shown]
	s_waitcnt lgkmcnt(8)
	;;#ASMSTART
	v_dot2_f32_f16 v113, v2, v115, v113
	;;#ASMEND
	;;#ASMSTART
	v_dot2_f32_f16 v113, v3, v116, v113
	;;#ASMEND
	;;#ASMSTART
	v_dot2_f32_f16 v113, v4, v117, v113
	;;#ASMEND
	;;#ASMSTART
	v_dot2_f32_f16 v113, v5, v118, v113
	;;#ASMEND
	s_waitcnt lgkmcnt(7)
	;;#ASMSTART
	v_dot2_f32_f16 v111, v2, v119, v111
	;;#ASMEND
	;;#ASMSTART
	v_dot2_f32_f16 v111, v3, v120, v111
	;;#ASMEND
	;;#ASMSTART
	v_dot2_f32_f16 v111, v4, v121, v111
	;;#ASMEND
	;;#ASMSTART
	v_dot2_f32_f16 v111, v5, v122, v111
	;;#ASMEND
	;; [unrolled: 13-line block ×8, first 2 shown]
	;;#ASMSTART
	v_dot2_f32_f16 v114, v131, v115, v114
	;;#ASMEND
	;;#ASMSTART
	v_dot2_f32_f16 v114, v132, v116, v114
	;;#ASMEND
	;; [unrolled: 3-line block ×32, first 2 shown]
	ds_read_b128 v[2:5], v76 offset:32
	ds_read_b128 v[115:118], v19 offset:160
	;; [unrolled: 1-line block ×10, first 2 shown]
	s_waitcnt lgkmcnt(8)
	;;#ASMSTART
	v_dot2_f32_f16 v113, v2, v115, v113
	;;#ASMEND
	;;#ASMSTART
	v_dot2_f32_f16 v113, v3, v116, v113
	;;#ASMEND
	;;#ASMSTART
	v_dot2_f32_f16 v113, v4, v117, v113
	;;#ASMEND
	;;#ASMSTART
	v_dot2_f32_f16 v113, v5, v118, v113
	;;#ASMEND
	s_waitcnt lgkmcnt(7)
	;;#ASMSTART
	v_dot2_f32_f16 v111, v2, v119, v111
	;;#ASMEND
	;;#ASMSTART
	v_dot2_f32_f16 v111, v3, v120, v111
	;;#ASMEND
	;;#ASMSTART
	v_dot2_f32_f16 v111, v4, v121, v111
	;;#ASMEND
	;;#ASMSTART
	v_dot2_f32_f16 v111, v5, v122, v111
	;;#ASMEND
	;; [unrolled: 13-line block ×8, first 2 shown]
	;;#ASMSTART
	v_dot2_f32_f16 v114, v131, v115, v114
	;;#ASMEND
	;;#ASMSTART
	v_dot2_f32_f16 v114, v132, v116, v114
	;;#ASMEND
	;; [unrolled: 3-line block ×32, first 2 shown]
	ds_read_b128 v[2:5], v76 offset:48
	ds_read_b128 v[115:118], v19 offset:176
	;; [unrolled: 1-line block ×10, first 2 shown]
	s_waitcnt lgkmcnt(8)
	;;#ASMSTART
	v_dot2_f32_f16 v113, v2, v115, v113
	;;#ASMEND
	;;#ASMSTART
	v_dot2_f32_f16 v113, v3, v116, v113
	;;#ASMEND
	;;#ASMSTART
	v_dot2_f32_f16 v113, v4, v117, v113
	;;#ASMEND
	;;#ASMSTART
	v_dot2_f32_f16 v113, v5, v118, v113
	;;#ASMEND
	s_waitcnt lgkmcnt(7)
	;;#ASMSTART
	v_dot2_f32_f16 v111, v2, v119, v111
	;;#ASMEND
	;;#ASMSTART
	v_dot2_f32_f16 v111, v3, v120, v111
	;;#ASMEND
	;;#ASMSTART
	v_dot2_f32_f16 v111, v4, v121, v111
	;;#ASMEND
	;;#ASMSTART
	v_dot2_f32_f16 v111, v5, v122, v111
	;;#ASMEND
	;; [unrolled: 13-line block ×8, first 2 shown]
	;;#ASMSTART
	v_dot2_f32_f16 v114, v131, v115, v114
	;;#ASMEND
	;;#ASMSTART
	v_dot2_f32_f16 v114, v132, v116, v114
	;;#ASMEND
	;;#ASMSTART
	v_dot2_f32_f16 v114, v133, v117, v114
	;;#ASMEND
	;;#ASMSTART
	v_dot2_f32_f16 v114, v134, v118, v114
	;;#ASMEND
	;;#ASMSTART
	v_dot2_f32_f16 v112, v131, v119, v112
	;;#ASMEND
	;;#ASMSTART
	v_dot2_f32_f16 v112, v132, v120, v112
	;;#ASMEND
	;;#ASMSTART
	v_dot2_f32_f16 v112, v133, v121, v112
	;;#ASMEND
	;;#ASMSTART
	v_dot2_f32_f16 v112, v134, v122, v112
	;;#ASMEND
	;;#ASMSTART
	v_dot2_f32_f16 v72, v131, v123, v72
	;;#ASMEND
	;;#ASMSTART
	v_dot2_f32_f16 v72, v132, v124, v72
	;;#ASMEND
	;;#ASMSTART
	v_dot2_f32_f16 v72, v133, v125, v72
	;;#ASMEND
	;;#ASMSTART
	v_dot2_f32_f16 v72, v134, v126, v72
	;;#ASMEND
	;;#ASMSTART
	v_dot2_f32_f16 v70, v131, v127, v70
	;;#ASMEND
	;;#ASMSTART
	v_dot2_f32_f16 v70, v132, v128, v70
	;;#ASMEND
	;;#ASMSTART
	v_dot2_f32_f16 v70, v133, v129, v70
	;;#ASMEND
	;;#ASMSTART
	v_dot2_f32_f16 v70, v134, v130, v70
	;;#ASMEND
	;;#ASMSTART
	v_dot2_f32_f16 v68, v131, v135, v68
	;;#ASMEND
	;;#ASMSTART
	v_dot2_f32_f16 v68, v132, v136, v68
	;;#ASMEND
	;;#ASMSTART
	v_dot2_f32_f16 v68, v133, v137, v68
	;;#ASMEND
	;;#ASMSTART
	v_dot2_f32_f16 v68, v134, v138, v68
	;;#ASMEND
	;;#ASMSTART
	v_dot2_f32_f16 v66, v131, v139, v66
	;;#ASMEND
	;;#ASMSTART
	v_dot2_f32_f16 v66, v132, v140, v66
	;;#ASMEND
	;;#ASMSTART
	v_dot2_f32_f16 v66, v133, v141, v66
	;;#ASMEND
	;;#ASMSTART
	v_dot2_f32_f16 v66, v134, v142, v66
	;;#ASMEND
	;;#ASMSTART
	v_dot2_f32_f16 v9, v131, v143, v9
	;;#ASMEND
	;;#ASMSTART
	v_dot2_f32_f16 v9, v132, v144, v9
	;;#ASMEND
	;;#ASMSTART
	v_dot2_f32_f16 v9, v133, v145, v9
	;;#ASMEND
	;;#ASMSTART
	v_dot2_f32_f16 v9, v134, v146, v9
	;;#ASMEND
	;;#ASMSTART
	v_dot2_f32_f16 v7, v131, v147, v7
	;;#ASMEND
	;;#ASMSTART
	v_dot2_f32_f16 v7, v132, v148, v7
	;;#ASMEND
	;;#ASMSTART
	v_dot2_f32_f16 v7, v133, v149, v7
	;;#ASMEND
	;;#ASMSTART
	v_dot2_f32_f16 v7, v134, v150, v7
	;;#ASMEND
	ds_read_b128 v[2:5], v76 offset:64
	ds_read_b128 v[115:118], v19 offset:192
	;; [unrolled: 1-line block ×10, first 2 shown]
	s_waitcnt lgkmcnt(8)
	;;#ASMSTART
	v_dot2_f32_f16 v113, v2, v115, v113
	;;#ASMEND
	;;#ASMSTART
	v_dot2_f32_f16 v113, v3, v116, v113
	;;#ASMEND
	;;#ASMSTART
	v_dot2_f32_f16 v113, v4, v117, v113
	;;#ASMEND
	;;#ASMSTART
	v_dot2_f32_f16 v113, v5, v118, v113
	;;#ASMEND
	s_waitcnt lgkmcnt(7)
	;;#ASMSTART
	v_dot2_f32_f16 v111, v2, v119, v111
	;;#ASMEND
	;;#ASMSTART
	v_dot2_f32_f16 v111, v3, v120, v111
	;;#ASMEND
	;;#ASMSTART
	v_dot2_f32_f16 v111, v4, v121, v111
	;;#ASMEND
	;;#ASMSTART
	v_dot2_f32_f16 v111, v5, v122, v111
	;;#ASMEND
	;; [unrolled: 13-line block ×8, first 2 shown]
	;;#ASMSTART
	v_dot2_f32_f16 v114, v131, v115, v114
	;;#ASMEND
	;;#ASMSTART
	v_dot2_f32_f16 v114, v132, v116, v114
	;;#ASMEND
	;; [unrolled: 3-line block ×32, first 2 shown]
	ds_read_b128 v[2:5], v76 offset:80
	ds_read_b128 v[115:118], v19 offset:208
	;; [unrolled: 1-line block ×10, first 2 shown]
	s_waitcnt lgkmcnt(8)
	;;#ASMSTART
	v_dot2_f32_f16 v113, v2, v115, v113
	;;#ASMEND
	;;#ASMSTART
	v_dot2_f32_f16 v113, v3, v116, v113
	;;#ASMEND
	;;#ASMSTART
	v_dot2_f32_f16 v113, v4, v117, v113
	;;#ASMEND
	;;#ASMSTART
	v_dot2_f32_f16 v113, v5, v118, v113
	;;#ASMEND
	s_waitcnt lgkmcnt(7)
	;;#ASMSTART
	v_dot2_f32_f16 v111, v2, v119, v111
	;;#ASMEND
	;;#ASMSTART
	v_dot2_f32_f16 v111, v3, v120, v111
	;;#ASMEND
	;;#ASMSTART
	v_dot2_f32_f16 v111, v4, v121, v111
	;;#ASMEND
	;;#ASMSTART
	v_dot2_f32_f16 v111, v5, v122, v111
	;;#ASMEND
	;; [unrolled: 13-line block ×8, first 2 shown]
	;;#ASMSTART
	v_dot2_f32_f16 v114, v131, v115, v114
	;;#ASMEND
	;;#ASMSTART
	v_dot2_f32_f16 v114, v132, v116, v114
	;;#ASMEND
	;; [unrolled: 3-line block ×32, first 2 shown]
	ds_read_b128 v[2:5], v76 offset:96
	ds_read_b128 v[115:118], v19 offset:224
	ds_read_b128 v[119:122], v19 offset:480
	ds_read_b128 v[123:126], v19 offset:736
	ds_read_b128 v[127:130], v19 offset:992
	ds_read_b128 v[131:134], v76 offset:4704
	ds_read_b128 v[135:138], v19 offset:1248
	ds_read_b128 v[139:142], v19 offset:1504
	ds_read_b128 v[143:146], v19 offset:1760
	ds_read_b128 v[147:150], v19 offset:2016
	s_waitcnt lgkmcnt(8)
	;;#ASMSTART
	v_dot2_f32_f16 v113, v2, v115, v113
	;;#ASMEND
	;;#ASMSTART
	v_dot2_f32_f16 v113, v3, v116, v113
	;;#ASMEND
	;;#ASMSTART
	v_dot2_f32_f16 v113, v4, v117, v113
	;;#ASMEND
	;;#ASMSTART
	v_dot2_f32_f16 v113, v5, v118, v113
	;;#ASMEND
	s_waitcnt lgkmcnt(7)
	;;#ASMSTART
	v_dot2_f32_f16 v111, v2, v119, v111
	;;#ASMEND
	;;#ASMSTART
	v_dot2_f32_f16 v111, v3, v120, v111
	;;#ASMEND
	;;#ASMSTART
	v_dot2_f32_f16 v111, v4, v121, v111
	;;#ASMEND
	;;#ASMSTART
	v_dot2_f32_f16 v111, v5, v122, v111
	;;#ASMEND
	;; [unrolled: 13-line block ×8, first 2 shown]
	;;#ASMSTART
	v_dot2_f32_f16 v114, v131, v115, v114
	;;#ASMEND
	;;#ASMSTART
	v_dot2_f32_f16 v114, v132, v116, v114
	;;#ASMEND
	;; [unrolled: 3-line block ×32, first 2 shown]
	ds_read_b128 v[2:5], v76 offset:112
	ds_read_b128 v[115:118], v19 offset:240
	;; [unrolled: 1-line block ×10, first 2 shown]
	s_waitcnt lgkmcnt(8)
	;;#ASMSTART
	v_dot2_f32_f16 v113, v2, v115, v113
	;;#ASMEND
	;;#ASMSTART
	v_dot2_f32_f16 v113, v3, v116, v113
	;;#ASMEND
	;;#ASMSTART
	v_dot2_f32_f16 v113, v4, v117, v113
	;;#ASMEND
	;;#ASMSTART
	v_dot2_f32_f16 v113, v5, v118, v113
	;;#ASMEND
	s_waitcnt lgkmcnt(7)
	;;#ASMSTART
	v_dot2_f32_f16 v111, v2, v119, v111
	;;#ASMEND
	;;#ASMSTART
	v_dot2_f32_f16 v111, v3, v120, v111
	;;#ASMEND
	;;#ASMSTART
	v_dot2_f32_f16 v111, v4, v121, v111
	;;#ASMEND
	;;#ASMSTART
	v_dot2_f32_f16 v111, v5, v122, v111
	;;#ASMEND
	s_waitcnt lgkmcnt(6)
	;;#ASMSTART
	v_dot2_f32_f16 v71, v2, v123, v71
	;;#ASMEND
	;;#ASMSTART
	v_dot2_f32_f16 v71, v3, v124, v71
	;;#ASMEND
	;;#ASMSTART
	v_dot2_f32_f16 v71, v4, v125, v71
	;;#ASMEND
	;;#ASMSTART
	v_dot2_f32_f16 v71, v5, v126, v71
	;;#ASMEND
	s_waitcnt lgkmcnt(5)
	;;#ASMSTART
	v_dot2_f32_f16 v69, v2, v127, v69
	;;#ASMEND
	;;#ASMSTART
	v_dot2_f32_f16 v69, v3, v128, v69
	;;#ASMEND
	;;#ASMSTART
	v_dot2_f32_f16 v69, v4, v129, v69
	;;#ASMEND
	;;#ASMSTART
	v_dot2_f32_f16 v69, v5, v130, v69
	;;#ASMEND
	s_waitcnt lgkmcnt(3)
	;;#ASMSTART
	v_dot2_f32_f16 v67, v2, v135, v67
	;;#ASMEND
	;;#ASMSTART
	v_dot2_f32_f16 v67, v3, v136, v67
	;;#ASMEND
	;;#ASMSTART
	v_dot2_f32_f16 v67, v4, v137, v67
	;;#ASMEND
	;;#ASMSTART
	v_dot2_f32_f16 v67, v5, v138, v67
	;;#ASMEND
	s_waitcnt lgkmcnt(2)
	;;#ASMSTART
	v_dot2_f32_f16 v65, v2, v139, v65
	;;#ASMEND
	;;#ASMSTART
	v_dot2_f32_f16 v65, v3, v140, v65
	;;#ASMEND
	;;#ASMSTART
	v_dot2_f32_f16 v65, v4, v141, v65
	;;#ASMEND
	;;#ASMSTART
	v_dot2_f32_f16 v65, v5, v142, v65
	;;#ASMEND
	s_waitcnt lgkmcnt(1)
	;;#ASMSTART
	v_dot2_f32_f16 v8, v2, v143, v8
	;;#ASMEND
	;;#ASMSTART
	v_dot2_f32_f16 v8, v3, v144, v8
	;;#ASMEND
	;;#ASMSTART
	v_dot2_f32_f16 v8, v4, v145, v8
	;;#ASMEND
	;;#ASMSTART
	v_dot2_f32_f16 v8, v5, v146, v8
	;;#ASMEND
	s_waitcnt lgkmcnt(0)
	;;#ASMSTART
	v_dot2_f32_f16 v6, v2, v147, v6
	;;#ASMEND
	;;#ASMSTART
	v_dot2_f32_f16 v6, v3, v148, v6
	;;#ASMEND
	;;#ASMSTART
	v_dot2_f32_f16 v6, v4, v149, v6
	;;#ASMEND
	;;#ASMSTART
	v_dot2_f32_f16 v6, v5, v150, v6
	;;#ASMEND
	;;#ASMSTART
	v_dot2_f32_f16 v114, v131, v115, v114
	;;#ASMEND
	;;#ASMSTART
	v_dot2_f32_f16 v114, v132, v116, v114
	;;#ASMEND
	;; [unrolled: 3-line block ×25, first 2 shown]
	v_cmp_ngt_f32_e64 s17, 0x3f200000, |v113|
	;;#ASMSTART
	v_dot2_f32_f16 v9, v132, v144, v9
	;;#ASMEND
	;;#ASMSTART
	v_dot2_f32_f16 v9, v133, v145, v9
	;;#ASMEND
	;; [unrolled: 3-line block ×7, first 2 shown]
                                        ; implicit-def: $vgpr5
	s_and_saveexec_b32 s35, s17
	s_xor_b32 s17, exec_lo, s35
	s_cbranch_execz .LBB86_10
; %bb.9:                                ;   in Loop: Header=BB86_8 Depth=1
	v_add_f32_e64 v2, |v113|, |v113|
	v_mul_f32_e32 v3, 0x3fb8aa3b, v2
	v_cmp_ngt_f32_e32 vcc_lo, 0xc2ce8ed0, v2
	v_rndne_f32_e32 v4, v3
	v_fma_f32 v5, 0x3fb8aa3b, v2, -v3
	v_sub_f32_e32 v3, v3, v4
	v_fmac_f32_e32 v5, 0x32a5705f, v2
	v_cvt_i32_f32_e32 v4, v4
	v_add_f32_e32 v3, v3, v5
	v_exp_f32_e32 v3, v3
	v_ldexp_f32 v3, v3, v4
	v_cndmask_b32_e32 v3, 0, v3, vcc_lo
	v_cmp_nlt_f32_e32 vcc_lo, 0x42b17218, v2
	v_cndmask_b32_e32 v2, 0x7f800000, v3, vcc_lo
	v_add_f32_e32 v2, 1.0, v2
	v_rcp_f32_e32 v2, v2
	v_fma_f32 v5, v2, -2.0, 1.0
.LBB86_10:                              ;   in Loop: Header=BB86_8 Depth=1
	s_andn2_saveexec_b32 s17, s17
	s_cbranch_execz .LBB86_12
; %bb.11:                               ;   in Loop: Header=BB86_8 Depth=1
	v_mul_f32_e32 v2, v113, v113
	v_fmaak_f32 v3, s16, v2, 0x3ca908c9
	v_fmaak_f32 v3, v2, v3, 0xbd5c1c4e
	;; [unrolled: 1-line block ×4, first 2 shown]
	v_mul_f32_e64 v3, |v113|, v3
	v_fma_f32 v5, v2, v3, |v113|
.LBB86_12:                              ;   in Loop: Header=BB86_8 Depth=1
	s_or_b32 exec_lo, exec_lo, s17
	v_add_nc_u32_e32 v4, s8, v0
	s_andn2_b32 vcc_lo, exec_lo, s11
	v_add_nc_u32_e32 v2, v4, v75
	v_ashrrev_i32_e32 v3, 31, v2
	s_cbranch_vccnz .LBB86_106
; %bb.13:                               ;   in Loop: Header=BB86_8 Depth=1
	v_lshlrev_b64 v[115:116], 1, v[2:3]
	v_add_co_u32 v115, vcc_lo, s46, v115
	v_add_co_ci_u32_e64 v116, null, s47, v116, vcc_lo
	global_load_ushort v115, v[115:116], off
	s_waitcnt vmcnt(0)
	v_cvt_f32_f16_e32 v115, v115
	v_mul_f32_e32 v115, v24, v115
	v_cmp_ngt_f32_e64 s17, 0x3f200000, |v114|
                                        ; implicit-def: $vgpr117
	s_and_saveexec_b32 s35, s17
	s_xor_b32 s17, exec_lo, s35
	s_cbranch_execz .LBB86_15
.LBB86_14:                              ;   in Loop: Header=BB86_8 Depth=1
	v_add_f32_e64 v116, |v114|, |v114|
	v_mul_f32_e32 v117, 0x3fb8aa3b, v116
	v_cmp_ngt_f32_e32 vcc_lo, 0xc2ce8ed0, v116
	v_rndne_f32_e32 v118, v117
	v_fma_f32 v119, 0x3fb8aa3b, v116, -v117
	v_sub_f32_e32 v117, v117, v118
	v_fmac_f32_e32 v119, 0x32a5705f, v116
	v_cvt_i32_f32_e32 v118, v118
	v_add_f32_e32 v117, v117, v119
	v_exp_f32_e32 v117, v117
	v_ldexp_f32 v117, v117, v118
	v_cndmask_b32_e32 v117, 0, v117, vcc_lo
	v_cmp_nlt_f32_e32 vcc_lo, 0x42b17218, v116
	v_cndmask_b32_e32 v116, 0x7f800000, v117, vcc_lo
	v_add_f32_e32 v116, 1.0, v116
	v_rcp_f32_e32 v116, v116
	v_fma_f32 v117, v116, -2.0, 1.0
.LBB86_15:                              ;   in Loop: Header=BB86_8 Depth=1
	s_andn2_saveexec_b32 s17, s17
	s_cbranch_execz .LBB86_18
; %bb.16:                               ;   in Loop: Header=BB86_8 Depth=1
	v_mul_f32_e32 v116, v114, v114
	v_fmaak_f32 v117, s16, v116, 0x3ca908c9
	v_fmaak_f32 v117, v116, v117, 0xbd5c1c4e
	;; [unrolled: 1-line block ×4, first 2 shown]
	v_mul_f32_e64 v117, |v114|, v117
	v_fma_f32 v117, v116, v117, |v114|
	s_or_b32 exec_lo, exec_lo, s17
	s_andn2_b32 vcc_lo, exec_lo, s11
	s_cbranch_vccz .LBB86_19
.LBB86_17:                              ;   in Loop: Header=BB86_8 Depth=1
	v_mov_b32_e32 v116, 0
	s_branch .LBB86_20
.LBB86_18:                              ;   in Loop: Header=BB86_8 Depth=1
	s_or_b32 exec_lo, exec_lo, s17
	s_andn2_b32 vcc_lo, exec_lo, s11
	s_cbranch_vccnz .LBB86_17
.LBB86_19:                              ;   in Loop: Header=BB86_8 Depth=1
	v_lshlrev_b64 v[2:3], 1, v[2:3]
	v_add_co_u32 v2, vcc_lo, s46, v2
	v_add_co_ci_u32_e64 v3, null, s47, v3, vcc_lo
	global_load_ushort v2, v[2:3], off offset:64
	s_waitcnt vmcnt(0)
	v_cvt_f32_f16_e32 v2, v2
	v_mul_f32_e32 v116, v24, v2
.LBB86_20:                              ;   in Loop: Header=BB86_8 Depth=1
	v_bfi_b32 v2, 0x7fffffff, v5, v113
	v_bfi_b32 v3, 0x7fffffff, v117, v114
	v_xor_b32_e32 v5, 16, v93
	v_cmp_ngt_f32_e64 s17, 0x3f200000, |v111|
	v_fmac_f32_e32 v115, s19, v2
	v_fmac_f32_e32 v116, s19, v3
	v_cmp_gt_i32_e32 vcc_lo, 32, v5
	v_add_f32_e32 v3, 0x40051340, v115
	v_cndmask_b32_e32 v2, v93, v5, vcc_lo
	v_add_f32_e32 v5, 0x40051340, v116
	v_lshlrev_b32_e32 v113, 2, v2
	v_max3_f32 v2, v110, v3, v5
	v_xor_b32_e32 v5, 8, v93
	ds_bpermute_b32 v3, v113, v2
	v_cmp_gt_i32_e32 vcc_lo, 32, v5
	v_cndmask_b32_e32 v5, v93, v5, vcc_lo
	v_lshlrev_b32_e32 v114, 2, v5
	v_xor_b32_e32 v5, 4, v93
	v_cmp_gt_i32_e32 vcc_lo, 32, v5
	s_waitcnt lgkmcnt(0)
	v_max_f32_e32 v3, v3, v3
	v_cndmask_b32_e32 v5, v93, v5, vcc_lo
	v_max_f32_e32 v2, v2, v3
	v_lshlrev_b32_e32 v117, 2, v5
	v_xor_b32_e32 v5, 2, v93
	ds_bpermute_b32 v3, v114, v2
	v_cmp_gt_i32_e32 vcc_lo, 32, v5
	v_cndmask_b32_e32 v5, v93, v5, vcc_lo
	v_lshlrev_b32_e32 v119, 2, v5
	v_xor_b32_e32 v5, 1, v93
	v_cmp_gt_i32_e32 vcc_lo, 32, v5
	s_waitcnt lgkmcnt(0)
	v_max_f32_e32 v3, v3, v3
	v_cndmask_b32_e32 v5, v93, v5, vcc_lo
	v_max_f32_e32 v2, v2, v3
	v_lshlrev_b32_e32 v120, 2, v5
	ds_bpermute_b32 v3, v117, v2
                                        ; implicit-def: $vgpr5
	s_waitcnt lgkmcnt(0)
	v_max_f32_e32 v3, v3, v3
	v_max_f32_e32 v2, v2, v3
	ds_bpermute_b32 v3, v119, v2
	s_waitcnt lgkmcnt(0)
	v_max_f32_e32 v3, v3, v3
	v_max_f32_e32 v122, v2, v3
	ds_bpermute_b32 v123, v120, v122
	s_and_saveexec_b32 s35, s17
	s_xor_b32 s17, exec_lo, s35
	s_cbranch_execz .LBB86_22
; %bb.21:                               ;   in Loop: Header=BB86_8 Depth=1
	v_add_f32_e64 v2, |v111|, |v111|
	v_mul_f32_e32 v3, 0x3fb8aa3b, v2
	v_cmp_ngt_f32_e32 vcc_lo, 0xc2ce8ed0, v2
	v_rndne_f32_e32 v5, v3
	v_fma_f32 v118, 0x3fb8aa3b, v2, -v3
	v_sub_f32_e32 v3, v3, v5
	v_fmac_f32_e32 v118, 0x32a5705f, v2
	v_cvt_i32_f32_e32 v5, v5
	v_add_f32_e32 v3, v3, v118
	v_exp_f32_e32 v3, v3
	v_ldexp_f32 v3, v3, v5
	v_cndmask_b32_e32 v3, 0, v3, vcc_lo
	v_cmp_nlt_f32_e32 vcc_lo, 0x42b17218, v2
	v_cndmask_b32_e32 v2, 0x7f800000, v3, vcc_lo
	v_add_f32_e32 v2, 1.0, v2
	v_rcp_f32_e32 v2, v2
	v_fma_f32 v5, v2, -2.0, 1.0
.LBB86_22:                              ;   in Loop: Header=BB86_8 Depth=1
	s_andn2_saveexec_b32 s17, s17
	s_cbranch_execz .LBB86_24
; %bb.23:                               ;   in Loop: Header=BB86_8 Depth=1
	v_mul_f32_e32 v2, v111, v111
	v_fmaak_f32 v3, s16, v2, 0x3ca908c9
	v_fmaak_f32 v3, v2, v3, 0xbd5c1c4e
	;; [unrolled: 1-line block ×4, first 2 shown]
	v_mul_f32_e64 v3, |v111|, v3
	v_fma_f32 v5, v2, v3, |v111|
.LBB86_24:                              ;   in Loop: Header=BB86_8 Depth=1
	s_or_b32 exec_lo, exec_lo, s17
	v_add_nc_u32_e32 v2, v4, v79
	s_andn2_b32 vcc_lo, exec_lo, s11
	v_ashrrev_i32_e32 v3, 31, v2
	s_cbranch_vccnz .LBB86_107
; %bb.25:                               ;   in Loop: Header=BB86_8 Depth=1
	v_lshlrev_b64 v[124:125], 1, v[2:3]
	v_add_co_u32 v124, vcc_lo, s46, v124
	v_add_co_ci_u32_e64 v125, null, s47, v125, vcc_lo
	global_load_ushort v118, v[124:125], off
	s_waitcnt vmcnt(0)
	v_cvt_f32_f16_e32 v118, v118
	v_mul_f32_e32 v118, v24, v118
	v_cmp_ngt_f32_e64 s17, 0x3f200000, |v112|
                                        ; implicit-def: $vgpr124
	s_and_saveexec_b32 s35, s17
	s_xor_b32 s17, exec_lo, s35
	s_cbranch_execz .LBB86_27
.LBB86_26:                              ;   in Loop: Header=BB86_8 Depth=1
	v_add_f32_e64 v121, |v112|, |v112|
	v_mul_f32_e32 v124, 0x3fb8aa3b, v121
	v_cmp_ngt_f32_e32 vcc_lo, 0xc2ce8ed0, v121
	v_rndne_f32_e32 v125, v124
	v_fma_f32 v126, 0x3fb8aa3b, v121, -v124
	v_sub_f32_e32 v124, v124, v125
	v_fmac_f32_e32 v126, 0x32a5705f, v121
	v_cvt_i32_f32_e32 v125, v125
	v_add_f32_e32 v124, v124, v126
	v_exp_f32_e32 v124, v124
	v_ldexp_f32 v124, v124, v125
	v_cndmask_b32_e32 v124, 0, v124, vcc_lo
	v_cmp_nlt_f32_e32 vcc_lo, 0x42b17218, v121
	v_cndmask_b32_e32 v121, 0x7f800000, v124, vcc_lo
	v_add_f32_e32 v121, 1.0, v121
	v_rcp_f32_e32 v121, v121
	v_fma_f32 v124, v121, -2.0, 1.0
.LBB86_27:                              ;   in Loop: Header=BB86_8 Depth=1
	s_andn2_saveexec_b32 s17, s17
	s_cbranch_execz .LBB86_30
; %bb.28:                               ;   in Loop: Header=BB86_8 Depth=1
	v_mul_f32_e32 v121, v112, v112
	v_fmaak_f32 v124, s16, v121, 0x3ca908c9
	v_fmaak_f32 v124, v121, v124, 0xbd5c1c4e
	;; [unrolled: 1-line block ×4, first 2 shown]
	v_mul_f32_e64 v124, |v112|, v124
	v_fma_f32 v124, v121, v124, |v112|
	s_or_b32 exec_lo, exec_lo, s17
	s_andn2_b32 vcc_lo, exec_lo, s11
	s_cbranch_vccz .LBB86_31
.LBB86_29:                              ;   in Loop: Header=BB86_8 Depth=1
	v_mov_b32_e32 v121, 0
	s_branch .LBB86_32
.LBB86_30:                              ;   in Loop: Header=BB86_8 Depth=1
	s_or_b32 exec_lo, exec_lo, s17
	s_andn2_b32 vcc_lo, exec_lo, s11
	s_cbranch_vccnz .LBB86_29
.LBB86_31:                              ;   in Loop: Header=BB86_8 Depth=1
	v_lshlrev_b64 v[2:3], 1, v[2:3]
	v_add_co_u32 v2, vcc_lo, s46, v2
	v_add_co_ci_u32_e64 v3, null, s47, v3, vcc_lo
	global_load_ushort v2, v[2:3], off offset:64
	s_waitcnt vmcnt(0)
	v_cvt_f32_f16_e32 v2, v2
	v_mul_f32_e32 v121, v24, v2
.LBB86_32:                              ;   in Loop: Header=BB86_8 Depth=1
	v_bfi_b32 v2, 0x7fffffff, v5, v111
	v_bfi_b32 v3, 0x7fffffff, v124, v112
	v_cmp_ngt_f32_e64 s17, 0x3f200000, |v71|
                                        ; implicit-def: $vgpr5
	v_fmac_f32_e32 v118, s19, v2
	v_fmac_f32_e32 v121, s19, v3
	v_add_f32_e32 v2, 0x40051340, v118
	v_add_f32_e32 v3, 0x40051340, v121
	v_max3_f32 v2, v108, v2, v3
	ds_bpermute_b32 v3, v113, v2
	s_waitcnt lgkmcnt(0)
	v_max_f32_e32 v3, v3, v3
	v_max_f32_e32 v2, v2, v3
	ds_bpermute_b32 v3, v114, v2
	s_waitcnt lgkmcnt(0)
	v_max_f32_e32 v3, v3, v3
	v_max_f32_e32 v2, v2, v3
	;; [unrolled: 4-line block ×4, first 2 shown]
	ds_bpermute_b32 v125, v120, v124
	s_and_saveexec_b32 s35, s17
	s_xor_b32 s17, exec_lo, s35
	s_cbranch_execz .LBB86_34
; %bb.33:                               ;   in Loop: Header=BB86_8 Depth=1
	v_add_f32_e64 v2, |v71|, |v71|
	v_mul_f32_e32 v3, 0x3fb8aa3b, v2
	v_cmp_ngt_f32_e32 vcc_lo, 0xc2ce8ed0, v2
	v_rndne_f32_e32 v5, v3
	v_fma_f32 v111, 0x3fb8aa3b, v2, -v3
	v_sub_f32_e32 v3, v3, v5
	v_fmac_f32_e32 v111, 0x32a5705f, v2
	v_cvt_i32_f32_e32 v5, v5
	v_add_f32_e32 v3, v3, v111
	v_exp_f32_e32 v3, v3
	v_ldexp_f32 v3, v3, v5
	v_cndmask_b32_e32 v3, 0, v3, vcc_lo
	v_cmp_nlt_f32_e32 vcc_lo, 0x42b17218, v2
	v_cndmask_b32_e32 v2, 0x7f800000, v3, vcc_lo
	v_add_f32_e32 v2, 1.0, v2
	v_rcp_f32_e32 v2, v2
	v_fma_f32 v5, v2, -2.0, 1.0
.LBB86_34:                              ;   in Loop: Header=BB86_8 Depth=1
	s_andn2_saveexec_b32 s17, s17
	s_cbranch_execz .LBB86_36
; %bb.35:                               ;   in Loop: Header=BB86_8 Depth=1
	v_mul_f32_e32 v2, v71, v71
	v_fmaak_f32 v3, s16, v2, 0x3ca908c9
	v_fmaak_f32 v3, v2, v3, 0xbd5c1c4e
	;; [unrolled: 1-line block ×4, first 2 shown]
	v_mul_f32_e64 v3, |v71|, v3
	v_fma_f32 v5, v2, v3, |v71|
.LBB86_36:                              ;   in Loop: Header=BB86_8 Depth=1
	s_or_b32 exec_lo, exec_lo, s17
	v_add_nc_u32_e32 v2, v4, v80
	s_andn2_b32 vcc_lo, exec_lo, s11
	v_ashrrev_i32_e32 v3, 31, v2
	s_cbranch_vccnz .LBB86_108
; %bb.37:                               ;   in Loop: Header=BB86_8 Depth=1
	v_lshlrev_b64 v[111:112], 1, v[2:3]
	v_add_co_u32 v111, vcc_lo, s46, v111
	v_add_co_ci_u32_e64 v112, null, s47, v112, vcc_lo
	global_load_ushort v111, v[111:112], off
	s_waitcnt vmcnt(0)
	v_cvt_f32_f16_e32 v111, v111
	v_mul_f32_e32 v111, v24, v111
	v_cmp_ngt_f32_e64 s17, 0x3f200000, |v72|
                                        ; implicit-def: $vgpr126
	s_and_saveexec_b32 s35, s17
	s_xor_b32 s17, exec_lo, s35
	s_cbranch_execz .LBB86_39
.LBB86_38:                              ;   in Loop: Header=BB86_8 Depth=1
	v_add_f32_e64 v112, |v72|, |v72|
	v_mul_f32_e32 v126, 0x3fb8aa3b, v112
	v_cmp_ngt_f32_e32 vcc_lo, 0xc2ce8ed0, v112
	v_rndne_f32_e32 v127, v126
	v_fma_f32 v128, 0x3fb8aa3b, v112, -v126
	v_sub_f32_e32 v126, v126, v127
	v_fmac_f32_e32 v128, 0x32a5705f, v112
	v_cvt_i32_f32_e32 v127, v127
	v_add_f32_e32 v126, v126, v128
	v_exp_f32_e32 v126, v126
	v_ldexp_f32 v126, v126, v127
	v_cndmask_b32_e32 v126, 0, v126, vcc_lo
	v_cmp_nlt_f32_e32 vcc_lo, 0x42b17218, v112
	v_cndmask_b32_e32 v112, 0x7f800000, v126, vcc_lo
	v_add_f32_e32 v112, 1.0, v112
	v_rcp_f32_e32 v112, v112
	v_fma_f32 v126, v112, -2.0, 1.0
.LBB86_39:                              ;   in Loop: Header=BB86_8 Depth=1
	s_andn2_saveexec_b32 s17, s17
	s_cbranch_execz .LBB86_42
; %bb.40:                               ;   in Loop: Header=BB86_8 Depth=1
	v_mul_f32_e32 v112, v72, v72
	v_fmaak_f32 v126, s16, v112, 0x3ca908c9
	v_fmaak_f32 v126, v112, v126, 0xbd5c1c4e
	;; [unrolled: 1-line block ×4, first 2 shown]
	v_mul_f32_e64 v126, |v72|, v126
	v_fma_f32 v126, v112, v126, |v72|
	s_or_b32 exec_lo, exec_lo, s17
	s_andn2_b32 vcc_lo, exec_lo, s11
	s_cbranch_vccz .LBB86_43
.LBB86_41:                              ;   in Loop: Header=BB86_8 Depth=1
	v_mov_b32_e32 v112, 0
	s_branch .LBB86_44
.LBB86_42:                              ;   in Loop: Header=BB86_8 Depth=1
	s_or_b32 exec_lo, exec_lo, s17
	s_andn2_b32 vcc_lo, exec_lo, s11
	s_cbranch_vccnz .LBB86_41
.LBB86_43:                              ;   in Loop: Header=BB86_8 Depth=1
	v_lshlrev_b64 v[2:3], 1, v[2:3]
	v_add_co_u32 v2, vcc_lo, s46, v2
	v_add_co_ci_u32_e64 v3, null, s47, v3, vcc_lo
	global_load_ushort v2, v[2:3], off offset:64
	s_waitcnt vmcnt(0)
	v_cvt_f32_f16_e32 v2, v2
	v_mul_f32_e32 v112, v24, v2
.LBB86_44:                              ;   in Loop: Header=BB86_8 Depth=1
	v_bfi_b32 v2, 0x7fffffff, v5, v71
	v_bfi_b32 v3, 0x7fffffff, v126, v72
	v_cmp_ngt_f32_e64 s17, 0x3f200000, |v69|
                                        ; implicit-def: $vgpr5
	v_fmac_f32_e32 v111, s19, v2
	v_fmac_f32_e32 v112, s19, v3
	v_add_f32_e32 v2, 0x40051340, v111
	v_add_f32_e32 v3, 0x40051340, v112
	v_max3_f32 v2, v106, v2, v3
	ds_bpermute_b32 v3, v113, v2
	s_waitcnt lgkmcnt(0)
	v_max_f32_e32 v3, v3, v3
	v_max_f32_e32 v2, v2, v3
	ds_bpermute_b32 v3, v114, v2
	s_waitcnt lgkmcnt(0)
	v_max_f32_e32 v3, v3, v3
	v_max_f32_e32 v2, v2, v3
	ds_bpermute_b32 v3, v117, v2
	s_waitcnt lgkmcnt(0)
	v_max_f32_e32 v3, v3, v3
	v_max_f32_e32 v2, v2, v3
	ds_bpermute_b32 v3, v119, v2
	s_waitcnt lgkmcnt(0)
	v_max_f32_e32 v3, v3, v3
	v_max_f32_e32 v71, v2, v3
	ds_bpermute_b32 v72, v120, v71
	s_and_saveexec_b32 s35, s17
	s_xor_b32 s17, exec_lo, s35
	s_cbranch_execz .LBB86_46
; %bb.45:                               ;   in Loop: Header=BB86_8 Depth=1
	v_add_f32_e64 v2, |v69|, |v69|
	v_mul_f32_e32 v3, 0x3fb8aa3b, v2
	v_cmp_ngt_f32_e32 vcc_lo, 0xc2ce8ed0, v2
	v_rndne_f32_e32 v5, v3
	v_fma_f32 v126, 0x3fb8aa3b, v2, -v3
	v_sub_f32_e32 v3, v3, v5
	v_fmac_f32_e32 v126, 0x32a5705f, v2
	v_cvt_i32_f32_e32 v5, v5
	v_add_f32_e32 v3, v3, v126
	v_exp_f32_e32 v3, v3
	v_ldexp_f32 v3, v3, v5
	v_cndmask_b32_e32 v3, 0, v3, vcc_lo
	v_cmp_nlt_f32_e32 vcc_lo, 0x42b17218, v2
	v_cndmask_b32_e32 v2, 0x7f800000, v3, vcc_lo
	v_add_f32_e32 v2, 1.0, v2
	v_rcp_f32_e32 v2, v2
	v_fma_f32 v5, v2, -2.0, 1.0
.LBB86_46:                              ;   in Loop: Header=BB86_8 Depth=1
	s_andn2_saveexec_b32 s17, s17
	s_cbranch_execz .LBB86_48
; %bb.47:                               ;   in Loop: Header=BB86_8 Depth=1
	v_mul_f32_e32 v2, v69, v69
	v_fmaak_f32 v3, s16, v2, 0x3ca908c9
	v_fmaak_f32 v3, v2, v3, 0xbd5c1c4e
	;; [unrolled: 1-line block ×4, first 2 shown]
	v_mul_f32_e64 v3, |v69|, v3
	v_fma_f32 v5, v2, v3, |v69|
.LBB86_48:                              ;   in Loop: Header=BB86_8 Depth=1
	s_or_b32 exec_lo, exec_lo, s17
	v_add_nc_u32_e32 v2, v4, v81
	s_andn2_b32 vcc_lo, exec_lo, s11
	v_ashrrev_i32_e32 v3, 31, v2
	s_cbranch_vccnz .LBB86_109
; %bb.49:                               ;   in Loop: Header=BB86_8 Depth=1
	v_lshlrev_b64 v[126:127], 1, v[2:3]
	v_add_co_u32 v126, vcc_lo, s46, v126
	v_add_co_ci_u32_e64 v127, null, s47, v127, vcc_lo
	global_load_ushort v126, v[126:127], off
	s_waitcnt vmcnt(0)
	v_cvt_f32_f16_e32 v126, v126
	v_mul_f32_e32 v126, v24, v126
	v_cmp_ngt_f32_e64 s17, 0x3f200000, |v70|
                                        ; implicit-def: $vgpr128
	s_and_saveexec_b32 s35, s17
	s_xor_b32 s17, exec_lo, s35
	s_cbranch_execz .LBB86_51
.LBB86_50:                              ;   in Loop: Header=BB86_8 Depth=1
	v_add_f32_e64 v127, |v70|, |v70|
	v_mul_f32_e32 v128, 0x3fb8aa3b, v127
	v_cmp_ngt_f32_e32 vcc_lo, 0xc2ce8ed0, v127
	v_rndne_f32_e32 v129, v128
	v_fma_f32 v130, 0x3fb8aa3b, v127, -v128
	v_sub_f32_e32 v128, v128, v129
	v_fmac_f32_e32 v130, 0x32a5705f, v127
	v_cvt_i32_f32_e32 v129, v129
	v_add_f32_e32 v128, v128, v130
	v_exp_f32_e32 v128, v128
	v_ldexp_f32 v128, v128, v129
	v_cndmask_b32_e32 v128, 0, v128, vcc_lo
	v_cmp_nlt_f32_e32 vcc_lo, 0x42b17218, v127
	v_cndmask_b32_e32 v127, 0x7f800000, v128, vcc_lo
	v_add_f32_e32 v127, 1.0, v127
	v_rcp_f32_e32 v127, v127
	v_fma_f32 v128, v127, -2.0, 1.0
.LBB86_51:                              ;   in Loop: Header=BB86_8 Depth=1
	s_andn2_saveexec_b32 s17, s17
	s_cbranch_execz .LBB86_54
; %bb.52:                               ;   in Loop: Header=BB86_8 Depth=1
	v_mul_f32_e32 v127, v70, v70
	v_fmaak_f32 v128, s16, v127, 0x3ca908c9
	v_fmaak_f32 v128, v127, v128, 0xbd5c1c4e
	;; [unrolled: 1-line block ×4, first 2 shown]
	v_mul_f32_e64 v128, |v70|, v128
	v_fma_f32 v128, v127, v128, |v70|
	s_or_b32 exec_lo, exec_lo, s17
	s_andn2_b32 vcc_lo, exec_lo, s11
	s_cbranch_vccz .LBB86_55
.LBB86_53:                              ;   in Loop: Header=BB86_8 Depth=1
	v_mov_b32_e32 v127, 0
	s_branch .LBB86_56
.LBB86_54:                              ;   in Loop: Header=BB86_8 Depth=1
	s_or_b32 exec_lo, exec_lo, s17
	s_andn2_b32 vcc_lo, exec_lo, s11
	s_cbranch_vccnz .LBB86_53
.LBB86_55:                              ;   in Loop: Header=BB86_8 Depth=1
	v_lshlrev_b64 v[2:3], 1, v[2:3]
	v_add_co_u32 v2, vcc_lo, s46, v2
	v_add_co_ci_u32_e64 v3, null, s47, v3, vcc_lo
	global_load_ushort v2, v[2:3], off offset:64
	s_waitcnt vmcnt(0)
	v_cvt_f32_f16_e32 v2, v2
	v_mul_f32_e32 v127, v24, v2
.LBB86_56:                              ;   in Loop: Header=BB86_8 Depth=1
	v_bfi_b32 v2, 0x7fffffff, v5, v69
	v_bfi_b32 v3, 0x7fffffff, v128, v70
	v_cmp_ngt_f32_e64 s17, 0x3f200000, |v67|
                                        ; implicit-def: $vgpr70
	v_fmac_f32_e32 v126, s19, v2
	v_fmac_f32_e32 v127, s19, v3
	v_add_f32_e32 v2, 0x40051340, v126
	v_add_f32_e32 v3, 0x40051340, v127
	v_max3_f32 v2, v104, v2, v3
	ds_bpermute_b32 v3, v113, v2
	s_waitcnt lgkmcnt(0)
	v_max_f32_e32 v3, v3, v3
	v_max_f32_e32 v2, v2, v3
	ds_bpermute_b32 v3, v114, v2
	s_waitcnt lgkmcnt(0)
	v_max_f32_e32 v3, v3, v3
	v_max_f32_e32 v2, v2, v3
	;; [unrolled: 4-line block ×4, first 2 shown]
	ds_bpermute_b32 v69, v120, v5
	s_and_saveexec_b32 s35, s17
	s_xor_b32 s17, exec_lo, s35
	s_cbranch_execz .LBB86_58
; %bb.57:                               ;   in Loop: Header=BB86_8 Depth=1
	v_add_f32_e64 v2, |v67|, |v67|
	v_mul_f32_e32 v3, 0x3fb8aa3b, v2
	v_cmp_ngt_f32_e32 vcc_lo, 0xc2ce8ed0, v2
	v_rndne_f32_e32 v70, v3
	v_fma_f32 v128, 0x3fb8aa3b, v2, -v3
	v_sub_f32_e32 v3, v3, v70
	v_fmac_f32_e32 v128, 0x32a5705f, v2
	v_cvt_i32_f32_e32 v70, v70
	v_add_f32_e32 v3, v3, v128
	v_exp_f32_e32 v3, v3
	v_ldexp_f32 v3, v3, v70
	v_cndmask_b32_e32 v3, 0, v3, vcc_lo
	v_cmp_nlt_f32_e32 vcc_lo, 0x42b17218, v2
	v_cndmask_b32_e32 v2, 0x7f800000, v3, vcc_lo
	v_add_f32_e32 v2, 1.0, v2
	v_rcp_f32_e32 v2, v2
	v_fma_f32 v70, v2, -2.0, 1.0
.LBB86_58:                              ;   in Loop: Header=BB86_8 Depth=1
	s_andn2_saveexec_b32 s17, s17
	s_cbranch_execz .LBB86_60
; %bb.59:                               ;   in Loop: Header=BB86_8 Depth=1
	v_mul_f32_e32 v2, v67, v67
	v_fmaak_f32 v3, s16, v2, 0x3ca908c9
	v_fmaak_f32 v3, v2, v3, 0xbd5c1c4e
	;; [unrolled: 1-line block ×4, first 2 shown]
	v_mul_f32_e64 v3, |v67|, v3
	v_fma_f32 v70, v2, v3, |v67|
.LBB86_60:                              ;   in Loop: Header=BB86_8 Depth=1
	s_or_b32 exec_lo, exec_lo, s17
	v_add_nc_u32_e32 v2, v4, v82
	s_andn2_b32 vcc_lo, exec_lo, s11
	v_ashrrev_i32_e32 v3, 31, v2
	s_cbranch_vccnz .LBB86_110
; %bb.61:                               ;   in Loop: Header=BB86_8 Depth=1
	v_lshlrev_b64 v[128:129], 1, v[2:3]
	v_add_co_u32 v128, vcc_lo, s46, v128
	v_add_co_ci_u32_e64 v129, null, s47, v129, vcc_lo
	global_load_ushort v128, v[128:129], off
	s_waitcnt vmcnt(0)
	v_cvt_f32_f16_e32 v128, v128
	v_mul_f32_e32 v128, v24, v128
	v_cmp_ngt_f32_e64 s17, 0x3f200000, |v68|
                                        ; implicit-def: $vgpr130
	s_and_saveexec_b32 s35, s17
	s_xor_b32 s17, exec_lo, s35
	s_cbranch_execz .LBB86_63
.LBB86_62:                              ;   in Loop: Header=BB86_8 Depth=1
	v_add_f32_e64 v129, |v68|, |v68|
	v_mul_f32_e32 v130, 0x3fb8aa3b, v129
	v_cmp_ngt_f32_e32 vcc_lo, 0xc2ce8ed0, v129
	v_rndne_f32_e32 v131, v130
	v_fma_f32 v132, 0x3fb8aa3b, v129, -v130
	v_sub_f32_e32 v130, v130, v131
	v_fmac_f32_e32 v132, 0x32a5705f, v129
	v_cvt_i32_f32_e32 v131, v131
	v_add_f32_e32 v130, v130, v132
	v_exp_f32_e32 v130, v130
	v_ldexp_f32 v130, v130, v131
	v_cndmask_b32_e32 v130, 0, v130, vcc_lo
	v_cmp_nlt_f32_e32 vcc_lo, 0x42b17218, v129
	v_cndmask_b32_e32 v129, 0x7f800000, v130, vcc_lo
	v_add_f32_e32 v129, 1.0, v129
	v_rcp_f32_e32 v129, v129
	v_fma_f32 v130, v129, -2.0, 1.0
.LBB86_63:                              ;   in Loop: Header=BB86_8 Depth=1
	s_andn2_saveexec_b32 s17, s17
	s_cbranch_execz .LBB86_66
; %bb.64:                               ;   in Loop: Header=BB86_8 Depth=1
	v_mul_f32_e32 v129, v68, v68
	v_fmaak_f32 v130, s16, v129, 0x3ca908c9
	v_fmaak_f32 v130, v129, v130, 0xbd5c1c4e
	;; [unrolled: 1-line block ×4, first 2 shown]
	v_mul_f32_e64 v130, |v68|, v130
	v_fma_f32 v130, v129, v130, |v68|
	s_or_b32 exec_lo, exec_lo, s17
	s_andn2_b32 vcc_lo, exec_lo, s11
	s_cbranch_vccz .LBB86_67
.LBB86_65:                              ;   in Loop: Header=BB86_8 Depth=1
	v_mov_b32_e32 v129, 0
	s_branch .LBB86_68
.LBB86_66:                              ;   in Loop: Header=BB86_8 Depth=1
	s_or_b32 exec_lo, exec_lo, s17
	s_andn2_b32 vcc_lo, exec_lo, s11
	s_cbranch_vccnz .LBB86_65
.LBB86_67:                              ;   in Loop: Header=BB86_8 Depth=1
	v_lshlrev_b64 v[2:3], 1, v[2:3]
	v_add_co_u32 v2, vcc_lo, s46, v2
	v_add_co_ci_u32_e64 v3, null, s47, v3, vcc_lo
	global_load_ushort v2, v[2:3], off offset:64
	s_waitcnt vmcnt(0)
	v_cvt_f32_f16_e32 v2, v2
	v_mul_f32_e32 v129, v24, v2
.LBB86_68:                              ;   in Loop: Header=BB86_8 Depth=1
	v_bfi_b32 v2, 0x7fffffff, v70, v67
	v_bfi_b32 v3, 0x7fffffff, v130, v68
	v_cmp_ngt_f32_e64 s17, 0x3f200000, |v65|
                                        ; implicit-def: $vgpr131
	v_fmac_f32_e32 v128, s19, v2
	v_fmac_f32_e32 v129, s19, v3
	v_add_f32_e32 v2, 0x40051340, v128
	v_add_f32_e32 v3, 0x40051340, v129
	v_max3_f32 v2, v102, v2, v3
	ds_bpermute_b32 v3, v113, v2
	s_waitcnt lgkmcnt(0)
	v_max_f32_e32 v3, v3, v3
	v_max_f32_e32 v2, v2, v3
	ds_bpermute_b32 v3, v114, v2
	s_waitcnt lgkmcnt(0)
	v_max_f32_e32 v3, v3, v3
	v_max_f32_e32 v2, v2, v3
	;; [unrolled: 4-line block ×4, first 2 shown]
	ds_bpermute_b32 v70, v120, v68
	s_and_saveexec_b32 s35, s17
	s_xor_b32 s17, exec_lo, s35
	s_cbranch_execz .LBB86_70
; %bb.69:                               ;   in Loop: Header=BB86_8 Depth=1
	v_add_f32_e64 v2, |v65|, |v65|
	v_mul_f32_e32 v3, 0x3fb8aa3b, v2
	v_cmp_ngt_f32_e32 vcc_lo, 0xc2ce8ed0, v2
	v_rndne_f32_e32 v67, v3
	v_fma_f32 v130, 0x3fb8aa3b, v2, -v3
	v_sub_f32_e32 v3, v3, v67
	v_fmac_f32_e32 v130, 0x32a5705f, v2
	v_cvt_i32_f32_e32 v67, v67
	v_add_f32_e32 v3, v3, v130
	v_exp_f32_e32 v3, v3
	v_ldexp_f32 v3, v3, v67
	v_cndmask_b32_e32 v3, 0, v3, vcc_lo
	v_cmp_nlt_f32_e32 vcc_lo, 0x42b17218, v2
	v_cndmask_b32_e32 v2, 0x7f800000, v3, vcc_lo
	v_add_f32_e32 v2, 1.0, v2
	v_rcp_f32_e32 v2, v2
	v_fma_f32 v131, v2, -2.0, 1.0
.LBB86_70:                              ;   in Loop: Header=BB86_8 Depth=1
	s_andn2_saveexec_b32 s17, s17
	s_cbranch_execz .LBB86_72
; %bb.71:                               ;   in Loop: Header=BB86_8 Depth=1
	v_mul_f32_e32 v2, v65, v65
	v_fmaak_f32 v3, s16, v2, 0x3ca908c9
	v_fmaak_f32 v3, v2, v3, 0xbd5c1c4e
	;; [unrolled: 1-line block ×4, first 2 shown]
	v_mul_f32_e64 v3, |v65|, v3
	v_fma_f32 v131, v2, v3, |v65|
.LBB86_72:                              ;   in Loop: Header=BB86_8 Depth=1
	s_or_b32 exec_lo, exec_lo, s17
	v_add_nc_u32_e32 v2, v4, v83
	s_andn2_b32 vcc_lo, exec_lo, s11
	v_ashrrev_i32_e32 v3, 31, v2
	s_cbranch_vccnz .LBB86_111
; %bb.73:                               ;   in Loop: Header=BB86_8 Depth=1
	v_lshlrev_b64 v[132:133], 1, v[2:3]
	v_add_co_u32 v132, vcc_lo, s46, v132
	v_add_co_ci_u32_e64 v133, null, s47, v133, vcc_lo
	global_load_ushort v67, v[132:133], off
	s_waitcnt vmcnt(0)
	v_cvt_f32_f16_e32 v67, v67
	v_mul_f32_e32 v67, v24, v67
	v_cmp_ngt_f32_e64 s17, 0x3f200000, |v66|
                                        ; implicit-def: $vgpr132
	s_and_saveexec_b32 s35, s17
	s_xor_b32 s17, exec_lo, s35
	s_cbranch_execz .LBB86_75
.LBB86_74:                              ;   in Loop: Header=BB86_8 Depth=1
	v_add_f32_e64 v130, |v66|, |v66|
	v_mul_f32_e32 v132, 0x3fb8aa3b, v130
	v_cmp_ngt_f32_e32 vcc_lo, 0xc2ce8ed0, v130
	v_rndne_f32_e32 v133, v132
	v_fma_f32 v134, 0x3fb8aa3b, v130, -v132
	v_sub_f32_e32 v132, v132, v133
	v_fmac_f32_e32 v134, 0x32a5705f, v130
	v_cvt_i32_f32_e32 v133, v133
	v_add_f32_e32 v132, v132, v134
	v_exp_f32_e32 v132, v132
	v_ldexp_f32 v132, v132, v133
	v_cndmask_b32_e32 v132, 0, v132, vcc_lo
	v_cmp_nlt_f32_e32 vcc_lo, 0x42b17218, v130
	v_cndmask_b32_e32 v130, 0x7f800000, v132, vcc_lo
	v_add_f32_e32 v130, 1.0, v130
	v_rcp_f32_e32 v130, v130
	v_fma_f32 v132, v130, -2.0, 1.0
.LBB86_75:                              ;   in Loop: Header=BB86_8 Depth=1
	s_andn2_saveexec_b32 s17, s17
	s_cbranch_execz .LBB86_78
; %bb.76:                               ;   in Loop: Header=BB86_8 Depth=1
	v_mul_f32_e32 v130, v66, v66
	v_fmaak_f32 v132, s16, v130, 0x3ca908c9
	v_fmaak_f32 v132, v130, v132, 0xbd5c1c4e
	;; [unrolled: 1-line block ×4, first 2 shown]
	v_mul_f32_e64 v132, |v66|, v132
	v_fma_f32 v132, v130, v132, |v66|
	s_or_b32 exec_lo, exec_lo, s17
	s_andn2_b32 vcc_lo, exec_lo, s11
	s_cbranch_vccz .LBB86_79
.LBB86_77:                              ;   in Loop: Header=BB86_8 Depth=1
	v_mov_b32_e32 v130, 0
	s_branch .LBB86_80
.LBB86_78:                              ;   in Loop: Header=BB86_8 Depth=1
	s_or_b32 exec_lo, exec_lo, s17
	s_andn2_b32 vcc_lo, exec_lo, s11
	s_cbranch_vccnz .LBB86_77
.LBB86_79:                              ;   in Loop: Header=BB86_8 Depth=1
	v_lshlrev_b64 v[2:3], 1, v[2:3]
	v_add_co_u32 v2, vcc_lo, s46, v2
	v_add_co_ci_u32_e64 v3, null, s47, v3, vcc_lo
	global_load_ushort v2, v[2:3], off offset:64
	s_waitcnt vmcnt(0)
	v_cvt_f32_f16_e32 v2, v2
	v_mul_f32_e32 v130, v24, v2
.LBB86_80:                              ;   in Loop: Header=BB86_8 Depth=1
	v_bfi_b32 v2, 0x7fffffff, v131, v65
	v_bfi_b32 v3, 0x7fffffff, v132, v66
	v_cmp_ngt_f32_e64 s17, 0x3f200000, |v8|
                                        ; implicit-def: $vgpr131
	v_fmac_f32_e32 v67, s19, v2
	v_fmac_f32_e32 v130, s19, v3
	v_add_f32_e32 v2, 0x40051340, v67
	v_add_f32_e32 v3, 0x40051340, v130
	v_max3_f32 v2, v100, v2, v3
	ds_bpermute_b32 v3, v113, v2
	s_waitcnt lgkmcnt(0)
	v_max_f32_e32 v3, v3, v3
	v_max_f32_e32 v2, v2, v3
	ds_bpermute_b32 v3, v114, v2
	s_waitcnt lgkmcnt(0)
	v_max_f32_e32 v3, v3, v3
	v_max_f32_e32 v2, v2, v3
	;; [unrolled: 4-line block ×4, first 2 shown]
	ds_bpermute_b32 v134, v120, v133
	s_and_saveexec_b32 s35, s17
	s_xor_b32 s17, exec_lo, s35
	s_cbranch_execz .LBB86_82
; %bb.81:                               ;   in Loop: Header=BB86_8 Depth=1
	v_add_f32_e64 v2, |v8|, |v8|
	v_mul_f32_e32 v3, 0x3fb8aa3b, v2
	v_cmp_ngt_f32_e32 vcc_lo, 0xc2ce8ed0, v2
	v_rndne_f32_e32 v65, v3
	v_fma_f32 v66, 0x3fb8aa3b, v2, -v3
	v_sub_f32_e32 v3, v3, v65
	v_fmac_f32_e32 v66, 0x32a5705f, v2
	v_cvt_i32_f32_e32 v65, v65
	v_add_f32_e32 v3, v3, v66
	v_exp_f32_e32 v3, v3
	v_ldexp_f32 v3, v3, v65
	v_cndmask_b32_e32 v3, 0, v3, vcc_lo
	v_cmp_nlt_f32_e32 vcc_lo, 0x42b17218, v2
	v_cndmask_b32_e32 v2, 0x7f800000, v3, vcc_lo
	v_add_f32_e32 v2, 1.0, v2
	v_rcp_f32_e32 v2, v2
	v_fma_f32 v131, v2, -2.0, 1.0
.LBB86_82:                              ;   in Loop: Header=BB86_8 Depth=1
	s_andn2_saveexec_b32 s17, s17
	s_cbranch_execz .LBB86_84
; %bb.83:                               ;   in Loop: Header=BB86_8 Depth=1
	v_mul_f32_e32 v2, v8, v8
	v_fmaak_f32 v3, s16, v2, 0x3ca908c9
	v_fmaak_f32 v3, v2, v3, 0xbd5c1c4e
	;; [unrolled: 1-line block ×4, first 2 shown]
	v_mul_f32_e64 v3, |v8|, v3
	v_fma_f32 v131, v2, v3, |v8|
.LBB86_84:                              ;   in Loop: Header=BB86_8 Depth=1
	s_or_b32 exec_lo, exec_lo, s17
	v_add_nc_u32_e32 v2, v4, v84
	s_andn2_b32 vcc_lo, exec_lo, s11
	v_ashrrev_i32_e32 v3, 31, v2
	s_cbranch_vccnz .LBB86_112
; %bb.85:                               ;   in Loop: Header=BB86_8 Depth=1
	v_lshlrev_b64 v[65:66], 1, v[2:3]
	v_add_co_u32 v65, vcc_lo, s46, v65
	v_add_co_ci_u32_e64 v66, null, s47, v66, vcc_lo
	global_load_ushort v65, v[65:66], off
	s_waitcnt vmcnt(0)
	v_cvt_f32_f16_e32 v65, v65
	v_mul_f32_e32 v65, v24, v65
	v_cmp_ngt_f32_e64 s17, 0x3f200000, |v9|
                                        ; implicit-def: $vgpr132
	s_and_saveexec_b32 s35, s17
	s_xor_b32 s17, exec_lo, s35
	s_cbranch_execz .LBB86_87
.LBB86_86:                              ;   in Loop: Header=BB86_8 Depth=1
	v_add_f32_e64 v66, |v9|, |v9|
	v_mul_f32_e32 v132, 0x3fb8aa3b, v66
	v_cmp_ngt_f32_e32 vcc_lo, 0xc2ce8ed0, v66
	v_rndne_f32_e32 v135, v132
	v_fma_f32 v136, 0x3fb8aa3b, v66, -v132
	v_sub_f32_e32 v132, v132, v135
	v_fmac_f32_e32 v136, 0x32a5705f, v66
	v_cvt_i32_f32_e32 v135, v135
	v_add_f32_e32 v132, v132, v136
	v_exp_f32_e32 v132, v132
	v_ldexp_f32 v132, v132, v135
	v_cndmask_b32_e32 v132, 0, v132, vcc_lo
	v_cmp_nlt_f32_e32 vcc_lo, 0x42b17218, v66
	v_cndmask_b32_e32 v66, 0x7f800000, v132, vcc_lo
	v_add_f32_e32 v66, 1.0, v66
	v_rcp_f32_e32 v66, v66
	v_fma_f32 v132, v66, -2.0, 1.0
.LBB86_87:                              ;   in Loop: Header=BB86_8 Depth=1
	s_andn2_saveexec_b32 s17, s17
	s_cbranch_execz .LBB86_90
; %bb.88:                               ;   in Loop: Header=BB86_8 Depth=1
	v_mul_f32_e32 v66, v9, v9
	v_fmaak_f32 v132, s16, v66, 0x3ca908c9
	v_fmaak_f32 v132, v66, v132, 0xbd5c1c4e
	;; [unrolled: 1-line block ×4, first 2 shown]
	v_mul_f32_e64 v132, |v9|, v132
	v_fma_f32 v132, v66, v132, |v9|
	s_or_b32 exec_lo, exec_lo, s17
	s_andn2_b32 vcc_lo, exec_lo, s11
	s_cbranch_vccz .LBB86_91
.LBB86_89:                              ;   in Loop: Header=BB86_8 Depth=1
	v_mov_b32_e32 v66, 0
	s_branch .LBB86_92
.LBB86_90:                              ;   in Loop: Header=BB86_8 Depth=1
	s_or_b32 exec_lo, exec_lo, s17
	s_andn2_b32 vcc_lo, exec_lo, s11
	s_cbranch_vccnz .LBB86_89
.LBB86_91:                              ;   in Loop: Header=BB86_8 Depth=1
	v_lshlrev_b64 v[2:3], 1, v[2:3]
	v_add_co_u32 v2, vcc_lo, s46, v2
	v_add_co_ci_u32_e64 v3, null, s47, v3, vcc_lo
	global_load_ushort v2, v[2:3], off offset:64
	s_waitcnt vmcnt(0)
	v_cvt_f32_f16_e32 v2, v2
	v_mul_f32_e32 v66, v24, v2
.LBB86_92:                              ;   in Loop: Header=BB86_8 Depth=1
	v_bfi_b32 v2, 0x7fffffff, v131, v8
	v_bfi_b32 v3, 0x7fffffff, v132, v9
	v_cmp_ngt_f32_e64 s17, 0x3f200000, |v6|
                                        ; implicit-def: $vgpr135
	v_fmac_f32_e32 v65, s19, v2
	v_fmac_f32_e32 v66, s19, v3
	v_add_f32_e32 v2, 0x40051340, v65
	v_add_f32_e32 v3, 0x40051340, v66
	v_max3_f32 v2, v98, v2, v3
	ds_bpermute_b32 v3, v113, v2
	s_waitcnt lgkmcnt(0)
	v_max_f32_e32 v3, v3, v3
	v_max_f32_e32 v2, v2, v3
	ds_bpermute_b32 v3, v114, v2
	s_waitcnt lgkmcnt(0)
	v_max_f32_e32 v3, v3, v3
	v_max_f32_e32 v2, v2, v3
	;; [unrolled: 4-line block ×4, first 2 shown]
	ds_bpermute_b32 v9, v120, v8
	s_and_saveexec_b32 s35, s17
	s_xor_b32 s17, exec_lo, s35
	s_cbranch_execz .LBB86_94
; %bb.93:                               ;   in Loop: Header=BB86_8 Depth=1
	v_add_f32_e64 v2, |v6|, |v6|
	v_mul_f32_e32 v3, 0x3fb8aa3b, v2
	v_cmp_ngt_f32_e32 vcc_lo, 0xc2ce8ed0, v2
	v_rndne_f32_e32 v131, v3
	v_fma_f32 v132, 0x3fb8aa3b, v2, -v3
	v_sub_f32_e32 v3, v3, v131
	v_fmac_f32_e32 v132, 0x32a5705f, v2
	v_cvt_i32_f32_e32 v131, v131
	v_add_f32_e32 v3, v3, v132
	v_exp_f32_e32 v3, v3
	v_ldexp_f32 v3, v3, v131
	v_cndmask_b32_e32 v3, 0, v3, vcc_lo
	v_cmp_nlt_f32_e32 vcc_lo, 0x42b17218, v2
	v_cndmask_b32_e32 v2, 0x7f800000, v3, vcc_lo
	v_add_f32_e32 v2, 1.0, v2
	v_rcp_f32_e32 v2, v2
	v_fma_f32 v135, v2, -2.0, 1.0
.LBB86_94:                              ;   in Loop: Header=BB86_8 Depth=1
	s_andn2_saveexec_b32 s17, s17
	s_cbranch_execz .LBB86_96
; %bb.95:                               ;   in Loop: Header=BB86_8 Depth=1
	v_mul_f32_e32 v2, v6, v6
	v_fmaak_f32 v3, s16, v2, 0x3ca908c9
	v_fmaak_f32 v3, v2, v3, 0xbd5c1c4e
	;; [unrolled: 1-line block ×4, first 2 shown]
	v_mul_f32_e64 v3, |v6|, v3
	v_fma_f32 v135, v2, v3, |v6|
.LBB86_96:                              ;   in Loop: Header=BB86_8 Depth=1
	s_or_b32 exec_lo, exec_lo, s17
	v_add_nc_u32_e32 v2, v4, v85
	s_andn2_b32 vcc_lo, exec_lo, s11
	v_ashrrev_i32_e32 v3, 31, v2
	s_cbranch_vccnz .LBB86_113
; %bb.97:                               ;   in Loop: Header=BB86_8 Depth=1
	v_lshlrev_b64 v[131:132], 1, v[2:3]
	v_add_co_u32 v131, vcc_lo, s46, v131
	v_add_co_ci_u32_e64 v132, null, s47, v132, vcc_lo
	global_load_ushort v4, v[131:132], off
	s_waitcnt vmcnt(0)
	v_cvt_f32_f16_e32 v4, v4
	v_mul_f32_e32 v131, v24, v4
	v_cmp_ngt_f32_e64 s17, 0x3f200000, |v7|
                                        ; implicit-def: $vgpr4
	s_and_saveexec_b32 s35, s17
	s_xor_b32 s17, exec_lo, s35
	s_cbranch_execz .LBB86_99
.LBB86_98:                              ;   in Loop: Header=BB86_8 Depth=1
	v_add_f32_e64 v4, |v7|, |v7|
	v_mul_f32_e32 v132, 0x3fb8aa3b, v4
	v_cmp_ngt_f32_e32 vcc_lo, 0xc2ce8ed0, v4
	v_rndne_f32_e32 v136, v132
	v_fma_f32 v137, 0x3fb8aa3b, v4, -v132
	v_sub_f32_e32 v132, v132, v136
	v_fmac_f32_e32 v137, 0x32a5705f, v4
	v_cvt_i32_f32_e32 v136, v136
	v_add_f32_e32 v132, v132, v137
	v_exp_f32_e32 v132, v132
	v_ldexp_f32 v132, v132, v136
	v_cndmask_b32_e32 v132, 0, v132, vcc_lo
	v_cmp_nlt_f32_e32 vcc_lo, 0x42b17218, v4
	v_cndmask_b32_e32 v4, 0x7f800000, v132, vcc_lo
	v_add_f32_e32 v4, 1.0, v4
	v_rcp_f32_e32 v4, v4
	v_fma_f32 v4, v4, -2.0, 1.0
.LBB86_99:                              ;   in Loop: Header=BB86_8 Depth=1
	s_andn2_saveexec_b32 s17, s17
	s_cbranch_execz .LBB86_102
; %bb.100:                              ;   in Loop: Header=BB86_8 Depth=1
	v_mul_f32_e32 v4, v7, v7
	v_fmaak_f32 v132, s16, v4, 0x3ca908c9
	v_fmaak_f32 v132, v4, v132, 0xbd5c1c4e
	;; [unrolled: 1-line block ×4, first 2 shown]
	v_mul_f32_e64 v132, |v7|, v132
	v_fma_f32 v4, v4, v132, |v7|
	s_or_b32 exec_lo, exec_lo, s17
	s_andn2_b32 vcc_lo, exec_lo, s11
	s_cbranch_vccz .LBB86_103
.LBB86_101:                             ;   in Loop: Header=BB86_8 Depth=1
	v_mov_b32_e32 v132, 0
	s_branch .LBB86_104
.LBB86_102:                             ;   in Loop: Header=BB86_8 Depth=1
	s_or_b32 exec_lo, exec_lo, s17
	s_andn2_b32 vcc_lo, exec_lo, s11
	s_cbranch_vccnz .LBB86_101
.LBB86_103:                             ;   in Loop: Header=BB86_8 Depth=1
	v_lshlrev_b64 v[2:3], 1, v[2:3]
	v_add_co_u32 v2, vcc_lo, s46, v2
	v_add_co_ci_u32_e64 v3, null, s47, v3, vcc_lo
	global_load_ushort v2, v[2:3], off offset:64
	s_waitcnt vmcnt(0)
	v_cvt_f32_f16_e32 v2, v2
	v_mul_f32_e32 v132, v24, v2
.LBB86_104:                             ;   in Loop: Header=BB86_8 Depth=1
	v_bfi_b32 v2, 0x7fffffff, v135, v6
	v_max_f32_e32 v3, v8, v8
	v_bfi_b32 v136, 0x7fffffff, v4, v7
	s_mul_hi_i32 s37, s8, s12
	s_mul_i32 s36, s8, s12
	v_fmac_f32_e32 v131, s19, v2
	s_waitcnt lgkmcnt(0)
	v_max_f32_e32 v2, v9, v9
	v_max_f32_e32 v9, v122, v122
	v_fmac_f32_e32 v132, s19, v136
	s_lshl_b64 s[36:37], s[36:37], 2
	v_add_f32_e32 v135, 0x40051340, v131
	v_max_f32_e32 v8, v3, v2
	v_max_f32_e32 v2, v134, v134
	;; [unrolled: 1-line block ×3, first 2 shown]
	s_barrier
	v_sub_f32_e32 v65, v65, v8
	v_sub_f32_e32 v66, v66, v8
	v_max_f32_e32 v7, v3, v2
	v_max_f32_e32 v2, v70, v70
	;; [unrolled: 1-line block ×3, first 2 shown]
	buffer_gl0_inv
	s_add_u32 s17, s9, s36
	v_sub_f32_e32 v67, v67, v7
	s_addc_u32 s35, s13, s37
	v_max_f32_e32 v6, v3, v2
	v_max_f32_e32 v2, v69, v69
	;; [unrolled: 1-line block ×12, first 2 shown]
	v_add_f32_e32 v9, 0x40051340, v132
	v_sub_f32_e32 v69, v115, v2
	v_max3_f32 v9, v96, v135, v9
	v_mul_f32_e32 v70, 0x3fb8aa3b, v69
	ds_bpermute_b32 v68, v113, v9
	v_cmp_ngt_f32_e32 vcc_lo, 0xc2ce8ed0, v69
	v_fma_f32 v71, 0x3fb8aa3b, v69, -v70
	v_rndne_f32_e32 v72, v70
	v_fmac_f32_e32 v71, 0x32a5705f, v69
	v_sub_f32_e32 v70, v70, v72
	v_add_f32_e32 v70, v70, v71
	v_cvt_i32_f32_e32 v71, v72
	s_waitcnt lgkmcnt(0)
	v_max_f32_e32 v68, v68, v68
	v_exp_f32_e32 v70, v70
	v_max_f32_e32 v9, v9, v68
	ds_bpermute_b32 v68, v114, v9
	v_ldexp_f32 v70, v70, v71
	v_cndmask_b32_e32 v70, 0, v70, vcc_lo
	v_cmp_nlt_f32_e32 vcc_lo, 0x42b17218, v69
	v_cndmask_b32_e32 v69, 0x7f800000, v70, vcc_lo
	v_sub_f32_e32 v70, v116, v2
	v_mul_f32_e32 v71, 0x3fb8aa3b, v70
	v_cmp_ngt_f32_e32 vcc_lo, 0xc2ce8ed0, v70
	s_waitcnt lgkmcnt(0)
	v_max_f32_e32 v68, v68, v68
	v_fma_f32 v72, 0x3fb8aa3b, v70, -v71
	v_rndne_f32_e32 v113, v71
	v_max_f32_e32 v9, v9, v68
	v_fmac_f32_e32 v72, 0x32a5705f, v70
	v_sub_f32_e32 v71, v71, v113
	ds_bpermute_b32 v68, v117, v9
	v_add_f32_e32 v71, v71, v72
	v_cvt_i32_f32_e32 v72, v113
	v_exp_f32_e32 v71, v71
	v_ldexp_f32 v71, v71, v72
	s_waitcnt lgkmcnt(0)
	v_max_f32_e32 v68, v68, v68
	v_cndmask_b32_e32 v71, 0, v71, vcc_lo
	v_max_f32_e32 v9, v9, v68
	v_cmp_nlt_f32_e32 vcc_lo, 0x42b17218, v70
	ds_bpermute_b32 v68, v119, v9
	v_cndmask_b32_e32 v70, 0x7f800000, v71, vcc_lo
	v_add_f32_e32 v72, v69, v70
	v_cvt_f16_f32_e32 v113, v70
	s_waitcnt lgkmcnt(0)
	v_max_f32_e32 v68, v68, v68
	v_max_f32_e32 v9, v9, v68
	ds_bpermute_b32 v68, v120, v9
	s_waitcnt lgkmcnt(0)
	v_max_f32_e32 v68, v68, v68
	v_max_f32_e32 v9, v9, v68
	v_sub_f32_e32 v68, v110, v2
	v_cvt_f16_f32_e32 v110, v69
	v_mul_f32_e32 v69, 0x3fb8aa3b, v68
	v_cmp_ngt_f32_e32 vcc_lo, 0xc2ce8ed0, v68
	v_fma_f32 v70, 0x3fb8aa3b, v68, -v69
	v_rndne_f32_e32 v71, v69
	v_fmac_f32_e32 v70, 0x32a5705f, v68
	v_sub_f32_e32 v69, v69, v71
	v_add_f32_e32 v69, v69, v70
	v_cvt_i32_f32_e32 v70, v71
	v_exp_f32_e32 v69, v69
	v_ldexp_f32 v69, v69, v70
	v_cndmask_b32_e32 v69, 0, v69, vcc_lo
	v_cmp_nlt_f32_e32 vcc_lo, 0x42b17218, v68
	v_cndmask_b32_e32 v68, 0x7f800000, v69, vcc_lo
	v_fmac_f32_e32 v72, v109, v68
	v_cvt_f16_f32_e32 v68, v68
	v_mul_u32_u24_sdwa v68, v68, v94 dst_sel:DWORD dst_unused:UNUSED_PAD src0_sel:WORD_0 src1_sel:DWORD
	v_pk_mul_f16 v109, v63, v68
	v_pk_mul_f16 v63, v64, v68
	v_sub_f32_e32 v68, v118, v3
	v_sub_f32_e32 v64, v108, v3
	v_mul_f32_e32 v69, 0x3fb8aa3b, v68
	v_cmp_ngt_f32_e32 vcc_lo, 0xc2ce8ed0, v68
	v_fma_f32 v70, 0x3fb8aa3b, v68, -v69
	v_rndne_f32_e32 v71, v69
	v_fmac_f32_e32 v70, 0x32a5705f, v68
	v_sub_f32_e32 v69, v69, v71
	v_add_f32_e32 v69, v69, v70
	v_cvt_i32_f32_e32 v70, v71
	v_exp_f32_e32 v69, v69
	v_ldexp_f32 v69, v69, v70
	v_cndmask_b32_e32 v69, 0, v69, vcc_lo
	v_cmp_nlt_f32_e32 vcc_lo, 0x42b17218, v68
	v_cndmask_b32_e32 v68, 0x7f800000, v69, vcc_lo
	v_sub_f32_e32 v69, v121, v3
	v_cvt_f16_f32_e32 v108, v68
	v_mul_f32_e32 v70, 0x3fb8aa3b, v69
	v_cmp_ngt_f32_e32 vcc_lo, 0xc2ce8ed0, v69
	v_fma_f32 v71, 0x3fb8aa3b, v69, -v70
	v_rndne_f32_e32 v114, v70
	v_fmac_f32_e32 v71, 0x32a5705f, v69
	v_sub_f32_e32 v70, v70, v114
	v_add_f32_e32 v70, v70, v71
	v_cvt_i32_f32_e32 v71, v114
	v_exp_f32_e32 v70, v70
	v_ldexp_f32 v70, v70, v71
	v_cndmask_b32_e32 v70, 0, v70, vcc_lo
	v_cmp_nlt_f32_e32 vcc_lo, 0x42b17218, v69
	v_cndmask_b32_e32 v69, 0x7f800000, v70, vcc_lo
	v_cmp_ngt_f32_e32 vcc_lo, 0xc2ce8ed0, v64
	v_add_f32_e32 v71, v68, v69
	v_mul_f32_e32 v68, 0x3fb8aa3b, v64
	v_cvt_f16_f32_e32 v114, v69
	v_fma_f32 v69, 0x3fb8aa3b, v64, -v68
	v_rndne_f32_e32 v70, v68
	v_fmac_f32_e32 v69, 0x32a5705f, v64
	v_sub_f32_e32 v68, v68, v70
	v_add_f32_e32 v68, v68, v69
	v_cvt_i32_f32_e32 v69, v70
	v_exp_f32_e32 v68, v68
	v_ldexp_f32 v68, v68, v69
	v_cndmask_b32_e32 v68, 0, v68, vcc_lo
	v_cmp_nlt_f32_e32 vcc_lo, 0x42b17218, v64
	v_cndmask_b32_e32 v64, 0x7f800000, v68, vcc_lo
	v_fmac_f32_e32 v71, v107, v64
	v_cvt_f16_f32_e32 v64, v64
	v_mul_u32_u24_sdwa v68, v64, v94 dst_sel:DWORD dst_unused:UNUSED_PAD src0_sel:WORD_0 src1_sel:DWORD
	v_pk_mul_f16 v64, v61, v68
	v_pk_mul_f16 v61, v62, v68
	v_sub_f32_e32 v68, v111, v4
	v_sub_f32_e32 v62, v106, v4
	v_mul_f32_e32 v69, 0x3fb8aa3b, v68
	v_cmp_ngt_f32_e32 vcc_lo, 0xc2ce8ed0, v68
	v_fma_f32 v70, 0x3fb8aa3b, v68, -v69
	v_rndne_f32_e32 v106, v69
	v_fmac_f32_e32 v70, 0x32a5705f, v68
	v_sub_f32_e32 v69, v69, v106
	v_add_f32_e32 v69, v69, v70
	v_cvt_i32_f32_e32 v70, v106
	v_exp_f32_e32 v69, v69
	v_ldexp_f32 v69, v69, v70
	v_cndmask_b32_e32 v69, 0, v69, vcc_lo
	v_cmp_nlt_f32_e32 vcc_lo, 0x42b17218, v68
	v_cndmask_b32_e32 v68, 0x7f800000, v69, vcc_lo
	v_sub_f32_e32 v69, v112, v4
	v_cvt_f16_f32_e32 v106, v68
	v_mul_f32_e32 v70, 0x3fb8aa3b, v69
	v_cmp_ngt_f32_e32 vcc_lo, 0xc2ce8ed0, v69
	v_fma_f32 v107, 0x3fb8aa3b, v69, -v70
	v_rndne_f32_e32 v111, v70
	v_fmac_f32_e32 v107, 0x32a5705f, v69
	v_sub_f32_e32 v70, v70, v111
	v_add_f32_e32 v70, v70, v107
	v_cvt_i32_f32_e32 v107, v111
	v_exp_f32_e32 v70, v70
	v_ldexp_f32 v70, v70, v107
	v_cndmask_b32_e32 v70, 0, v70, vcc_lo
	v_cmp_nlt_f32_e32 vcc_lo, 0x42b17218, v69
	v_cndmask_b32_e32 v69, 0x7f800000, v70, vcc_lo
	v_cmp_ngt_f32_e32 vcc_lo, 0xc2ce8ed0, v62
	v_add_f32_e32 v70, v68, v69
	v_mul_f32_e32 v68, 0x3fb8aa3b, v62
	v_cvt_f16_f32_e32 v107, v69
	;; [unrolled: 50-line block ×3, first 2 shown]
	v_fma_f32 v111, 0x3fb8aa3b, v60, -v68
	v_rndne_f32_e32 v112, v68
	v_fmac_f32_e32 v111, 0x32a5705f, v60
	v_sub_f32_e32 v68, v68, v112
	v_add_f32_e32 v68, v68, v111
	v_cvt_i32_f32_e32 v111, v112
	v_exp_f32_e32 v68, v68
	v_ldexp_f32 v68, v68, v111
	v_cndmask_b32_e32 v68, 0, v68, vcc_lo
	v_cmp_nlt_f32_e32 vcc_lo, 0x42b17218, v60
	v_cndmask_b32_e32 v60, 0x7f800000, v68, vcc_lo
	v_fmac_f32_e32 v69, v103, v60
	v_cvt_f16_f32_e32 v60, v60
	v_mul_u32_u24_sdwa v68, v60, v94 dst_sel:DWORD dst_unused:UNUSED_PAD src0_sel:WORD_0 src1_sel:DWORD
	v_pk_mul_f16 v60, v57, v68
	v_pk_mul_f16 v57, v58, v68
	v_sub_f32_e32 v68, v128, v6
	v_sub_f32_e32 v58, v102, v6
	v_mul_f32_e32 v102, 0x3fb8aa3b, v68
	v_cmp_ngt_f32_e32 vcc_lo, 0xc2ce8ed0, v68
	v_fma_f32 v103, 0x3fb8aa3b, v68, -v102
	v_rndne_f32_e32 v111, v102
	v_fmac_f32_e32 v103, 0x32a5705f, v68
	v_sub_f32_e32 v102, v102, v111
	v_add_f32_e32 v102, v102, v103
	v_cvt_i32_f32_e32 v103, v111
	v_exp_f32_e32 v102, v102
	v_ldexp_f32 v102, v102, v103
	v_sub_f32_e32 v103, v129, v6
	v_cndmask_b32_e32 v102, 0, v102, vcc_lo
	v_mul_f32_e32 v111, 0x3fb8aa3b, v103
	v_cmp_nlt_f32_e32 vcc_lo, 0x42b17218, v68
	v_fma_f32 v112, 0x3fb8aa3b, v103, -v111
	v_rndne_f32_e32 v115, v111
	v_cndmask_b32_e32 v68, 0x7f800000, v102, vcc_lo
	v_cmp_ngt_f32_e32 vcc_lo, 0xc2ce8ed0, v103
	v_fmac_f32_e32 v112, 0x32a5705f, v103
	v_sub_f32_e32 v111, v111, v115
	v_cvt_f16_f32_e32 v102, v68
	v_add_f32_e32 v111, v111, v112
	v_cvt_i32_f32_e32 v112, v115
	v_exp_f32_e32 v111, v111
	v_ldexp_f32 v111, v111, v112
	v_cndmask_b32_e32 v111, 0, v111, vcc_lo
	v_cmp_nlt_f32_e32 vcc_lo, 0x42b17218, v103
	v_cndmask_b32_e32 v103, 0x7f800000, v111, vcc_lo
	v_mul_f32_e32 v111, 0x3fb8aa3b, v58
	v_cmp_ngt_f32_e32 vcc_lo, 0xc2ce8ed0, v58
	v_add_f32_e32 v68, v68, v103
	v_fma_f32 v112, 0x3fb8aa3b, v58, -v111
	v_rndne_f32_e32 v115, v111
	v_cvt_f16_f32_e32 v103, v103
	v_fmac_f32_e32 v112, 0x32a5705f, v58
	v_sub_f32_e32 v111, v111, v115
	v_add_f32_e32 v111, v111, v112
	v_cvt_i32_f32_e32 v112, v115
	v_exp_f32_e32 v111, v111
	v_ldexp_f32 v111, v111, v112
	v_cndmask_b32_e32 v111, 0, v111, vcc_lo
	v_cmp_nlt_f32_e32 vcc_lo, 0x42b17218, v58
	v_cndmask_b32_e32 v58, 0x7f800000, v111, vcc_lo
	v_cmp_ngt_f32_e32 vcc_lo, 0xc2ce8ed0, v67
	v_fmac_f32_e32 v68, v101, v58
	v_cvt_f16_f32_e32 v58, v58
	v_mul_u32_u24_sdwa v101, v58, v94 dst_sel:DWORD dst_unused:UNUSED_PAD src0_sel:WORD_0 src1_sel:DWORD
	v_pk_mul_f16 v58, v55, v101
	v_pk_mul_f16 v55, v56, v101
	v_sub_f32_e32 v56, v100, v7
	v_mul_f32_e32 v100, 0x3fb8aa3b, v67
	v_fma_f32 v101, 0x3fb8aa3b, v67, -v100
	v_rndne_f32_e32 v111, v100
	v_fmac_f32_e32 v101, 0x32a5705f, v67
	v_sub_f32_e32 v100, v100, v111
	v_add_f32_e32 v100, v100, v101
	v_cvt_i32_f32_e32 v101, v111
	v_exp_f32_e32 v100, v100
	v_ldexp_f32 v100, v100, v101
	v_sub_f32_e32 v101, v130, v7
	v_cndmask_b32_e32 v100, 0, v100, vcc_lo
	v_mul_f32_e32 v111, 0x3fb8aa3b, v101
	v_cmp_nlt_f32_e32 vcc_lo, 0x42b17218, v67
	v_fma_f32 v112, 0x3fb8aa3b, v101, -v111
	v_rndne_f32_e32 v115, v111
	v_cndmask_b32_e32 v67, 0x7f800000, v100, vcc_lo
	v_cmp_ngt_f32_e32 vcc_lo, 0xc2ce8ed0, v101
	v_fmac_f32_e32 v112, 0x32a5705f, v101
	v_sub_f32_e32 v111, v111, v115
	v_cvt_f16_f32_e32 v100, v67
	v_add_f32_e32 v111, v111, v112
	v_cvt_i32_f32_e32 v112, v115
	v_exp_f32_e32 v111, v111
	v_ldexp_f32 v111, v111, v112
	v_cndmask_b32_e32 v111, 0, v111, vcc_lo
	v_cmp_nlt_f32_e32 vcc_lo, 0x42b17218, v101
	v_cndmask_b32_e32 v101, 0x7f800000, v111, vcc_lo
	v_mul_f32_e32 v111, 0x3fb8aa3b, v56
	v_cmp_ngt_f32_e32 vcc_lo, 0xc2ce8ed0, v56
	v_add_f32_e32 v67, v67, v101
	v_fma_f32 v112, 0x3fb8aa3b, v56, -v111
	v_rndne_f32_e32 v115, v111
	v_cvt_f16_f32_e32 v101, v101
	v_fmac_f32_e32 v112, 0x32a5705f, v56
	v_sub_f32_e32 v111, v111, v115
	v_add_f32_e32 v111, v111, v112
	v_cvt_i32_f32_e32 v112, v115
	v_exp_f32_e32 v111, v111
	v_ldexp_f32 v111, v111, v112
	v_cndmask_b32_e32 v111, 0, v111, vcc_lo
	v_cmp_nlt_f32_e32 vcc_lo, 0x42b17218, v56
	v_cndmask_b32_e32 v56, 0x7f800000, v111, vcc_lo
	v_cmp_ngt_f32_e32 vcc_lo, 0xc2ce8ed0, v65
	v_fmac_f32_e32 v67, v99, v56
	v_cvt_f16_f32_e32 v56, v56
	v_mul_u32_u24_sdwa v99, v56, v94 dst_sel:DWORD dst_unused:UNUSED_PAD src0_sel:WORD_0 src1_sel:DWORD
	v_pk_mul_f16 v56, v53, v99
	v_pk_mul_f16 v53, v54, v99
	v_sub_f32_e32 v54, v98, v8
	v_mul_f32_e32 v98, 0x3fb8aa3b, v65
	v_fma_f32 v99, 0x3fb8aa3b, v65, -v98
	v_rndne_f32_e32 v111, v98
	v_fmac_f32_e32 v99, 0x32a5705f, v65
	v_sub_f32_e32 v98, v98, v111
	v_add_f32_e32 v98, v98, v99
	v_cvt_i32_f32_e32 v99, v111
	v_exp_f32_e32 v98, v98
	v_ldexp_f32 v98, v98, v99
	v_mul_f32_e32 v99, 0x3fb8aa3b, v66
	v_cndmask_b32_e32 v98, 0, v98, vcc_lo
	v_fma_f32 v111, 0x3fb8aa3b, v66, -v99
	v_rndne_f32_e32 v112, v99
	v_cmp_nlt_f32_e32 vcc_lo, 0x42b17218, v65
	v_fmac_f32_e32 v111, 0x32a5705f, v66
	v_sub_f32_e32 v99, v99, v112
	v_cndmask_b32_e32 v65, 0x7f800000, v98, vcc_lo
	v_cmp_ngt_f32_e32 vcc_lo, 0xc2ce8ed0, v66
	v_add_f32_e32 v99, v99, v111
	v_cvt_i32_f32_e32 v111, v112
	v_cvt_f16_f32_e32 v98, v65
	v_exp_f32_e32 v99, v99
	v_ldexp_f32 v99, v99, v111
	v_cndmask_b32_e32 v99, 0, v99, vcc_lo
	v_cmp_nlt_f32_e32 vcc_lo, 0x42b17218, v66
	v_cndmask_b32_e32 v99, 0x7f800000, v99, vcc_lo
	v_cmp_ngt_f32_e32 vcc_lo, 0xc2ce8ed0, v54
	v_add_f32_e32 v66, v65, v99
	v_mul_f32_e32 v65, 0x3fb8aa3b, v54
	v_cvt_f16_f32_e32 v99, v99
	v_fma_f32 v111, 0x3fb8aa3b, v54, -v65
	v_rndne_f32_e32 v112, v65
	v_fmac_f32_e32 v111, 0x32a5705f, v54
	v_sub_f32_e32 v65, v65, v112
	v_add_f32_e32 v65, v65, v111
	v_cvt_i32_f32_e32 v111, v112
	v_exp_f32_e32 v65, v65
	v_ldexp_f32 v65, v65, v111
	v_cndmask_b32_e32 v65, 0, v65, vcc_lo
	v_cmp_nlt_f32_e32 vcc_lo, 0x42b17218, v54
	v_cndmask_b32_e32 v54, 0x7f800000, v65, vcc_lo
	v_fmac_f32_e32 v66, v97, v54
	v_cvt_f16_f32_e32 v54, v54
	v_mul_u32_u24_sdwa v65, v54, v94 dst_sel:DWORD dst_unused:UNUSED_PAD src0_sel:WORD_0 src1_sel:DWORD
	v_pk_mul_f16 v54, v51, v65
	v_pk_mul_f16 v51, v52, v65
	v_sub_f32_e32 v65, v131, v9
	v_sub_f32_e32 v52, v96, v9
	v_mul_f32_e32 v96, 0x3fb8aa3b, v65
	v_cmp_ngt_f32_e32 vcc_lo, 0xc2ce8ed0, v65
	v_fma_f32 v97, 0x3fb8aa3b, v65, -v96
	v_rndne_f32_e32 v111, v96
	v_fmac_f32_e32 v97, 0x32a5705f, v65
	v_sub_f32_e32 v96, v96, v111
	v_add_f32_e32 v96, v96, v97
	v_cvt_i32_f32_e32 v97, v111
	v_exp_f32_e32 v96, v96
	v_ldexp_f32 v96, v96, v97
	v_sub_f32_e32 v97, v132, v9
	v_cndmask_b32_e32 v96, 0, v96, vcc_lo
	v_mul_f32_e32 v111, 0x3fb8aa3b, v97
	v_cmp_nlt_f32_e32 vcc_lo, 0x42b17218, v65
	v_fma_f32 v112, 0x3fb8aa3b, v97, -v111
	v_rndne_f32_e32 v115, v111
	v_cndmask_b32_e32 v65, 0x7f800000, v96, vcc_lo
	v_cmp_ngt_f32_e32 vcc_lo, 0xc2ce8ed0, v97
	v_fmac_f32_e32 v112, 0x32a5705f, v97
	v_sub_f32_e32 v111, v111, v115
	v_cvt_f16_f32_e32 v96, v65
	v_add_f32_e32 v111, v111, v112
	v_cvt_i32_f32_e32 v112, v115
	v_pack_b32_f16 v98, v98, v96
	v_pack_b32_f16 v96, v106, v104
	v_exp_f32_e32 v111, v111
	v_ldexp_f32 v111, v111, v112
	v_cndmask_b32_e32 v111, 0, v111, vcc_lo
	v_cmp_nlt_f32_e32 vcc_lo, 0x42b17218, v97
	v_cndmask_b32_e32 v97, 0x7f800000, v111, vcc_lo
	v_cmp_ngt_f32_e32 vcc_lo, 0xc2ce8ed0, v52
	v_add_f32_e32 v65, v65, v97
	v_cvt_f16_f32_e32 v111, v97
	v_mul_f32_e32 v97, 0x3fb8aa3b, v52
	v_fma_f32 v112, 0x3fb8aa3b, v52, -v97
	v_rndne_f32_e32 v115, v97
	v_fmac_f32_e32 v112, 0x32a5705f, v52
	v_sub_f32_e32 v97, v97, v115
	v_add_f32_e32 v97, v97, v112
	v_cvt_i32_f32_e32 v112, v115
	v_exp_f32_e32 v97, v97
	v_ldexp_f32 v97, v97, v112
	v_cndmask_b32_e32 v97, 0, v97, vcc_lo
	v_cmp_nlt_f32_e32 vcc_lo, 0x42b17218, v52
	v_cndmask_b32_e32 v52, 0x7f800000, v97, vcc_lo
	v_pack_b32_f16 v97, v102, v100
	v_fmac_f32_e32 v65, v95, v52
	v_cvt_f16_f32_e32 v52, v52
	v_pack_b32_f16 v95, v110, v108
	v_mul_u32_u24_sdwa v52, v52, v94 dst_sel:DWORD dst_unused:UNUSED_PAD src0_sel:WORD_0 src1_sel:DWORD
	ds_write_b128 v91, v[95:98]
	v_pack_b32_f16 v98, v99, v111
	v_pack_b32_f16 v97, v103, v101
	;; [unrolled: 1-line block ×4, first 2 shown]
	v_pk_mul_f16 v50, v50, v52
	v_pk_mul_f16 v49, v49, v52
	v_add_co_u32 v52, vcc_lo, s17, v14
	ds_write_b128 v91, v[95:98] offset:512
	v_add_co_ci_u32_e64 v96, null, s35, v15, vcc_lo
	v_add_co_u32 v95, vcc_lo, v52, v92
	v_add_co_ci_u32_e64 v96, null, 0, v96, vcc_lo
	v_add_co_u32 v52, vcc_lo, s17, v16
	s_or_b32 s17, s8, 32
	global_load_dwordx4 v[95:98], v[95:96], off
	s_mul_hi_i32 s37, s17, s12
	s_mul_i32 s36, s17, s12
	s_lshl_b64 s[36:37], s[36:37], 2
	s_add_u32 s17, s9, s36
	s_waitcnt vmcnt(0)
	ds_write_b128 v87, v[95:98]
	v_add_co_ci_u32_e64 v96, null, s35, v17, vcc_lo
	v_add_co_u32 v95, vcc_lo, v52, v92
	s_addc_u32 s35, s13, s37
	v_add_co_ci_u32_e64 v96, null, 0, v96, vcc_lo
	global_load_dwordx4 v[95:98], v[95:96], off
	s_waitcnt vmcnt(0)
	ds_write_b128 v88, v[95:98]
	s_waitcnt lgkmcnt(0)
	s_barrier
	buffer_gl0_inv
	ds_read2_b64 v[95:98], v89 offset1:32
	ds_read_b128 v[99:102], v86
	ds_read_b128 v[103:106], v86 offset:16
	ds_read_b128 v[110:113], v86 offset:32
	;; [unrolled: 1-line block ×3, first 2 shown]
	s_waitcnt lgkmcnt(3)
	v_mul_u32_u24_sdwa v52, v99, v94 dst_sel:DWORD dst_unused:UNUSED_PAD src0_sel:WORD_0 src1_sel:DWORD
	v_mul_u32_u24_sdwa v99, v99, v94 dst_sel:DWORD dst_unused:UNUSED_PAD src0_sel:WORD_1 src1_sel:DWORD
	v_mul_u32_u24_sdwa v107, v100, v94 dst_sel:DWORD dst_unused:UNUSED_PAD src0_sel:WORD_0 src1_sel:DWORD
	v_mul_u32_u24_sdwa v100, v100, v94 dst_sel:DWORD dst_unused:UNUSED_PAD src0_sel:WORD_1 src1_sel:DWORD
	;; [unrolled: 2-line block ×4, first 2 shown]
	v_pk_fma_f16 v109, v95, v52, v109
	v_pk_fma_f16 v64, v95, v99, v64
	;; [unrolled: 1-line block ×16, first 2 shown]
	s_waitcnt lgkmcnt(2)
	v_mul_u32_u24_sdwa v63, v103, v94 dst_sel:DWORD dst_unused:UNUSED_PAD src0_sel:WORD_0 src1_sel:DWORD
	v_mul_u32_u24_sdwa v95, v103, v94 dst_sel:DWORD dst_unused:UNUSED_PAD src0_sel:WORD_1 src1_sel:DWORD
	v_mul_u32_u24_sdwa v96, v104, v94 dst_sel:DWORD dst_unused:UNUSED_PAD src0_sel:WORD_0 src1_sel:DWORD
	v_mul_u32_u24_sdwa v99, v104, v94 dst_sel:DWORD dst_unused:UNUSED_PAD src0_sel:WORD_1 src1_sel:DWORD
	;; [unrolled: 2-line block ×4, first 2 shown]
	v_pk_fma_f16 v104, v97, v63, v109
	v_pk_fma_f16 v64, v97, v95, v64
	;; [unrolled: 1-line block ×13, first 2 shown]
	ds_read2_b64 v[49:52], v89 offset0:64 offset1:96
	v_pk_fma_f16 v57, v98, v99, v57
	v_pk_fma_f16 v55, v98, v100, v55
	;; [unrolled: 1-line block ×3, first 2 shown]
	s_waitcnt lgkmcnt(2)
	v_mul_u32_u24_sdwa v98, v110, v94 dst_sel:DWORD dst_unused:UNUSED_PAD src0_sel:WORD_0 src1_sel:DWORD
	v_mul_u32_u24_sdwa v99, v110, v94 dst_sel:DWORD dst_unused:UNUSED_PAD src0_sel:WORD_1 src1_sel:DWORD
	v_mul_u32_u24_sdwa v100, v111, v94 dst_sel:DWORD dst_unused:UNUSED_PAD src0_sel:WORD_0 src1_sel:DWORD
	v_mul_u32_u24_sdwa v101, v111, v94 dst_sel:DWORD dst_unused:UNUSED_PAD src0_sel:WORD_1 src1_sel:DWORD
	v_mul_u32_u24_sdwa v102, v112, v94 dst_sel:DWORD dst_unused:UNUSED_PAD src0_sel:WORD_0 src1_sel:DWORD
	v_mul_u32_u24_sdwa v103, v112, v94 dst_sel:DWORD dst_unused:UNUSED_PAD src0_sel:WORD_1 src1_sel:DWORD
	v_mul_u32_u24_sdwa v105, v113, v94 dst_sel:DWORD dst_unused:UNUSED_PAD src0_sel:WORD_0 src1_sel:DWORD
	v_mul_u32_u24_sdwa v106, v113, v94 dst_sel:DWORD dst_unused:UNUSED_PAD src0_sel:WORD_1 src1_sel:DWORD
	s_waitcnt lgkmcnt(0)
	v_pk_fma_f16 v104, v49, v98, v104
	v_pk_fma_f16 v64, v49, v99, v64
	;; [unrolled: 1-line block ×16, first 2 shown]
	v_mul_u32_u24_sdwa v96, v114, v94 dst_sel:DWORD dst_unused:UNUSED_PAD src0_sel:WORD_0 src1_sel:DWORD
	v_mul_u32_u24_sdwa v97, v114, v94 dst_sel:DWORD dst_unused:UNUSED_PAD src0_sel:WORD_1 src1_sel:DWORD
	v_mul_u32_u24_sdwa v98, v115, v94 dst_sel:DWORD dst_unused:UNUSED_PAD src0_sel:WORD_0 src1_sel:DWORD
	v_mul_u32_u24_sdwa v99, v115, v94 dst_sel:DWORD dst_unused:UNUSED_PAD src0_sel:WORD_1 src1_sel:DWORD
	;; [unrolled: 2-line block ×4, first 2 shown]
	v_pk_fma_f16 v104, v51, v96, v104
	v_pk_fma_f16 v64, v51, v97, v64
	;; [unrolled: 1-line block ×16, first 2 shown]
	ds_read2_b64 v[49:52], v89 offset0:128 offset1:160
	ds_read_b128 v[53:56], v86 offset:64
	s_waitcnt lgkmcnt(0)
	v_mul_u32_u24_sdwa v99, v53, v94 dst_sel:DWORD dst_unused:UNUSED_PAD src0_sel:WORD_0 src1_sel:DWORD
	v_mul_u32_u24_sdwa v53, v53, v94 dst_sel:DWORD dst_unused:UNUSED_PAD src0_sel:WORD_1 src1_sel:DWORD
	v_mul_u32_u24_sdwa v100, v54, v94 dst_sel:DWORD dst_unused:UNUSED_PAD src0_sel:WORD_0 src1_sel:DWORD
	v_mul_u32_u24_sdwa v54, v54, v94 dst_sel:DWORD dst_unused:UNUSED_PAD src0_sel:WORD_1 src1_sel:DWORD
	;; [unrolled: 2-line block ×4, first 2 shown]
	v_pk_fma_f16 v103, v49, v99, v104
	v_pk_fma_f16 v64, v49, v53, v64
	;; [unrolled: 1-line block ×16, first 2 shown]
	ds_read_b128 v[53:56], v86 offset:80
	s_waitcnt lgkmcnt(0)
	v_mul_u32_u24_sdwa v98, v53, v94 dst_sel:DWORD dst_unused:UNUSED_PAD src0_sel:WORD_0 src1_sel:DWORD
	v_mul_u32_u24_sdwa v53, v53, v94 dst_sel:DWORD dst_unused:UNUSED_PAD src0_sel:WORD_1 src1_sel:DWORD
	v_mul_u32_u24_sdwa v99, v54, v94 dst_sel:DWORD dst_unused:UNUSED_PAD src0_sel:WORD_0 src1_sel:DWORD
	v_mul_u32_u24_sdwa v54, v54, v94 dst_sel:DWORD dst_unused:UNUSED_PAD src0_sel:WORD_1 src1_sel:DWORD
	;; [unrolled: 2-line block ×4, first 2 shown]
	v_pk_fma_f16 v102, v51, v98, v103
	v_pk_fma_f16 v64, v51, v53, v64
	;; [unrolled: 1-line block ×16, first 2 shown]
	ds_read2_b64 v[49:52], v89 offset0:192 offset1:224
	ds_read_b128 v[53:56], v86 offset:96
	s_waitcnt lgkmcnt(0)
	v_mul_u32_u24_sdwa v99, v53, v94 dst_sel:DWORD dst_unused:UNUSED_PAD src0_sel:WORD_0 src1_sel:DWORD
	v_mul_u32_u24_sdwa v53, v53, v94 dst_sel:DWORD dst_unused:UNUSED_PAD src0_sel:WORD_1 src1_sel:DWORD
	v_mul_u32_u24_sdwa v100, v54, v94 dst_sel:DWORD dst_unused:UNUSED_PAD src0_sel:WORD_0 src1_sel:DWORD
	v_mul_u32_u24_sdwa v54, v54, v94 dst_sel:DWORD dst_unused:UNUSED_PAD src0_sel:WORD_1 src1_sel:DWORD
	;; [unrolled: 2-line block ×4, first 2 shown]
	v_pk_fma_f16 v102, v49, v99, v102
	v_pk_fma_f16 v64, v49, v53, v64
	;; [unrolled: 1-line block ×16, first 2 shown]
	ds_read_b128 v[53:56], v86 offset:112
	s_waitcnt lgkmcnt(0)
	v_mul_u32_u24_sdwa v99, v54, v94 dst_sel:DWORD dst_unused:UNUSED_PAD src0_sel:WORD_0 src1_sel:DWORD
	v_mul_u32_u24_sdwa v101, v56, v94 dst_sel:DWORD dst_unused:UNUSED_PAD src0_sel:WORD_0 src1_sel:DWORD
	v_mul_u32_u24_sdwa v56, v56, v94 dst_sel:DWORD dst_unused:UNUSED_PAD src0_sel:WORD_1 src1_sel:DWORD
	v_mul_u32_u24_sdwa v98, v53, v94 dst_sel:DWORD dst_unused:UNUSED_PAD src0_sel:WORD_0 src1_sel:DWORD
	v_mul_u32_u24_sdwa v53, v53, v94 dst_sel:DWORD dst_unused:UNUSED_PAD src0_sel:WORD_1 src1_sel:DWORD
	v_mul_u32_u24_sdwa v54, v54, v94 dst_sel:DWORD dst_unused:UNUSED_PAD src0_sel:WORD_1 src1_sel:DWORD
	v_mul_u32_u24_sdwa v100, v55, v94 dst_sel:DWORD dst_unused:UNUSED_PAD src0_sel:WORD_0 src1_sel:DWORD
	v_mul_u32_u24_sdwa v55, v55, v94 dst_sel:DWORD dst_unused:UNUSED_PAD src0_sel:WORD_1 src1_sel:DWORD
	v_pk_fma_f16 v62, v51, v99, v62
	v_pk_fma_f16 v59, v52, v99, v59
	;; [unrolled: 1-line block ×3, first 2 shown]
	v_add_nc_u32_e32 v50, 0x800, v89
	v_pk_fma_f16 v102, v51, v98, v102
	v_pk_fma_f16 v64, v51, v53, v64
	;; [unrolled: 1-line block ×13, first 2 shown]
	ds_read2_b64 v[51:54], v50 offset1:32
	ds_read_b128 v[55:58], v86 offset:128
	s_waitcnt lgkmcnt(0)
	v_mul_u32_u24_sdwa v100, v55, v94 dst_sel:DWORD dst_unused:UNUSED_PAD src0_sel:WORD_0 src1_sel:DWORD
	v_mul_u32_u24_sdwa v55, v55, v94 dst_sel:DWORD dst_unused:UNUSED_PAD src0_sel:WORD_1 src1_sel:DWORD
	v_mul_u32_u24_sdwa v101, v56, v94 dst_sel:DWORD dst_unused:UNUSED_PAD src0_sel:WORD_0 src1_sel:DWORD
	v_mul_u32_u24_sdwa v56, v56, v94 dst_sel:DWORD dst_unused:UNUSED_PAD src0_sel:WORD_1 src1_sel:DWORD
	v_mul_u32_u24_sdwa v106, v57, v94 dst_sel:DWORD dst_unused:UNUSED_PAD src0_sel:WORD_0 src1_sel:DWORD
	v_mul_u32_u24_sdwa v57, v57, v94 dst_sel:DWORD dst_unused:UNUSED_PAD src0_sel:WORD_1 src1_sel:DWORD
	v_mul_u32_u24_sdwa v107, v58, v94 dst_sel:DWORD dst_unused:UNUSED_PAD src0_sel:WORD_0 src1_sel:DWORD
	v_mul_u32_u24_sdwa v58, v58, v94 dst_sel:DWORD dst_unused:UNUSED_PAD src0_sel:WORD_1 src1_sel:DWORD
	v_pk_fma_f16 v102, v51, v100, v102
	v_pk_fma_f16 v64, v51, v55, v64
	v_pk_fma_f16 v62, v51, v101, v62
	v_pk_fma_f16 v60, v51, v56, v60
	v_pk_fma_f16 v105, v51, v106, v105
	v_pk_fma_f16 v103, v51, v57, v103
	v_pk_fma_f16 v104, v51, v107, v104
	v_pk_fma_f16 v49, v51, v58, v49
	v_pk_fma_f16 v51, v52, v100, v63
	v_pk_fma_f16 v61, v52, v55, v61
	v_pk_fma_f16 v59, v52, v101, v59
	v_pk_fma_f16 v63, v52, v56, v98
	v_pk_fma_f16 v96, v52, v106, v96
	v_pk_fma_f16 v97, v52, v57, v97
	v_pk_fma_f16 v95, v52, v107, v95
	v_pk_fma_f16 v52, v52, v58, v99
	ds_read_b128 v[55:58], v86 offset:144
	s_waitcnt lgkmcnt(0)
	v_mul_u32_u24_sdwa v98, v55, v94 dst_sel:DWORD dst_unused:UNUSED_PAD src0_sel:WORD_0 src1_sel:DWORD
	v_mul_u32_u24_sdwa v55, v55, v94 dst_sel:DWORD dst_unused:UNUSED_PAD src0_sel:WORD_1 src1_sel:DWORD
	v_mul_u32_u24_sdwa v99, v56, v94 dst_sel:DWORD dst_unused:UNUSED_PAD src0_sel:WORD_0 src1_sel:DWORD
	v_mul_u32_u24_sdwa v56, v56, v94 dst_sel:DWORD dst_unused:UNUSED_PAD src0_sel:WORD_1 src1_sel:DWORD
	v_mul_u32_u24_sdwa v100, v57, v94 dst_sel:DWORD dst_unused:UNUSED_PAD src0_sel:WORD_0 src1_sel:DWORD
	v_mul_u32_u24_sdwa v57, v57, v94 dst_sel:DWORD dst_unused:UNUSED_PAD src0_sel:WORD_1 src1_sel:DWORD
	v_mul_u32_u24_sdwa v101, v58, v94 dst_sel:DWORD dst_unused:UNUSED_PAD src0_sel:WORD_0 src1_sel:DWORD
	v_mul_u32_u24_sdwa v58, v58, v94 dst_sel:DWORD dst_unused:UNUSED_PAD src0_sel:WORD_1 src1_sel:DWORD
	v_pk_fma_f16 v102, v53, v98, v102
	v_pk_fma_f16 v64, v53, v55, v64
	v_pk_fma_f16 v62, v53, v99, v62
	v_pk_fma_f16 v60, v53, v56, v60
	v_pk_fma_f16 v105, v53, v100, v105
	v_pk_fma_f16 v103, v53, v57, v103
	v_pk_fma_f16 v104, v53, v101, v104
	v_pk_fma_f16 v49, v53, v58, v49
	v_pk_fma_f16 v98, v54, v98, v51
	v_pk_fma_f16 v61, v54, v55, v61
	v_pk_fma_f16 v59, v54, v99, v59
	v_pk_fma_f16 v63, v54, v56, v63
	v_pk_fma_f16 v96, v54, v100, v96
	v_pk_fma_f16 v97, v54, v57, v97
	v_pk_fma_f16 v95, v54, v101, v95
	v_pk_fma_f16 v99, v54, v58, v52
	ds_read2_b64 v[51:54], v50 offset0:64 offset1:96
	ds_read_b128 v[55:58], v86 offset:160
	s_waitcnt lgkmcnt(0)
	v_mul_u32_u24_sdwa v100, v55, v94 dst_sel:DWORD dst_unused:UNUSED_PAD src0_sel:WORD_0 src1_sel:DWORD
	v_mul_u32_u24_sdwa v55, v55, v94 dst_sel:DWORD dst_unused:UNUSED_PAD src0_sel:WORD_1 src1_sel:DWORD
	v_mul_u32_u24_sdwa v101, v56, v94 dst_sel:DWORD dst_unused:UNUSED_PAD src0_sel:WORD_0 src1_sel:DWORD
	v_mul_u32_u24_sdwa v56, v56, v94 dst_sel:DWORD dst_unused:UNUSED_PAD src0_sel:WORD_1 src1_sel:DWORD
	v_mul_u32_u24_sdwa v106, v57, v94 dst_sel:DWORD dst_unused:UNUSED_PAD src0_sel:WORD_0 src1_sel:DWORD
	v_mul_u32_u24_sdwa v57, v57, v94 dst_sel:DWORD dst_unused:UNUSED_PAD src0_sel:WORD_1 src1_sel:DWORD
	v_mul_u32_u24_sdwa v107, v58, v94 dst_sel:DWORD dst_unused:UNUSED_PAD src0_sel:WORD_0 src1_sel:DWORD
	v_mul_u32_u24_sdwa v58, v58, v94 dst_sel:DWORD dst_unused:UNUSED_PAD src0_sel:WORD_1 src1_sel:DWORD
	v_pk_fma_f16 v102, v51, v100, v102
	v_pk_fma_f16 v64, v51, v55, v64
	v_pk_fma_f16 v62, v51, v101, v62
	v_pk_fma_f16 v60, v51, v56, v60
	v_pk_fma_f16 v105, v51, v106, v105
	v_pk_fma_f16 v103, v51, v57, v103
	v_pk_fma_f16 v104, v51, v107, v104
	v_pk_fma_f16 v49, v51, v58, v49
	v_pk_fma_f16 v51, v52, v100, v98
	v_pk_fma_f16 v61, v52, v55, v61
	v_pk_fma_f16 v59, v52, v101, v59
	v_pk_fma_f16 v63, v52, v56, v63
	v_pk_fma_f16 v96, v52, v106, v96
	v_pk_fma_f16 v97, v52, v57, v97
	v_pk_fma_f16 v95, v52, v107, v95
	v_pk_fma_f16 v52, v52, v58, v99
	ds_read_b128 v[55:58], v86 offset:176
	s_waitcnt lgkmcnt(0)
	v_mul_u32_u24_sdwa v98, v55, v94 dst_sel:DWORD dst_unused:UNUSED_PAD src0_sel:WORD_0 src1_sel:DWORD
	v_mul_u32_u24_sdwa v55, v55, v94 dst_sel:DWORD dst_unused:UNUSED_PAD src0_sel:WORD_1 src1_sel:DWORD
	v_mul_u32_u24_sdwa v99, v56, v94 dst_sel:DWORD dst_unused:UNUSED_PAD src0_sel:WORD_0 src1_sel:DWORD
	v_mul_u32_u24_sdwa v56, v56, v94 dst_sel:DWORD dst_unused:UNUSED_PAD src0_sel:WORD_1 src1_sel:DWORD
	v_mul_u32_u24_sdwa v100, v57, v94 dst_sel:DWORD dst_unused:UNUSED_PAD src0_sel:WORD_0 src1_sel:DWORD
	v_mul_u32_u24_sdwa v57, v57, v94 dst_sel:DWORD dst_unused:UNUSED_PAD src0_sel:WORD_1 src1_sel:DWORD
	v_mul_u32_u24_sdwa v101, v58, v94 dst_sel:DWORD dst_unused:UNUSED_PAD src0_sel:WORD_0 src1_sel:DWORD
	v_mul_u32_u24_sdwa v58, v58, v94 dst_sel:DWORD dst_unused:UNUSED_PAD src0_sel:WORD_1 src1_sel:DWORD
	v_pk_fma_f16 v102, v53, v98, v102
	v_pk_fma_f16 v64, v53, v55, v64
	v_pk_fma_f16 v62, v53, v99, v62
	v_pk_fma_f16 v60, v53, v56, v60
	v_pk_fma_f16 v105, v53, v100, v105
	v_pk_fma_f16 v103, v53, v57, v103
	v_pk_fma_f16 v104, v53, v101, v104
	v_pk_fma_f16 v49, v53, v58, v49
	v_pk_fma_f16 v98, v54, v98, v51
	v_pk_fma_f16 v61, v54, v55, v61
	v_pk_fma_f16 v59, v54, v99, v59
	v_pk_fma_f16 v63, v54, v56, v63
	v_pk_fma_f16 v96, v54, v100, v96
	v_pk_fma_f16 v97, v54, v57, v97
	v_pk_fma_f16 v95, v54, v101, v95
	v_pk_fma_f16 v99, v54, v58, v52
	ds_read2_b64 v[51:54], v50 offset0:128 offset1:160
	;; [unrolled: 53-line block ×3, first 2 shown]
	ds_read_b128 v[55:58], v86 offset:224
	s_waitcnt lgkmcnt(0)
	v_mul_u32_u24_sdwa v100, v55, v94 dst_sel:DWORD dst_unused:UNUSED_PAD src0_sel:WORD_0 src1_sel:DWORD
	v_mul_u32_u24_sdwa v55, v55, v94 dst_sel:DWORD dst_unused:UNUSED_PAD src0_sel:WORD_1 src1_sel:DWORD
	v_mul_u32_u24_sdwa v101, v56, v94 dst_sel:DWORD dst_unused:UNUSED_PAD src0_sel:WORD_0 src1_sel:DWORD
	v_mul_u32_u24_sdwa v56, v56, v94 dst_sel:DWORD dst_unused:UNUSED_PAD src0_sel:WORD_1 src1_sel:DWORD
	v_mul_u32_u24_sdwa v106, v57, v94 dst_sel:DWORD dst_unused:UNUSED_PAD src0_sel:WORD_0 src1_sel:DWORD
	v_mul_u32_u24_sdwa v57, v57, v94 dst_sel:DWORD dst_unused:UNUSED_PAD src0_sel:WORD_1 src1_sel:DWORD
	v_mul_u32_u24_sdwa v107, v58, v94 dst_sel:DWORD dst_unused:UNUSED_PAD src0_sel:WORD_0 src1_sel:DWORD
	v_mul_u32_u24_sdwa v58, v58, v94 dst_sel:DWORD dst_unused:UNUSED_PAD src0_sel:WORD_1 src1_sel:DWORD
	v_pk_fma_f16 v102, v51, v100, v102
	v_pk_fma_f16 v64, v51, v55, v64
	;; [unrolled: 1-line block ×16, first 2 shown]
	ds_read_b128 v[55:58], v86 offset:240
	s_waitcnt lgkmcnt(0)
	v_mul_u32_u24_sdwa v98, v55, v94 dst_sel:DWORD dst_unused:UNUSED_PAD src0_sel:WORD_0 src1_sel:DWORD
	v_mul_u32_u24_sdwa v55, v55, v94 dst_sel:DWORD dst_unused:UNUSED_PAD src0_sel:WORD_1 src1_sel:DWORD
	v_mul_u32_u24_sdwa v99, v56, v94 dst_sel:DWORD dst_unused:UNUSED_PAD src0_sel:WORD_0 src1_sel:DWORD
	v_mul_u32_u24_sdwa v56, v56, v94 dst_sel:DWORD dst_unused:UNUSED_PAD src0_sel:WORD_1 src1_sel:DWORD
	v_mul_u32_u24_sdwa v100, v57, v94 dst_sel:DWORD dst_unused:UNUSED_PAD src0_sel:WORD_0 src1_sel:DWORD
	v_mul_u32_u24_sdwa v57, v57, v94 dst_sel:DWORD dst_unused:UNUSED_PAD src0_sel:WORD_1 src1_sel:DWORD
	v_mul_u32_u24_sdwa v101, v58, v94 dst_sel:DWORD dst_unused:UNUSED_PAD src0_sel:WORD_0 src1_sel:DWORD
	v_mul_u32_u24_sdwa v58, v58, v94 dst_sel:DWORD dst_unused:UNUSED_PAD src0_sel:WORD_1 src1_sel:DWORD
	v_pk_fma_f16 v102, v53, v98, v102
	v_pk_fma_f16 v98, v54, v98, v51
	v_add_nc_u32_e32 v51, 0x1000, v89
	v_pk_fma_f16 v64, v53, v55, v64
	v_pk_fma_f16 v62, v53, v99, v62
	;; [unrolled: 1-line block ×14, first 2 shown]
	ds_read2_b64 v[52:55], v51 offset1:32
	ds_read_b128 v[56:59], v86 offset:256
	s_waitcnt lgkmcnt(0)
	v_mul_u32_u24_sdwa v101, v56, v94 dst_sel:DWORD dst_unused:UNUSED_PAD src0_sel:WORD_0 src1_sel:DWORD
	v_mul_u32_u24_sdwa v56, v56, v94 dst_sel:DWORD dst_unused:UNUSED_PAD src0_sel:WORD_1 src1_sel:DWORD
	v_mul_u32_u24_sdwa v106, v57, v94 dst_sel:DWORD dst_unused:UNUSED_PAD src0_sel:WORD_0 src1_sel:DWORD
	v_mul_u32_u24_sdwa v57, v57, v94 dst_sel:DWORD dst_unused:UNUSED_PAD src0_sel:WORD_1 src1_sel:DWORD
	v_mul_u32_u24_sdwa v107, v58, v94 dst_sel:DWORD dst_unused:UNUSED_PAD src0_sel:WORD_0 src1_sel:DWORD
	v_mul_u32_u24_sdwa v58, v58, v94 dst_sel:DWORD dst_unused:UNUSED_PAD src0_sel:WORD_1 src1_sel:DWORD
	v_mul_u32_u24_sdwa v108, v59, v94 dst_sel:DWORD dst_unused:UNUSED_PAD src0_sel:WORD_0 src1_sel:DWORD
	v_mul_u32_u24_sdwa v59, v59, v94 dst_sel:DWORD dst_unused:UNUSED_PAD src0_sel:WORD_1 src1_sel:DWORD
	v_pk_fma_f16 v102, v52, v101, v102
	v_pk_fma_f16 v64, v52, v56, v64
	v_pk_fma_f16 v62, v52, v106, v62
	v_pk_fma_f16 v60, v52, v57, v60
	v_pk_fma_f16 v105, v52, v107, v105
	v_pk_fma_f16 v103, v52, v58, v103
	v_pk_fma_f16 v104, v52, v108, v104
	v_pk_fma_f16 v49, v52, v59, v49
	v_pk_fma_f16 v52, v53, v101, v98
	v_pk_fma_f16 v61, v53, v56, v61
	v_pk_fma_f16 v98, v53, v106, v99
	v_pk_fma_f16 v63, v53, v57, v63
	v_pk_fma_f16 v96, v53, v107, v96
	v_pk_fma_f16 v97, v53, v58, v97
	v_pk_fma_f16 v95, v53, v108, v95
	v_pk_fma_f16 v53, v53, v59, v100
	ds_read_b128 v[56:59], v86 offset:272
	s_waitcnt lgkmcnt(0)
	v_mul_u32_u24_sdwa v99, v56, v94 dst_sel:DWORD dst_unused:UNUSED_PAD src0_sel:WORD_0 src1_sel:DWORD
	v_mul_u32_u24_sdwa v56, v56, v94 dst_sel:DWORD dst_unused:UNUSED_PAD src0_sel:WORD_1 src1_sel:DWORD
	v_mul_u32_u24_sdwa v100, v57, v94 dst_sel:DWORD dst_unused:UNUSED_PAD src0_sel:WORD_0 src1_sel:DWORD
	v_mul_u32_u24_sdwa v57, v57, v94 dst_sel:DWORD dst_unused:UNUSED_PAD src0_sel:WORD_1 src1_sel:DWORD
	v_mul_u32_u24_sdwa v101, v58, v94 dst_sel:DWORD dst_unused:UNUSED_PAD src0_sel:WORD_0 src1_sel:DWORD
	v_mul_u32_u24_sdwa v58, v58, v94 dst_sel:DWORD dst_unused:UNUSED_PAD src0_sel:WORD_1 src1_sel:DWORD
	v_mul_u32_u24_sdwa v106, v59, v94 dst_sel:DWORD dst_unused:UNUSED_PAD src0_sel:WORD_0 src1_sel:DWORD
	v_mul_u32_u24_sdwa v59, v59, v94 dst_sel:DWORD dst_unused:UNUSED_PAD src0_sel:WORD_1 src1_sel:DWORD
	v_pk_fma_f16 v102, v54, v99, v102
	v_pk_fma_f16 v64, v54, v56, v64
	v_pk_fma_f16 v62, v54, v100, v62
	v_pk_fma_f16 v60, v54, v57, v60
	v_pk_fma_f16 v105, v54, v101, v105
	v_pk_fma_f16 v103, v54, v58, v103
	v_pk_fma_f16 v104, v54, v106, v104
	v_pk_fma_f16 v49, v54, v59, v49
	v_pk_fma_f16 v99, v55, v99, v52
	v_pk_fma_f16 v61, v55, v56, v61
	v_pk_fma_f16 v98, v55, v100, v98
	v_pk_fma_f16 v63, v55, v57, v63
	v_pk_fma_f16 v96, v55, v101, v96
	v_pk_fma_f16 v97, v55, v58, v97
	v_pk_fma_f16 v95, v55, v106, v95
	v_pk_fma_f16 v100, v55, v59, v53
	ds_read2_b64 v[52:55], v51 offset0:64 offset1:96
	ds_read_b128 v[56:59], v86 offset:288
	s_waitcnt lgkmcnt(0)
	v_mul_u32_u24_sdwa v101, v56, v94 dst_sel:DWORD dst_unused:UNUSED_PAD src0_sel:WORD_0 src1_sel:DWORD
	v_mul_u32_u24_sdwa v56, v56, v94 dst_sel:DWORD dst_unused:UNUSED_PAD src0_sel:WORD_1 src1_sel:DWORD
	v_mul_u32_u24_sdwa v106, v57, v94 dst_sel:DWORD dst_unused:UNUSED_PAD src0_sel:WORD_0 src1_sel:DWORD
	v_mul_u32_u24_sdwa v57, v57, v94 dst_sel:DWORD dst_unused:UNUSED_PAD src0_sel:WORD_1 src1_sel:DWORD
	v_mul_u32_u24_sdwa v107, v58, v94 dst_sel:DWORD dst_unused:UNUSED_PAD src0_sel:WORD_0 src1_sel:DWORD
	v_mul_u32_u24_sdwa v58, v58, v94 dst_sel:DWORD dst_unused:UNUSED_PAD src0_sel:WORD_1 src1_sel:DWORD
	v_mul_u32_u24_sdwa v108, v59, v94 dst_sel:DWORD dst_unused:UNUSED_PAD src0_sel:WORD_0 src1_sel:DWORD
	v_mul_u32_u24_sdwa v59, v59, v94 dst_sel:DWORD dst_unused:UNUSED_PAD src0_sel:WORD_1 src1_sel:DWORD
	v_pk_fma_f16 v102, v52, v101, v102
	v_pk_fma_f16 v64, v52, v56, v64
	v_pk_fma_f16 v62, v52, v106, v62
	v_pk_fma_f16 v60, v52, v57, v60
	v_pk_fma_f16 v105, v52, v107, v105
	v_pk_fma_f16 v103, v52, v58, v103
	v_pk_fma_f16 v104, v52, v108, v104
	v_pk_fma_f16 v49, v52, v59, v49
	v_pk_fma_f16 v52, v53, v101, v99
	v_pk_fma_f16 v61, v53, v56, v61
	v_pk_fma_f16 v98, v53, v106, v98
	v_pk_fma_f16 v63, v53, v57, v63
	v_pk_fma_f16 v96, v53, v107, v96
	v_pk_fma_f16 v97, v53, v58, v97
	v_pk_fma_f16 v95, v53, v108, v95
	v_pk_fma_f16 v53, v53, v59, v100
	ds_read_b128 v[56:59], v86 offset:304
	s_waitcnt lgkmcnt(0)
	v_mul_u32_u24_sdwa v99, v56, v94 dst_sel:DWORD dst_unused:UNUSED_PAD src0_sel:WORD_0 src1_sel:DWORD
	v_mul_u32_u24_sdwa v56, v56, v94 dst_sel:DWORD dst_unused:UNUSED_PAD src0_sel:WORD_1 src1_sel:DWORD
	v_mul_u32_u24_sdwa v100, v57, v94 dst_sel:DWORD dst_unused:UNUSED_PAD src0_sel:WORD_0 src1_sel:DWORD
	v_mul_u32_u24_sdwa v57, v57, v94 dst_sel:DWORD dst_unused:UNUSED_PAD src0_sel:WORD_1 src1_sel:DWORD
	v_mul_u32_u24_sdwa v101, v58, v94 dst_sel:DWORD dst_unused:UNUSED_PAD src0_sel:WORD_0 src1_sel:DWORD
	v_mul_u32_u24_sdwa v58, v58, v94 dst_sel:DWORD dst_unused:UNUSED_PAD src0_sel:WORD_1 src1_sel:DWORD
	v_mul_u32_u24_sdwa v106, v59, v94 dst_sel:DWORD dst_unused:UNUSED_PAD src0_sel:WORD_0 src1_sel:DWORD
	v_mul_u32_u24_sdwa v59, v59, v94 dst_sel:DWORD dst_unused:UNUSED_PAD src0_sel:WORD_1 src1_sel:DWORD
	v_pk_fma_f16 v102, v54, v99, v102
	v_pk_fma_f16 v64, v54, v56, v64
	v_pk_fma_f16 v62, v54, v100, v62
	v_pk_fma_f16 v60, v54, v57, v60
	v_pk_fma_f16 v105, v54, v101, v105
	v_pk_fma_f16 v103, v54, v58, v103
	v_pk_fma_f16 v104, v54, v106, v104
	v_pk_fma_f16 v49, v54, v59, v49
	v_pk_fma_f16 v99, v55, v99, v52
	v_pk_fma_f16 v61, v55, v56, v61
	v_pk_fma_f16 v98, v55, v100, v98
	v_pk_fma_f16 v63, v55, v57, v63
	v_pk_fma_f16 v96, v55, v101, v96
	v_pk_fma_f16 v97, v55, v58, v97
	v_pk_fma_f16 v95, v55, v106, v95
	v_pk_fma_f16 v100, v55, v59, v53
	ds_read2_b64 v[52:55], v51 offset0:128 offset1:160
	;; [unrolled: 53-line block ×3, first 2 shown]
	ds_read_b128 v[56:59], v86 offset:352
	s_waitcnt lgkmcnt(0)
	v_mul_u32_u24_sdwa v101, v56, v94 dst_sel:DWORD dst_unused:UNUSED_PAD src0_sel:WORD_0 src1_sel:DWORD
	v_mul_u32_u24_sdwa v56, v56, v94 dst_sel:DWORD dst_unused:UNUSED_PAD src0_sel:WORD_1 src1_sel:DWORD
	v_mul_u32_u24_sdwa v106, v57, v94 dst_sel:DWORD dst_unused:UNUSED_PAD src0_sel:WORD_0 src1_sel:DWORD
	v_mul_u32_u24_sdwa v57, v57, v94 dst_sel:DWORD dst_unused:UNUSED_PAD src0_sel:WORD_1 src1_sel:DWORD
	;; [unrolled: 2-line block ×4, first 2 shown]
	v_pk_fma_f16 v102, v52, v101, v102
	v_pk_fma_f16 v64, v52, v56, v64
	;; [unrolled: 1-line block ×16, first 2 shown]
	ds_read_b128 v[56:59], v86 offset:368
	s_waitcnt lgkmcnt(0)
	v_mul_u32_u24_sdwa v106, v59, v94 dst_sel:DWORD dst_unused:UNUSED_PAD src0_sel:WORD_0 src1_sel:DWORD
	v_mul_u32_u24_sdwa v59, v59, v94 dst_sel:DWORD dst_unused:UNUSED_PAD src0_sel:WORD_1 src1_sel:DWORD
	v_mul_u32_u24_sdwa v99, v56, v94 dst_sel:DWORD dst_unused:UNUSED_PAD src0_sel:WORD_0 src1_sel:DWORD
	v_mul_u32_u24_sdwa v56, v56, v94 dst_sel:DWORD dst_unused:UNUSED_PAD src0_sel:WORD_1 src1_sel:DWORD
	;; [unrolled: 2-line block ×4, first 2 shown]
	v_pk_fma_f16 v107, v54, v59, v49
	v_add_nc_u32_e32 v49, 0x1800, v89
	v_pk_fma_f16 v102, v54, v99, v102
	v_pk_fma_f16 v64, v54, v56, v64
	;; [unrolled: 1-line block ×15, first 2 shown]
	ds_read2_b64 v[52:55], v49 offset1:32
	ds_read_b128 v[56:59], v86 offset:384
	s_waitcnt lgkmcnt(0)
	v_mul_u32_u24_sdwa v101, v56, v94 dst_sel:DWORD dst_unused:UNUSED_PAD src0_sel:WORD_0 src1_sel:DWORD
	v_mul_u32_u24_sdwa v56, v56, v94 dst_sel:DWORD dst_unused:UNUSED_PAD src0_sel:WORD_1 src1_sel:DWORD
	v_mul_u32_u24_sdwa v106, v57, v94 dst_sel:DWORD dst_unused:UNUSED_PAD src0_sel:WORD_0 src1_sel:DWORD
	v_mul_u32_u24_sdwa v57, v57, v94 dst_sel:DWORD dst_unused:UNUSED_PAD src0_sel:WORD_1 src1_sel:DWORD
	v_mul_u32_u24_sdwa v108, v58, v94 dst_sel:DWORD dst_unused:UNUSED_PAD src0_sel:WORD_0 src1_sel:DWORD
	v_mul_u32_u24_sdwa v58, v58, v94 dst_sel:DWORD dst_unused:UNUSED_PAD src0_sel:WORD_1 src1_sel:DWORD
	v_mul_u32_u24_sdwa v109, v59, v94 dst_sel:DWORD dst_unused:UNUSED_PAD src0_sel:WORD_0 src1_sel:DWORD
	v_mul_u32_u24_sdwa v59, v59, v94 dst_sel:DWORD dst_unused:UNUSED_PAD src0_sel:WORD_1 src1_sel:DWORD
	v_pk_fma_f16 v102, v52, v101, v102
	v_pk_fma_f16 v64, v52, v56, v64
	v_pk_fma_f16 v62, v52, v106, v62
	v_pk_fma_f16 v60, v52, v57, v60
	v_pk_fma_f16 v105, v52, v108, v105
	v_pk_fma_f16 v103, v52, v58, v103
	v_pk_fma_f16 v104, v52, v109, v104
	v_pk_fma_f16 v52, v52, v59, v107
	v_pk_fma_f16 v99, v53, v101, v99
	v_pk_fma_f16 v61, v53, v56, v61
	v_pk_fma_f16 v98, v53, v106, v98
	v_pk_fma_f16 v63, v53, v57, v63
	v_pk_fma_f16 v96, v53, v108, v96
	v_pk_fma_f16 v97, v53, v58, v97
	v_pk_fma_f16 v95, v53, v109, v95
	v_pk_fma_f16 v53, v53, v59, v100
	ds_read_b128 v[56:59], v86 offset:400
	s_waitcnt lgkmcnt(0)
	v_mul_u32_u24_sdwa v100, v56, v94 dst_sel:DWORD dst_unused:UNUSED_PAD src0_sel:WORD_0 src1_sel:DWORD
	v_mul_u32_u24_sdwa v56, v56, v94 dst_sel:DWORD dst_unused:UNUSED_PAD src0_sel:WORD_1 src1_sel:DWORD
	v_mul_u32_u24_sdwa v101, v57, v94 dst_sel:DWORD dst_unused:UNUSED_PAD src0_sel:WORD_0 src1_sel:DWORD
	v_mul_u32_u24_sdwa v57, v57, v94 dst_sel:DWORD dst_unused:UNUSED_PAD src0_sel:WORD_1 src1_sel:DWORD
	v_mul_u32_u24_sdwa v106, v58, v94 dst_sel:DWORD dst_unused:UNUSED_PAD src0_sel:WORD_0 src1_sel:DWORD
	v_mul_u32_u24_sdwa v58, v58, v94 dst_sel:DWORD dst_unused:UNUSED_PAD src0_sel:WORD_1 src1_sel:DWORD
	v_mul_u32_u24_sdwa v107, v59, v94 dst_sel:DWORD dst_unused:UNUSED_PAD src0_sel:WORD_0 src1_sel:DWORD
	v_mul_u32_u24_sdwa v59, v59, v94 dst_sel:DWORD dst_unused:UNUSED_PAD src0_sel:WORD_1 src1_sel:DWORD
	v_pk_fma_f16 v102, v54, v100, v102
	v_pk_fma_f16 v64, v54, v56, v64
	v_pk_fma_f16 v62, v54, v101, v62
	v_pk_fma_f16 v60, v54, v57, v60
	v_pk_fma_f16 v105, v54, v106, v105
	v_pk_fma_f16 v103, v54, v58, v103
	v_pk_fma_f16 v104, v54, v107, v104
	v_pk_fma_f16 v108, v54, v59, v52
	v_pk_fma_f16 v99, v55, v100, v99
	v_pk_fma_f16 v61, v55, v56, v61
	v_pk_fma_f16 v98, v55, v101, v98
	v_pk_fma_f16 v63, v55, v57, v63
	v_pk_fma_f16 v96, v55, v106, v96
	v_pk_fma_f16 v97, v55, v58, v97
	v_pk_fma_f16 v95, v55, v107, v95
	v_pk_fma_f16 v100, v55, v59, v53
	ds_read2_b64 v[52:55], v49 offset0:64 offset1:96
	ds_read_b128 v[56:59], v86 offset:416
	s_waitcnt lgkmcnt(0)
	v_mul_u32_u24_sdwa v101, v56, v94 dst_sel:DWORD dst_unused:UNUSED_PAD src0_sel:WORD_0 src1_sel:DWORD
	v_mul_u32_u24_sdwa v56, v56, v94 dst_sel:DWORD dst_unused:UNUSED_PAD src0_sel:WORD_1 src1_sel:DWORD
	v_mul_u32_u24_sdwa v106, v57, v94 dst_sel:DWORD dst_unused:UNUSED_PAD src0_sel:WORD_0 src1_sel:DWORD
	v_mul_u32_u24_sdwa v57, v57, v94 dst_sel:DWORD dst_unused:UNUSED_PAD src0_sel:WORD_1 src1_sel:DWORD
	v_mul_u32_u24_sdwa v107, v58, v94 dst_sel:DWORD dst_unused:UNUSED_PAD src0_sel:WORD_0 src1_sel:DWORD
	v_mul_u32_u24_sdwa v58, v58, v94 dst_sel:DWORD dst_unused:UNUSED_PAD src0_sel:WORD_1 src1_sel:DWORD
	v_mul_u32_u24_sdwa v109, v59, v94 dst_sel:DWORD dst_unused:UNUSED_PAD src0_sel:WORD_0 src1_sel:DWORD
	v_mul_u32_u24_sdwa v59, v59, v94 dst_sel:DWORD dst_unused:UNUSED_PAD src0_sel:WORD_1 src1_sel:DWORD
	v_pk_fma_f16 v102, v52, v101, v102
	v_pk_fma_f16 v64, v52, v56, v64
	v_pk_fma_f16 v62, v52, v106, v62
	v_pk_fma_f16 v60, v52, v57, v60
	v_pk_fma_f16 v105, v52, v107, v105
	v_pk_fma_f16 v103, v52, v58, v103
	v_pk_fma_f16 v104, v52, v109, v104
	v_pk_fma_f16 v52, v52, v59, v108
	v_pk_fma_f16 v99, v53, v101, v99
	v_pk_fma_f16 v61, v53, v56, v61
	v_pk_fma_f16 v98, v53, v106, v98
	v_pk_fma_f16 v63, v53, v57, v63
	v_pk_fma_f16 v96, v53, v107, v96
	v_pk_fma_f16 v97, v53, v58, v97
	v_pk_fma_f16 v95, v53, v109, v95
	v_pk_fma_f16 v53, v53, v59, v100
	ds_read_b128 v[56:59], v86 offset:432
	s_waitcnt lgkmcnt(0)
	v_mul_u32_u24_sdwa v100, v56, v94 dst_sel:DWORD dst_unused:UNUSED_PAD src0_sel:WORD_0 src1_sel:DWORD
	v_mul_u32_u24_sdwa v56, v56, v94 dst_sel:DWORD dst_unused:UNUSED_PAD src0_sel:WORD_1 src1_sel:DWORD
	v_mul_u32_u24_sdwa v101, v57, v94 dst_sel:DWORD dst_unused:UNUSED_PAD src0_sel:WORD_0 src1_sel:DWORD
	v_mul_u32_u24_sdwa v57, v57, v94 dst_sel:DWORD dst_unused:UNUSED_PAD src0_sel:WORD_1 src1_sel:DWORD
	v_mul_u32_u24_sdwa v106, v58, v94 dst_sel:DWORD dst_unused:UNUSED_PAD src0_sel:WORD_0 src1_sel:DWORD
	v_mul_u32_u24_sdwa v58, v58, v94 dst_sel:DWORD dst_unused:UNUSED_PAD src0_sel:WORD_1 src1_sel:DWORD
	v_mul_u32_u24_sdwa v107, v59, v94 dst_sel:DWORD dst_unused:UNUSED_PAD src0_sel:WORD_0 src1_sel:DWORD
	v_mul_u32_u24_sdwa v59, v59, v94 dst_sel:DWORD dst_unused:UNUSED_PAD src0_sel:WORD_1 src1_sel:DWORD
	v_pk_fma_f16 v102, v54, v100, v102
	v_pk_fma_f16 v64, v54, v56, v64
	v_pk_fma_f16 v62, v54, v101, v62
	v_pk_fma_f16 v60, v54, v57, v60
	v_pk_fma_f16 v105, v54, v106, v105
	v_pk_fma_f16 v103, v54, v58, v103
	v_pk_fma_f16 v104, v54, v107, v104
	v_pk_fma_f16 v108, v54, v59, v52
	v_pk_fma_f16 v99, v55, v100, v99
	v_pk_fma_f16 v61, v55, v56, v61
	v_pk_fma_f16 v98, v55, v101, v98
	v_pk_fma_f16 v63, v55, v57, v63
	v_pk_fma_f16 v96, v55, v106, v96
	v_pk_fma_f16 v97, v55, v58, v97
	v_pk_fma_f16 v95, v55, v107, v95
	v_pk_fma_f16 v100, v55, v59, v53
	ds_read2_b64 v[52:55], v49 offset0:128 offset1:160
	;; [unrolled: 53-line block ×3, first 2 shown]
	ds_read_b128 v[52:55], v86 offset:480
	s_waitcnt lgkmcnt(0)
	v_mul_u32_u24_sdwa v101, v52, v94 dst_sel:DWORD dst_unused:UNUSED_PAD src0_sel:WORD_0 src1_sel:DWORD
	v_mul_u32_u24_sdwa v52, v52, v94 dst_sel:DWORD dst_unused:UNUSED_PAD src0_sel:WORD_1 src1_sel:DWORD
	v_mul_u32_u24_sdwa v106, v53, v94 dst_sel:DWORD dst_unused:UNUSED_PAD src0_sel:WORD_0 src1_sel:DWORD
	v_mul_u32_u24_sdwa v53, v53, v94 dst_sel:DWORD dst_unused:UNUSED_PAD src0_sel:WORD_1 src1_sel:DWORD
	;; [unrolled: 2-line block ×4, first 2 shown]
	v_pk_fma_f16 v102, v95, v101, v102
	v_pk_fma_f16 v64, v95, v52, v64
	;; [unrolled: 1-line block ×14, first 2 shown]
	ds_read_b128 v[52:55], v86 offset:496
	v_pk_fma_f16 v106, v96, v106, v61
	v_pk_fma_f16 v107, v96, v107, v63
	s_waitcnt lgkmcnt(0)
	s_barrier
	buffer_gl0_inv
	v_mul_u32_u24_sdwa v61, v52, v94 dst_sel:DWORD dst_unused:UNUSED_PAD src0_sel:WORD_0 src1_sel:DWORD
	v_mul_u32_u24_sdwa v63, v52, v94 dst_sel:DWORD dst_unused:UNUSED_PAD src0_sel:WORD_1 src1_sel:DWORD
	v_mul_u32_u24_sdwa v96, v53, v94 dst_sel:DWORD dst_unused:UNUSED_PAD src0_sel:WORD_0 src1_sel:DWORD
	v_mul_u32_u24_sdwa v111, v53, v94 dst_sel:DWORD dst_unused:UNUSED_PAD src0_sel:WORD_1 src1_sel:DWORD
	;; [unrolled: 2-line block ×4, first 2 shown]
	v_pk_fma_f16 v52, v97, v61, v102
	v_pk_fma_f16 v53, v97, v63, v64
	;; [unrolled: 1-line block ×16, first 2 shown]
	v_add_co_u32 v98, vcc_lo, s17, v14
	v_add_co_ci_u32_e64 v99, null, s35, v15, vcc_lo
	v_add_co_u32 v98, vcc_lo, v98, v92
	v_add_co_ci_u32_e64 v99, null, 0, v99, vcc_lo
	global_load_dwordx4 v[98:101], v[98:99], off
	s_waitcnt vmcnt(0)
	ds_write_b128 v87, v[98:101]
	v_add_co_u32 v98, vcc_lo, s17, v16
	v_add_co_ci_u32_e64 v99, null, s35, v17, vcc_lo
	v_add_co_u32 v98, vcc_lo, v98, v92
	v_add_co_ci_u32_e64 v99, null, 0, v99, vcc_lo
	global_load_dwordx4 v[98:101], v[98:99], off
	s_waitcnt vmcnt(0)
	ds_write_b128 v88, v[98:101]
	s_waitcnt lgkmcnt(0)
	s_barrier
	buffer_gl0_inv
	ds_read2_b64 v[98:101], v89 offset1:32
	ds_read_b128 v[102:105], v86 offset:512
	ds_read_b128 v[106:109], v86 offset:528
	;; [unrolled: 1-line block ×4, first 2 shown]
	s_waitcnt lgkmcnt(3)
	v_mul_u32_u24_sdwa v118, v102, v94 dst_sel:DWORD dst_unused:UNUSED_PAD src0_sel:WORD_0 src1_sel:DWORD
	v_mul_u32_u24_sdwa v102, v102, v94 dst_sel:DWORD dst_unused:UNUSED_PAD src0_sel:WORD_1 src1_sel:DWORD
	v_mul_u32_u24_sdwa v119, v103, v94 dst_sel:DWORD dst_unused:UNUSED_PAD src0_sel:WORD_0 src1_sel:DWORD
	v_mul_u32_u24_sdwa v103, v103, v94 dst_sel:DWORD dst_unused:UNUSED_PAD src0_sel:WORD_1 src1_sel:DWORD
	;; [unrolled: 2-line block ×4, first 2 shown]
	v_pk_fma_f16 v52, v98, v118, v52
	v_pk_fma_f16 v53, v98, v102, v53
	;; [unrolled: 1-line block ×16, first 2 shown]
	s_waitcnt lgkmcnt(2)
	v_mul_u32_u24_sdwa v98, v106, v94 dst_sel:DWORD dst_unused:UNUSED_PAD src0_sel:WORD_0 src1_sel:DWORD
	v_mul_u32_u24_sdwa v99, v106, v94 dst_sel:DWORD dst_unused:UNUSED_PAD src0_sel:WORD_1 src1_sel:DWORD
	v_mul_u32_u24_sdwa v102, v107, v94 dst_sel:DWORD dst_unused:UNUSED_PAD src0_sel:WORD_0 src1_sel:DWORD
	v_mul_u32_u24_sdwa v103, v107, v94 dst_sel:DWORD dst_unused:UNUSED_PAD src0_sel:WORD_1 src1_sel:DWORD
	;; [unrolled: 2-line block ×4, first 2 shown]
	v_pk_fma_f16 v108, v100, v98, v52
	v_pk_fma_f16 v109, v100, v99, v53
	;; [unrolled: 1-line block ×4, first 2 shown]
	ds_read2_b64 v[52:55], v89 offset0:64 offset1:96
	v_pk_fma_f16 v56, v100, v104, v56
	v_pk_fma_f16 v57, v100, v105, v57
	;; [unrolled: 1-line block ×12, first 2 shown]
	s_waitcnt lgkmcnt(2)
	v_mul_u32_u24_sdwa v98, v110, v94 dst_sel:DWORD dst_unused:UNUSED_PAD src0_sel:WORD_0 src1_sel:DWORD
	v_mul_u32_u24_sdwa v99, v110, v94 dst_sel:DWORD dst_unused:UNUSED_PAD src0_sel:WORD_1 src1_sel:DWORD
	v_mul_u32_u24_sdwa v100, v111, v94 dst_sel:DWORD dst_unused:UNUSED_PAD src0_sel:WORD_0 src1_sel:DWORD
	v_mul_u32_u24_sdwa v101, v111, v94 dst_sel:DWORD dst_unused:UNUSED_PAD src0_sel:WORD_1 src1_sel:DWORD
	;; [unrolled: 2-line block ×4, first 2 shown]
	s_waitcnt lgkmcnt(0)
	v_pk_fma_f16 v106, v52, v98, v108
	v_pk_fma_f16 v107, v52, v99, v109
	v_pk_fma_f16 v108, v52, v100, v118
	v_pk_fma_f16 v109, v52, v101, v119
	v_pk_fma_f16 v56, v52, v102, v56
	v_pk_fma_f16 v57, v52, v103, v57
	v_pk_fma_f16 v58, v52, v104, v58
	v_pk_fma_f16 v52, v52, v105, v59
	v_pk_fma_f16 v59, v53, v98, v60
	v_pk_fma_f16 v60, v53, v99, v61
	v_pk_fma_f16 v61, v53, v100, v62
	v_pk_fma_f16 v62, v53, v101, v63
	v_pk_fma_f16 v63, v53, v102, v64
	v_pk_fma_f16 v64, v53, v103, v95
	v_pk_fma_f16 v95, v53, v104, v96
	v_pk_fma_f16 v53, v53, v105, v97
	v_mul_u32_u24_sdwa v96, v114, v94 dst_sel:DWORD dst_unused:UNUSED_PAD src0_sel:WORD_0 src1_sel:DWORD
	v_mul_u32_u24_sdwa v97, v114, v94 dst_sel:DWORD dst_unused:UNUSED_PAD src0_sel:WORD_1 src1_sel:DWORD
	v_mul_u32_u24_sdwa v98, v115, v94 dst_sel:DWORD dst_unused:UNUSED_PAD src0_sel:WORD_0 src1_sel:DWORD
	v_mul_u32_u24_sdwa v99, v115, v94 dst_sel:DWORD dst_unused:UNUSED_PAD src0_sel:WORD_1 src1_sel:DWORD
	;; [unrolled: 2-line block ×4, first 2 shown]
	v_pk_fma_f16 v104, v54, v96, v106
	v_pk_fma_f16 v105, v54, v97, v107
	;; [unrolled: 1-line block ×16, first 2 shown]
	ds_read2_b64 v[52:55], v89 offset0:128 offset1:160
	ds_read_b128 v[56:59], v86 offset:576
	s_waitcnt lgkmcnt(0)
	v_mul_u32_u24_sdwa v98, v56, v94 dst_sel:DWORD dst_unused:UNUSED_PAD src0_sel:WORD_0 src1_sel:DWORD
	v_mul_u32_u24_sdwa v56, v56, v94 dst_sel:DWORD dst_unused:UNUSED_PAD src0_sel:WORD_1 src1_sel:DWORD
	v_mul_u32_u24_sdwa v99, v57, v94 dst_sel:DWORD dst_unused:UNUSED_PAD src0_sel:WORD_0 src1_sel:DWORD
	v_mul_u32_u24_sdwa v57, v57, v94 dst_sel:DWORD dst_unused:UNUSED_PAD src0_sel:WORD_1 src1_sel:DWORD
	;; [unrolled: 2-line block ×4, first 2 shown]
	v_pk_fma_f16 v102, v52, v98, v104
	v_pk_fma_f16 v103, v52, v56, v105
	;; [unrolled: 1-line block ×16, first 2 shown]
	ds_read_b128 v[56:59], v86 offset:592
	s_waitcnt lgkmcnt(0)
	v_mul_u32_u24_sdwa v97, v56, v94 dst_sel:DWORD dst_unused:UNUSED_PAD src0_sel:WORD_0 src1_sel:DWORD
	v_mul_u32_u24_sdwa v56, v56, v94 dst_sel:DWORD dst_unused:UNUSED_PAD src0_sel:WORD_1 src1_sel:DWORD
	v_mul_u32_u24_sdwa v98, v57, v94 dst_sel:DWORD dst_unused:UNUSED_PAD src0_sel:WORD_0 src1_sel:DWORD
	v_mul_u32_u24_sdwa v57, v57, v94 dst_sel:DWORD dst_unused:UNUSED_PAD src0_sel:WORD_1 src1_sel:DWORD
	;; [unrolled: 2-line block ×4, first 2 shown]
	v_pk_fma_f16 v101, v54, v97, v102
	v_pk_fma_f16 v102, v54, v56, v103
	;; [unrolled: 1-line block ×16, first 2 shown]
	ds_read2_b64 v[52:55], v89 offset0:192 offset1:224
	ds_read_b128 v[56:59], v86 offset:608
	s_waitcnt lgkmcnt(0)
	v_mul_u32_u24_sdwa v98, v56, v94 dst_sel:DWORD dst_unused:UNUSED_PAD src0_sel:WORD_0 src1_sel:DWORD
	v_mul_u32_u24_sdwa v56, v56, v94 dst_sel:DWORD dst_unused:UNUSED_PAD src0_sel:WORD_1 src1_sel:DWORD
	v_mul_u32_u24_sdwa v99, v57, v94 dst_sel:DWORD dst_unused:UNUSED_PAD src0_sel:WORD_0 src1_sel:DWORD
	v_mul_u32_u24_sdwa v57, v57, v94 dst_sel:DWORD dst_unused:UNUSED_PAD src0_sel:WORD_1 src1_sel:DWORD
	;; [unrolled: 2-line block ×4, first 2 shown]
	v_pk_fma_f16 v101, v52, v98, v101
	v_pk_fma_f16 v102, v52, v56, v102
	;; [unrolled: 1-line block ×16, first 2 shown]
	ds_read_b128 v[56:59], v86 offset:624
	s_waitcnt lgkmcnt(0)
	v_mul_u32_u24_sdwa v97, v56, v94 dst_sel:DWORD dst_unused:UNUSED_PAD src0_sel:WORD_0 src1_sel:DWORD
	v_mul_u32_u24_sdwa v56, v56, v94 dst_sel:DWORD dst_unused:UNUSED_PAD src0_sel:WORD_1 src1_sel:DWORD
	v_mul_u32_u24_sdwa v98, v57, v94 dst_sel:DWORD dst_unused:UNUSED_PAD src0_sel:WORD_0 src1_sel:DWORD
	v_mul_u32_u24_sdwa v57, v57, v94 dst_sel:DWORD dst_unused:UNUSED_PAD src0_sel:WORD_1 src1_sel:DWORD
	;; [unrolled: 2-line block ×4, first 2 shown]
	v_pk_fma_f16 v101, v54, v97, v101
	v_pk_fma_f16 v102, v54, v56, v102
	;; [unrolled: 1-line block ×16, first 2 shown]
	ds_read2_b64 v[52:55], v50 offset1:32
	ds_read_b128 v[56:59], v86 offset:640
	s_waitcnt lgkmcnt(0)
	v_mul_u32_u24_sdwa v98, v56, v94 dst_sel:DWORD dst_unused:UNUSED_PAD src0_sel:WORD_0 src1_sel:DWORD
	v_mul_u32_u24_sdwa v56, v56, v94 dst_sel:DWORD dst_unused:UNUSED_PAD src0_sel:WORD_1 src1_sel:DWORD
	v_mul_u32_u24_sdwa v99, v57, v94 dst_sel:DWORD dst_unused:UNUSED_PAD src0_sel:WORD_0 src1_sel:DWORD
	v_mul_u32_u24_sdwa v57, v57, v94 dst_sel:DWORD dst_unused:UNUSED_PAD src0_sel:WORD_1 src1_sel:DWORD
	v_mul_u32_u24_sdwa v100, v58, v94 dst_sel:DWORD dst_unused:UNUSED_PAD src0_sel:WORD_0 src1_sel:DWORD
	v_mul_u32_u24_sdwa v58, v58, v94 dst_sel:DWORD dst_unused:UNUSED_PAD src0_sel:WORD_1 src1_sel:DWORD
	v_mul_u32_u24_sdwa v109, v59, v94 dst_sel:DWORD dst_unused:UNUSED_PAD src0_sel:WORD_0 src1_sel:DWORD
	v_mul_u32_u24_sdwa v59, v59, v94 dst_sel:DWORD dst_unused:UNUSED_PAD src0_sel:WORD_1 src1_sel:DWORD
	v_pk_fma_f16 v101, v52, v98, v101
	v_pk_fma_f16 v102, v52, v56, v102
	v_pk_fma_f16 v103, v52, v99, v103
	v_pk_fma_f16 v104, v52, v57, v104
	v_pk_fma_f16 v105, v52, v100, v105
	v_pk_fma_f16 v106, v52, v58, v106
	v_pk_fma_f16 v107, v52, v109, v107
	v_pk_fma_f16 v52, v52, v59, v108
	v_pk_fma_f16 v96, v53, v98, v96
	v_pk_fma_f16 v60, v53, v56, v60
	v_pk_fma_f16 v61, v53, v99, v61
	v_pk_fma_f16 v62, v53, v57, v62
	v_pk_fma_f16 v63, v53, v100, v63
	v_pk_fma_f16 v64, v53, v58, v64
	v_pk_fma_f16 v95, v53, v109, v95
	v_pk_fma_f16 v53, v53, v59, v97
	ds_read_b128 v[56:59], v86 offset:656
	s_waitcnt lgkmcnt(0)
	v_mul_u32_u24_sdwa v97, v56, v94 dst_sel:DWORD dst_unused:UNUSED_PAD src0_sel:WORD_0 src1_sel:DWORD
	v_mul_u32_u24_sdwa v56, v56, v94 dst_sel:DWORD dst_unused:UNUSED_PAD src0_sel:WORD_1 src1_sel:DWORD
	v_mul_u32_u24_sdwa v98, v57, v94 dst_sel:DWORD dst_unused:UNUSED_PAD src0_sel:WORD_0 src1_sel:DWORD
	v_mul_u32_u24_sdwa v57, v57, v94 dst_sel:DWORD dst_unused:UNUSED_PAD src0_sel:WORD_1 src1_sel:DWORD
	v_mul_u32_u24_sdwa v99, v58, v94 dst_sel:DWORD dst_unused:UNUSED_PAD src0_sel:WORD_0 src1_sel:DWORD
	v_mul_u32_u24_sdwa v58, v58, v94 dst_sel:DWORD dst_unused:UNUSED_PAD src0_sel:WORD_1 src1_sel:DWORD
	v_mul_u32_u24_sdwa v100, v59, v94 dst_sel:DWORD dst_unused:UNUSED_PAD src0_sel:WORD_0 src1_sel:DWORD
	v_mul_u32_u24_sdwa v59, v59, v94 dst_sel:DWORD dst_unused:UNUSED_PAD src0_sel:WORD_1 src1_sel:DWORD
	v_pk_fma_f16 v101, v54, v97, v101
	v_pk_fma_f16 v102, v54, v56, v102
	v_pk_fma_f16 v103, v54, v98, v103
	v_pk_fma_f16 v104, v54, v57, v104
	v_pk_fma_f16 v105, v54, v99, v105
	v_pk_fma_f16 v106, v54, v58, v106
	v_pk_fma_f16 v107, v54, v100, v107
	v_pk_fma_f16 v108, v54, v59, v52
	v_pk_fma_f16 v96, v55, v97, v96
	v_pk_fma_f16 v60, v55, v56, v60
	v_pk_fma_f16 v61, v55, v98, v61
	v_pk_fma_f16 v62, v55, v57, v62
	v_pk_fma_f16 v63, v55, v99, v63
	v_pk_fma_f16 v64, v55, v58, v64
	v_pk_fma_f16 v95, v55, v100, v95
	v_pk_fma_f16 v97, v55, v59, v53
	ds_read2_b64 v[52:55], v50 offset0:64 offset1:96
	ds_read_b128 v[56:59], v86 offset:672
	s_waitcnt lgkmcnt(0)
	v_mul_u32_u24_sdwa v98, v56, v94 dst_sel:DWORD dst_unused:UNUSED_PAD src0_sel:WORD_0 src1_sel:DWORD
	v_mul_u32_u24_sdwa v56, v56, v94 dst_sel:DWORD dst_unused:UNUSED_PAD src0_sel:WORD_1 src1_sel:DWORD
	v_mul_u32_u24_sdwa v99, v57, v94 dst_sel:DWORD dst_unused:UNUSED_PAD src0_sel:WORD_0 src1_sel:DWORD
	v_mul_u32_u24_sdwa v57, v57, v94 dst_sel:DWORD dst_unused:UNUSED_PAD src0_sel:WORD_1 src1_sel:DWORD
	v_mul_u32_u24_sdwa v100, v58, v94 dst_sel:DWORD dst_unused:UNUSED_PAD src0_sel:WORD_0 src1_sel:DWORD
	v_mul_u32_u24_sdwa v58, v58, v94 dst_sel:DWORD dst_unused:UNUSED_PAD src0_sel:WORD_1 src1_sel:DWORD
	v_mul_u32_u24_sdwa v109, v59, v94 dst_sel:DWORD dst_unused:UNUSED_PAD src0_sel:WORD_0 src1_sel:DWORD
	v_mul_u32_u24_sdwa v59, v59, v94 dst_sel:DWORD dst_unused:UNUSED_PAD src0_sel:WORD_1 src1_sel:DWORD
	v_pk_fma_f16 v101, v52, v98, v101
	v_pk_fma_f16 v102, v52, v56, v102
	v_pk_fma_f16 v103, v52, v99, v103
	v_pk_fma_f16 v104, v52, v57, v104
	v_pk_fma_f16 v105, v52, v100, v105
	v_pk_fma_f16 v106, v52, v58, v106
	v_pk_fma_f16 v107, v52, v109, v107
	v_pk_fma_f16 v52, v52, v59, v108
	v_pk_fma_f16 v96, v53, v98, v96
	v_pk_fma_f16 v60, v53, v56, v60
	v_pk_fma_f16 v61, v53, v99, v61
	v_pk_fma_f16 v62, v53, v57, v62
	v_pk_fma_f16 v63, v53, v100, v63
	v_pk_fma_f16 v64, v53, v58, v64
	v_pk_fma_f16 v95, v53, v109, v95
	v_pk_fma_f16 v53, v53, v59, v97
	ds_read_b128 v[56:59], v86 offset:688
	s_waitcnt lgkmcnt(0)
	v_mul_u32_u24_sdwa v97, v56, v94 dst_sel:DWORD dst_unused:UNUSED_PAD src0_sel:WORD_0 src1_sel:DWORD
	v_mul_u32_u24_sdwa v56, v56, v94 dst_sel:DWORD dst_unused:UNUSED_PAD src0_sel:WORD_1 src1_sel:DWORD
	v_mul_u32_u24_sdwa v98, v57, v94 dst_sel:DWORD dst_unused:UNUSED_PAD src0_sel:WORD_0 src1_sel:DWORD
	v_mul_u32_u24_sdwa v57, v57, v94 dst_sel:DWORD dst_unused:UNUSED_PAD src0_sel:WORD_1 src1_sel:DWORD
	v_mul_u32_u24_sdwa v99, v58, v94 dst_sel:DWORD dst_unused:UNUSED_PAD src0_sel:WORD_0 src1_sel:DWORD
	v_mul_u32_u24_sdwa v58, v58, v94 dst_sel:DWORD dst_unused:UNUSED_PAD src0_sel:WORD_1 src1_sel:DWORD
	v_mul_u32_u24_sdwa v100, v59, v94 dst_sel:DWORD dst_unused:UNUSED_PAD src0_sel:WORD_0 src1_sel:DWORD
	v_mul_u32_u24_sdwa v59, v59, v94 dst_sel:DWORD dst_unused:UNUSED_PAD src0_sel:WORD_1 src1_sel:DWORD
	v_pk_fma_f16 v101, v54, v97, v101
	v_pk_fma_f16 v102, v54, v56, v102
	v_pk_fma_f16 v103, v54, v98, v103
	v_pk_fma_f16 v104, v54, v57, v104
	v_pk_fma_f16 v105, v54, v99, v105
	v_pk_fma_f16 v106, v54, v58, v106
	v_pk_fma_f16 v107, v54, v100, v107
	v_pk_fma_f16 v108, v54, v59, v52
	v_pk_fma_f16 v96, v55, v97, v96
	v_pk_fma_f16 v60, v55, v56, v60
	v_pk_fma_f16 v61, v55, v98, v61
	v_pk_fma_f16 v62, v55, v57, v62
	v_pk_fma_f16 v63, v55, v99, v63
	v_pk_fma_f16 v64, v55, v58, v64
	v_pk_fma_f16 v95, v55, v100, v95
	v_pk_fma_f16 v97, v55, v59, v53
	ds_read2_b64 v[52:55], v50 offset0:128 offset1:160
	;; [unrolled: 53-line block ×3, first 2 shown]
	ds_read_b128 v[56:59], v86 offset:736
	s_waitcnt lgkmcnt(0)
	v_mul_u32_u24_sdwa v50, v56, v94 dst_sel:DWORD dst_unused:UNUSED_PAD src0_sel:WORD_0 src1_sel:DWORD
	v_mul_u32_u24_sdwa v56, v56, v94 dst_sel:DWORD dst_unused:UNUSED_PAD src0_sel:WORD_1 src1_sel:DWORD
	v_mul_u32_u24_sdwa v98, v57, v94 dst_sel:DWORD dst_unused:UNUSED_PAD src0_sel:WORD_0 src1_sel:DWORD
	v_mul_u32_u24_sdwa v57, v57, v94 dst_sel:DWORD dst_unused:UNUSED_PAD src0_sel:WORD_1 src1_sel:DWORD
	v_mul_u32_u24_sdwa v99, v58, v94 dst_sel:DWORD dst_unused:UNUSED_PAD src0_sel:WORD_0 src1_sel:DWORD
	v_mul_u32_u24_sdwa v58, v58, v94 dst_sel:DWORD dst_unused:UNUSED_PAD src0_sel:WORD_1 src1_sel:DWORD
	v_mul_u32_u24_sdwa v100, v59, v94 dst_sel:DWORD dst_unused:UNUSED_PAD src0_sel:WORD_0 src1_sel:DWORD
	v_mul_u32_u24_sdwa v59, v59, v94 dst_sel:DWORD dst_unused:UNUSED_PAD src0_sel:WORD_1 src1_sel:DWORD
	v_pk_fma_f16 v101, v52, v50, v101
	v_pk_fma_f16 v102, v52, v56, v102
	;; [unrolled: 1-line block ×16, first 2 shown]
	ds_read_b128 v[56:59], v86 offset:752
	s_waitcnt lgkmcnt(0)
	v_mul_u32_u24_sdwa v96, v56, v94 dst_sel:DWORD dst_unused:UNUSED_PAD src0_sel:WORD_0 src1_sel:DWORD
	v_mul_u32_u24_sdwa v56, v56, v94 dst_sel:DWORD dst_unused:UNUSED_PAD src0_sel:WORD_1 src1_sel:DWORD
	v_mul_u32_u24_sdwa v97, v57, v94 dst_sel:DWORD dst_unused:UNUSED_PAD src0_sel:WORD_0 src1_sel:DWORD
	v_mul_u32_u24_sdwa v57, v57, v94 dst_sel:DWORD dst_unused:UNUSED_PAD src0_sel:WORD_1 src1_sel:DWORD
	;; [unrolled: 2-line block ×4, first 2 shown]
	v_pk_fma_f16 v100, v54, v96, v101
	v_pk_fma_f16 v101, v54, v56, v102
	;; [unrolled: 1-line block ×16, first 2 shown]
	ds_read2_b64 v[52:55], v51 offset1:32
	ds_read_b128 v[56:59], v86 offset:768
	s_waitcnt lgkmcnt(0)
	v_mul_u32_u24_sdwa v97, v56, v94 dst_sel:DWORD dst_unused:UNUSED_PAD src0_sel:WORD_0 src1_sel:DWORD
	v_mul_u32_u24_sdwa v56, v56, v94 dst_sel:DWORD dst_unused:UNUSED_PAD src0_sel:WORD_1 src1_sel:DWORD
	v_mul_u32_u24_sdwa v98, v57, v94 dst_sel:DWORD dst_unused:UNUSED_PAD src0_sel:WORD_0 src1_sel:DWORD
	v_mul_u32_u24_sdwa v57, v57, v94 dst_sel:DWORD dst_unused:UNUSED_PAD src0_sel:WORD_1 src1_sel:DWORD
	v_mul_u32_u24_sdwa v99, v58, v94 dst_sel:DWORD dst_unused:UNUSED_PAD src0_sel:WORD_0 src1_sel:DWORD
	v_mul_u32_u24_sdwa v58, v58, v94 dst_sel:DWORD dst_unused:UNUSED_PAD src0_sel:WORD_1 src1_sel:DWORD
	v_mul_u32_u24_sdwa v108, v59, v94 dst_sel:DWORD dst_unused:UNUSED_PAD src0_sel:WORD_0 src1_sel:DWORD
	v_mul_u32_u24_sdwa v59, v59, v94 dst_sel:DWORD dst_unused:UNUSED_PAD src0_sel:WORD_1 src1_sel:DWORD
	v_pk_fma_f16 v100, v52, v97, v100
	v_pk_fma_f16 v101, v52, v56, v101
	v_pk_fma_f16 v102, v52, v98, v102
	v_pk_fma_f16 v103, v52, v57, v103
	v_pk_fma_f16 v104, v52, v99, v104
	v_pk_fma_f16 v105, v52, v58, v105
	v_pk_fma_f16 v106, v52, v108, v106
	v_pk_fma_f16 v52, v52, v59, v107
	v_pk_fma_f16 v50, v53, v97, v50
	v_pk_fma_f16 v60, v53, v56, v60
	v_pk_fma_f16 v61, v53, v98, v61
	v_pk_fma_f16 v62, v53, v57, v62
	v_pk_fma_f16 v63, v53, v99, v63
	v_pk_fma_f16 v64, v53, v58, v64
	v_pk_fma_f16 v95, v53, v108, v95
	v_pk_fma_f16 v53, v53, v59, v96
	ds_read_b128 v[56:59], v86 offset:784
	s_waitcnt lgkmcnt(0)
	v_mul_u32_u24_sdwa v96, v56, v94 dst_sel:DWORD dst_unused:UNUSED_PAD src0_sel:WORD_0 src1_sel:DWORD
	v_mul_u32_u24_sdwa v56, v56, v94 dst_sel:DWORD dst_unused:UNUSED_PAD src0_sel:WORD_1 src1_sel:DWORD
	v_mul_u32_u24_sdwa v97, v57, v94 dst_sel:DWORD dst_unused:UNUSED_PAD src0_sel:WORD_0 src1_sel:DWORD
	v_mul_u32_u24_sdwa v57, v57, v94 dst_sel:DWORD dst_unused:UNUSED_PAD src0_sel:WORD_1 src1_sel:DWORD
	v_mul_u32_u24_sdwa v98, v58, v94 dst_sel:DWORD dst_unused:UNUSED_PAD src0_sel:WORD_0 src1_sel:DWORD
	v_mul_u32_u24_sdwa v58, v58, v94 dst_sel:DWORD dst_unused:UNUSED_PAD src0_sel:WORD_1 src1_sel:DWORD
	v_mul_u32_u24_sdwa v99, v59, v94 dst_sel:DWORD dst_unused:UNUSED_PAD src0_sel:WORD_0 src1_sel:DWORD
	v_mul_u32_u24_sdwa v59, v59, v94 dst_sel:DWORD dst_unused:UNUSED_PAD src0_sel:WORD_1 src1_sel:DWORD
	v_pk_fma_f16 v100, v54, v96, v100
	v_pk_fma_f16 v101, v54, v56, v101
	v_pk_fma_f16 v102, v54, v97, v102
	v_pk_fma_f16 v103, v54, v57, v103
	v_pk_fma_f16 v104, v54, v98, v104
	v_pk_fma_f16 v105, v54, v58, v105
	v_pk_fma_f16 v106, v54, v99, v106
	v_pk_fma_f16 v107, v54, v59, v52
	v_pk_fma_f16 v50, v55, v96, v50
	v_pk_fma_f16 v60, v55, v56, v60
	v_pk_fma_f16 v61, v55, v97, v61
	v_pk_fma_f16 v62, v55, v57, v62
	v_pk_fma_f16 v63, v55, v98, v63
	v_pk_fma_f16 v64, v55, v58, v64
	v_pk_fma_f16 v95, v55, v99, v95
	v_pk_fma_f16 v96, v55, v59, v53
	ds_read2_b64 v[52:55], v51 offset0:64 offset1:96
	ds_read_b128 v[56:59], v86 offset:800
	s_waitcnt lgkmcnt(0)
	v_mul_u32_u24_sdwa v97, v56, v94 dst_sel:DWORD dst_unused:UNUSED_PAD src0_sel:WORD_0 src1_sel:DWORD
	v_mul_u32_u24_sdwa v56, v56, v94 dst_sel:DWORD dst_unused:UNUSED_PAD src0_sel:WORD_1 src1_sel:DWORD
	v_mul_u32_u24_sdwa v98, v57, v94 dst_sel:DWORD dst_unused:UNUSED_PAD src0_sel:WORD_0 src1_sel:DWORD
	v_mul_u32_u24_sdwa v57, v57, v94 dst_sel:DWORD dst_unused:UNUSED_PAD src0_sel:WORD_1 src1_sel:DWORD
	v_mul_u32_u24_sdwa v99, v58, v94 dst_sel:DWORD dst_unused:UNUSED_PAD src0_sel:WORD_0 src1_sel:DWORD
	v_mul_u32_u24_sdwa v58, v58, v94 dst_sel:DWORD dst_unused:UNUSED_PAD src0_sel:WORD_1 src1_sel:DWORD
	v_mul_u32_u24_sdwa v108, v59, v94 dst_sel:DWORD dst_unused:UNUSED_PAD src0_sel:WORD_0 src1_sel:DWORD
	v_mul_u32_u24_sdwa v59, v59, v94 dst_sel:DWORD dst_unused:UNUSED_PAD src0_sel:WORD_1 src1_sel:DWORD
	v_pk_fma_f16 v100, v52, v97, v100
	v_pk_fma_f16 v101, v52, v56, v101
	v_pk_fma_f16 v102, v52, v98, v102
	v_pk_fma_f16 v103, v52, v57, v103
	v_pk_fma_f16 v104, v52, v99, v104
	v_pk_fma_f16 v105, v52, v58, v105
	v_pk_fma_f16 v106, v52, v108, v106
	v_pk_fma_f16 v52, v52, v59, v107
	v_pk_fma_f16 v50, v53, v97, v50
	v_pk_fma_f16 v60, v53, v56, v60
	v_pk_fma_f16 v61, v53, v98, v61
	v_pk_fma_f16 v62, v53, v57, v62
	v_pk_fma_f16 v63, v53, v99, v63
	v_pk_fma_f16 v64, v53, v58, v64
	v_pk_fma_f16 v95, v53, v108, v95
	v_pk_fma_f16 v53, v53, v59, v96
	ds_read_b128 v[56:59], v86 offset:816
	s_waitcnt lgkmcnt(0)
	v_mul_u32_u24_sdwa v96, v56, v94 dst_sel:DWORD dst_unused:UNUSED_PAD src0_sel:WORD_0 src1_sel:DWORD
	v_mul_u32_u24_sdwa v56, v56, v94 dst_sel:DWORD dst_unused:UNUSED_PAD src0_sel:WORD_1 src1_sel:DWORD
	v_mul_u32_u24_sdwa v97, v57, v94 dst_sel:DWORD dst_unused:UNUSED_PAD src0_sel:WORD_0 src1_sel:DWORD
	v_mul_u32_u24_sdwa v57, v57, v94 dst_sel:DWORD dst_unused:UNUSED_PAD src0_sel:WORD_1 src1_sel:DWORD
	v_mul_u32_u24_sdwa v98, v58, v94 dst_sel:DWORD dst_unused:UNUSED_PAD src0_sel:WORD_0 src1_sel:DWORD
	v_mul_u32_u24_sdwa v58, v58, v94 dst_sel:DWORD dst_unused:UNUSED_PAD src0_sel:WORD_1 src1_sel:DWORD
	v_mul_u32_u24_sdwa v99, v59, v94 dst_sel:DWORD dst_unused:UNUSED_PAD src0_sel:WORD_0 src1_sel:DWORD
	v_mul_u32_u24_sdwa v59, v59, v94 dst_sel:DWORD dst_unused:UNUSED_PAD src0_sel:WORD_1 src1_sel:DWORD
	v_pk_fma_f16 v100, v54, v96, v100
	v_pk_fma_f16 v101, v54, v56, v101
	v_pk_fma_f16 v102, v54, v97, v102
	v_pk_fma_f16 v103, v54, v57, v103
	v_pk_fma_f16 v104, v54, v98, v104
	v_pk_fma_f16 v105, v54, v58, v105
	v_pk_fma_f16 v106, v54, v99, v106
	v_pk_fma_f16 v107, v54, v59, v52
	v_pk_fma_f16 v50, v55, v96, v50
	v_pk_fma_f16 v60, v55, v56, v60
	v_pk_fma_f16 v61, v55, v97, v61
	v_pk_fma_f16 v62, v55, v57, v62
	v_pk_fma_f16 v63, v55, v98, v63
	v_pk_fma_f16 v64, v55, v58, v64
	v_pk_fma_f16 v95, v55, v99, v95
	v_pk_fma_f16 v96, v55, v59, v53
	ds_read2_b64 v[52:55], v51 offset0:128 offset1:160
	;; [unrolled: 53-line block ×3, first 2 shown]
	ds_read_b128 v[54:57], v86 offset:864
	s_waitcnt lgkmcnt(0)
	v_mul_u32_u24_sdwa v95, v54, v94 dst_sel:DWORD dst_unused:UNUSED_PAD src0_sel:WORD_0 src1_sel:DWORD
	v_mul_u32_u24_sdwa v54, v54, v94 dst_sel:DWORD dst_unused:UNUSED_PAD src0_sel:WORD_1 src1_sel:DWORD
	v_mul_u32_u24_sdwa v97, v55, v94 dst_sel:DWORD dst_unused:UNUSED_PAD src0_sel:WORD_0 src1_sel:DWORD
	v_mul_u32_u24_sdwa v55, v55, v94 dst_sel:DWORD dst_unused:UNUSED_PAD src0_sel:WORD_1 src1_sel:DWORD
	;; [unrolled: 2-line block ×4, first 2 shown]
	v_pk_fma_f16 v100, v50, v95, v100
	v_pk_fma_f16 v101, v50, v54, v101
	v_pk_fma_f16 v102, v50, v97, v102
	v_pk_fma_f16 v103, v50, v55, v103
	v_pk_fma_f16 v104, v50, v98, v104
	v_pk_fma_f16 v105, v50, v56, v105
	v_pk_fma_f16 v106, v50, v99, v106
	v_pk_fma_f16 v50, v50, v57, v107
	v_pk_fma_f16 v95, v51, v95, v96
	v_pk_fma_f16 v60, v51, v54, v60
	v_pk_fma_f16 v61, v51, v97, v61
	v_pk_fma_f16 v62, v51, v55, v62
	v_pk_fma_f16 v63, v51, v98, v63
	v_pk_fma_f16 v58, v51, v56, v58
	v_pk_fma_f16 v64, v51, v99, v64
	v_pk_fma_f16 v51, v51, v57, v59
	ds_read_b128 v[54:57], v86 offset:880
	s_waitcnt lgkmcnt(0)
	v_mul_u32_u24_sdwa v59, v54, v94 dst_sel:DWORD dst_unused:UNUSED_PAD src0_sel:WORD_0 src1_sel:DWORD
	v_mul_u32_u24_sdwa v54, v54, v94 dst_sel:DWORD dst_unused:UNUSED_PAD src0_sel:WORD_1 src1_sel:DWORD
	v_mul_u32_u24_sdwa v96, v55, v94 dst_sel:DWORD dst_unused:UNUSED_PAD src0_sel:WORD_0 src1_sel:DWORD
	v_mul_u32_u24_sdwa v55, v55, v94 dst_sel:DWORD dst_unused:UNUSED_PAD src0_sel:WORD_1 src1_sel:DWORD
	;; [unrolled: 2-line block ×4, first 2 shown]
	v_pk_fma_f16 v99, v52, v59, v100
	v_pk_fma_f16 v100, v52, v54, v101
	v_pk_fma_f16 v101, v52, v96, v102
	v_pk_fma_f16 v102, v52, v55, v103
	v_pk_fma_f16 v103, v52, v97, v104
	v_pk_fma_f16 v104, v52, v56, v105
	v_pk_fma_f16 v105, v52, v98, v106
	v_pk_fma_f16 v106, v52, v57, v50
	v_pk_fma_f16 v59, v53, v59, v95
	v_pk_fma_f16 v60, v53, v54, v60
	v_pk_fma_f16 v61, v53, v96, v61
	v_pk_fma_f16 v62, v53, v55, v62
	v_pk_fma_f16 v63, v53, v97, v63
	v_pk_fma_f16 v58, v53, v56, v58
	v_pk_fma_f16 v64, v53, v98, v64
	v_pk_fma_f16 v95, v53, v57, v51
	ds_read2_b64 v[50:53], v49 offset1:32
	ds_read_b128 v[54:57], v86 offset:896
	s_waitcnt lgkmcnt(0)
	v_mul_u32_u24_sdwa v96, v54, v94 dst_sel:DWORD dst_unused:UNUSED_PAD src0_sel:WORD_0 src1_sel:DWORD
	v_mul_u32_u24_sdwa v54, v54, v94 dst_sel:DWORD dst_unused:UNUSED_PAD src0_sel:WORD_1 src1_sel:DWORD
	v_mul_u32_u24_sdwa v97, v55, v94 dst_sel:DWORD dst_unused:UNUSED_PAD src0_sel:WORD_0 src1_sel:DWORD
	v_mul_u32_u24_sdwa v55, v55, v94 dst_sel:DWORD dst_unused:UNUSED_PAD src0_sel:WORD_1 src1_sel:DWORD
	v_mul_u32_u24_sdwa v98, v56, v94 dst_sel:DWORD dst_unused:UNUSED_PAD src0_sel:WORD_0 src1_sel:DWORD
	v_mul_u32_u24_sdwa v56, v56, v94 dst_sel:DWORD dst_unused:UNUSED_PAD src0_sel:WORD_1 src1_sel:DWORD
	v_mul_u32_u24_sdwa v107, v57, v94 dst_sel:DWORD dst_unused:UNUSED_PAD src0_sel:WORD_0 src1_sel:DWORD
	v_mul_u32_u24_sdwa v57, v57, v94 dst_sel:DWORD dst_unused:UNUSED_PAD src0_sel:WORD_1 src1_sel:DWORD
	v_pk_fma_f16 v99, v50, v96, v99
	v_pk_fma_f16 v100, v50, v54, v100
	v_pk_fma_f16 v101, v50, v97, v101
	v_pk_fma_f16 v102, v50, v55, v102
	v_pk_fma_f16 v103, v50, v98, v103
	v_pk_fma_f16 v104, v50, v56, v104
	v_pk_fma_f16 v105, v50, v107, v105
	v_pk_fma_f16 v50, v50, v57, v106
	v_pk_fma_f16 v59, v51, v96, v59
	v_pk_fma_f16 v60, v51, v54, v60
	v_pk_fma_f16 v61, v51, v97, v61
	v_pk_fma_f16 v62, v51, v55, v62
	v_pk_fma_f16 v63, v51, v98, v63
	v_pk_fma_f16 v58, v51, v56, v58
	v_pk_fma_f16 v64, v51, v107, v64
	v_pk_fma_f16 v51, v51, v57, v95
	ds_read_b128 v[54:57], v86 offset:912
	s_waitcnt lgkmcnt(0)
	v_mul_u32_u24_sdwa v95, v54, v94 dst_sel:DWORD dst_unused:UNUSED_PAD src0_sel:WORD_0 src1_sel:DWORD
	v_mul_u32_u24_sdwa v54, v54, v94 dst_sel:DWORD dst_unused:UNUSED_PAD src0_sel:WORD_1 src1_sel:DWORD
	v_mul_u32_u24_sdwa v96, v55, v94 dst_sel:DWORD dst_unused:UNUSED_PAD src0_sel:WORD_0 src1_sel:DWORD
	v_mul_u32_u24_sdwa v55, v55, v94 dst_sel:DWORD dst_unused:UNUSED_PAD src0_sel:WORD_1 src1_sel:DWORD
	v_mul_u32_u24_sdwa v97, v56, v94 dst_sel:DWORD dst_unused:UNUSED_PAD src0_sel:WORD_0 src1_sel:DWORD
	v_mul_u32_u24_sdwa v56, v56, v94 dst_sel:DWORD dst_unused:UNUSED_PAD src0_sel:WORD_1 src1_sel:DWORD
	v_mul_u32_u24_sdwa v98, v57, v94 dst_sel:DWORD dst_unused:UNUSED_PAD src0_sel:WORD_0 src1_sel:DWORD
	v_mul_u32_u24_sdwa v57, v57, v94 dst_sel:DWORD dst_unused:UNUSED_PAD src0_sel:WORD_1 src1_sel:DWORD
	v_pk_fma_f16 v99, v52, v95, v99
	v_pk_fma_f16 v100, v52, v54, v100
	v_pk_fma_f16 v101, v52, v96, v101
	v_pk_fma_f16 v102, v52, v55, v102
	v_pk_fma_f16 v103, v52, v97, v103
	v_pk_fma_f16 v104, v52, v56, v104
	v_pk_fma_f16 v105, v52, v98, v105
	v_pk_fma_f16 v106, v52, v57, v50
	v_pk_fma_f16 v59, v53, v95, v59
	v_pk_fma_f16 v60, v53, v54, v60
	v_pk_fma_f16 v61, v53, v96, v61
	v_pk_fma_f16 v62, v53, v55, v62
	v_pk_fma_f16 v63, v53, v97, v63
	v_pk_fma_f16 v58, v53, v56, v58
	v_pk_fma_f16 v64, v53, v98, v64
	v_pk_fma_f16 v95, v53, v57, v51
	ds_read2_b64 v[50:53], v49 offset0:64 offset1:96
	ds_read_b128 v[54:57], v86 offset:928
	s_waitcnt lgkmcnt(0)
	v_mul_u32_u24_sdwa v96, v54, v94 dst_sel:DWORD dst_unused:UNUSED_PAD src0_sel:WORD_0 src1_sel:DWORD
	v_mul_u32_u24_sdwa v54, v54, v94 dst_sel:DWORD dst_unused:UNUSED_PAD src0_sel:WORD_1 src1_sel:DWORD
	v_mul_u32_u24_sdwa v97, v55, v94 dst_sel:DWORD dst_unused:UNUSED_PAD src0_sel:WORD_0 src1_sel:DWORD
	v_mul_u32_u24_sdwa v55, v55, v94 dst_sel:DWORD dst_unused:UNUSED_PAD src0_sel:WORD_1 src1_sel:DWORD
	v_mul_u32_u24_sdwa v98, v56, v94 dst_sel:DWORD dst_unused:UNUSED_PAD src0_sel:WORD_0 src1_sel:DWORD
	v_mul_u32_u24_sdwa v56, v56, v94 dst_sel:DWORD dst_unused:UNUSED_PAD src0_sel:WORD_1 src1_sel:DWORD
	v_mul_u32_u24_sdwa v107, v57, v94 dst_sel:DWORD dst_unused:UNUSED_PAD src0_sel:WORD_0 src1_sel:DWORD
	v_mul_u32_u24_sdwa v57, v57, v94 dst_sel:DWORD dst_unused:UNUSED_PAD src0_sel:WORD_1 src1_sel:DWORD
	v_pk_fma_f16 v99, v50, v96, v99
	v_pk_fma_f16 v100, v50, v54, v100
	v_pk_fma_f16 v101, v50, v97, v101
	v_pk_fma_f16 v102, v50, v55, v102
	v_pk_fma_f16 v103, v50, v98, v103
	v_pk_fma_f16 v104, v50, v56, v104
	v_pk_fma_f16 v105, v50, v107, v105
	v_pk_fma_f16 v50, v50, v57, v106
	v_pk_fma_f16 v59, v51, v96, v59
	v_pk_fma_f16 v60, v51, v54, v60
	v_pk_fma_f16 v61, v51, v97, v61
	v_pk_fma_f16 v62, v51, v55, v62
	v_pk_fma_f16 v63, v51, v98, v63
	v_pk_fma_f16 v58, v51, v56, v58
	v_pk_fma_f16 v64, v51, v107, v64
	v_pk_fma_f16 v51, v51, v57, v95
	ds_read_b128 v[54:57], v86 offset:944
	s_waitcnt lgkmcnt(0)
	v_mul_u32_u24_sdwa v95, v54, v94 dst_sel:DWORD dst_unused:UNUSED_PAD src0_sel:WORD_0 src1_sel:DWORD
	v_mul_u32_u24_sdwa v54, v54, v94 dst_sel:DWORD dst_unused:UNUSED_PAD src0_sel:WORD_1 src1_sel:DWORD
	v_mul_u32_u24_sdwa v96, v55, v94 dst_sel:DWORD dst_unused:UNUSED_PAD src0_sel:WORD_0 src1_sel:DWORD
	v_mul_u32_u24_sdwa v55, v55, v94 dst_sel:DWORD dst_unused:UNUSED_PAD src0_sel:WORD_1 src1_sel:DWORD
	v_mul_u32_u24_sdwa v97, v56, v94 dst_sel:DWORD dst_unused:UNUSED_PAD src0_sel:WORD_0 src1_sel:DWORD
	v_mul_u32_u24_sdwa v56, v56, v94 dst_sel:DWORD dst_unused:UNUSED_PAD src0_sel:WORD_1 src1_sel:DWORD
	v_mul_u32_u24_sdwa v98, v57, v94 dst_sel:DWORD dst_unused:UNUSED_PAD src0_sel:WORD_0 src1_sel:DWORD
	v_mul_u32_u24_sdwa v57, v57, v94 dst_sel:DWORD dst_unused:UNUSED_PAD src0_sel:WORD_1 src1_sel:DWORD
	v_pk_fma_f16 v99, v52, v95, v99
	v_pk_fma_f16 v100, v52, v54, v100
	v_pk_fma_f16 v101, v52, v96, v101
	v_pk_fma_f16 v102, v52, v55, v102
	v_pk_fma_f16 v103, v52, v97, v103
	v_pk_fma_f16 v104, v52, v56, v104
	v_pk_fma_f16 v105, v52, v98, v105
	v_pk_fma_f16 v106, v52, v57, v50
	v_pk_fma_f16 v59, v53, v95, v59
	v_pk_fma_f16 v60, v53, v54, v60
	v_pk_fma_f16 v61, v53, v96, v61
	v_pk_fma_f16 v62, v53, v55, v62
	v_pk_fma_f16 v63, v53, v97, v63
	v_pk_fma_f16 v58, v53, v56, v58
	v_pk_fma_f16 v64, v53, v98, v64
	v_pk_fma_f16 v95, v53, v57, v51
	ds_read2_b64 v[50:53], v49 offset0:128 offset1:160
	;; [unrolled: 53-line block ×3, first 2 shown]
	ds_read_b128 v[49:52], v86 offset:992
	s_waitcnt lgkmcnt(0)
	v_mul_u32_u24_sdwa v57, v49, v94 dst_sel:DWORD dst_unused:UNUSED_PAD src0_sel:WORD_0 src1_sel:DWORD
	v_mul_u32_u24_sdwa v49, v49, v94 dst_sel:DWORD dst_unused:UNUSED_PAD src0_sel:WORD_1 src1_sel:DWORD
	v_mul_u32_u24_sdwa v62, v50, v94 dst_sel:DWORD dst_unused:UNUSED_PAD src0_sel:WORD_0 src1_sel:DWORD
	v_mul_u32_u24_sdwa v50, v50, v94 dst_sel:DWORD dst_unused:UNUSED_PAD src0_sel:WORD_1 src1_sel:DWORD
	v_mul_u32_u24_sdwa v63, v51, v94 dst_sel:DWORD dst_unused:UNUSED_PAD src0_sel:WORD_0 src1_sel:DWORD
	v_mul_u32_u24_sdwa v51, v51, v94 dst_sel:DWORD dst_unused:UNUSED_PAD src0_sel:WORD_1 src1_sel:DWORD
	v_mul_u32_u24_sdwa v64, v52, v94 dst_sel:DWORD dst_unused:UNUSED_PAD src0_sel:WORD_0 src1_sel:DWORD
	v_mul_u32_u24_sdwa v52, v52, v94 dst_sel:DWORD dst_unused:UNUSED_PAD src0_sel:WORD_1 src1_sel:DWORD
	v_pk_fma_f16 v99, v95, v57, v99
	v_pk_fma_f16 v100, v95, v49, v100
	;; [unrolled: 1-line block ×16, first 2 shown]
	ds_read_b128 v[49:52], v86 offset:1008
	s_waitcnt lgkmcnt(0)
	s_barrier
	buffer_gl0_inv
	s_load_dword s17, s[6:7], 0x4
	v_mul_u32_u24_sdwa v56, v49, v94 dst_sel:DWORD dst_unused:UNUSED_PAD src0_sel:WORD_0 src1_sel:DWORD
	v_mul_u32_u24_sdwa v49, v49, v94 dst_sel:DWORD dst_unused:UNUSED_PAD src0_sel:WORD_1 src1_sel:DWORD
	v_mul_u32_u24_sdwa v58, v50, v94 dst_sel:DWORD dst_unused:UNUSED_PAD src0_sel:WORD_0 src1_sel:DWORD
	v_mul_u32_u24_sdwa v111, v50, v94 dst_sel:DWORD dst_unused:UNUSED_PAD src0_sel:WORD_1 src1_sel:DWORD
	;; [unrolled: 2-line block ×4, first 2 shown]
	s_waitcnt lgkmcnt(0)
	s_lshl_b32 s17, s17, 6
	v_pk_fma_f16 v63, v97, v56, v99
	v_pk_fma_f16 v61, v97, v49, v100
	;; [unrolled: 1-line block ×16, first 2 shown]
	s_add_i32 s8, s17, s8
	s_cmp_lt_i32 s8, s10
	s_cbranch_scc0 .LBB86_115
; %bb.105:                              ;   in Loop: Header=BB86_8 Depth=1
	v_mov_b32_e32 v110, v2
	v_mov_b32_e32 v108, v3
	;; [unrolled: 1-line block ×16, first 2 shown]
	s_branch .LBB86_8
.LBB86_106:                             ;   in Loop: Header=BB86_8 Depth=1
	v_mov_b32_e32 v115, 0
	v_cmp_ngt_f32_e64 s17, 0x3f200000, |v114|
                                        ; implicit-def: $vgpr117
	s_and_saveexec_b32 s35, s17
	s_xor_b32 s17, exec_lo, s35
	s_cbranch_execz .LBB86_15
	s_branch .LBB86_14
.LBB86_107:                             ;   in Loop: Header=BB86_8 Depth=1
	v_mov_b32_e32 v118, 0
	v_cmp_ngt_f32_e64 s17, 0x3f200000, |v112|
                                        ; implicit-def: $vgpr124
	s_and_saveexec_b32 s35, s17
	s_xor_b32 s17, exec_lo, s35
	s_cbranch_execz .LBB86_27
	s_branch .LBB86_26
.LBB86_108:                             ;   in Loop: Header=BB86_8 Depth=1
	v_mov_b32_e32 v111, 0
	v_cmp_ngt_f32_e64 s17, 0x3f200000, |v72|
                                        ; implicit-def: $vgpr126
	s_and_saveexec_b32 s35, s17
	s_xor_b32 s17, exec_lo, s35
	s_cbranch_execz .LBB86_39
	s_branch .LBB86_38
.LBB86_109:                             ;   in Loop: Header=BB86_8 Depth=1
	v_mov_b32_e32 v126, 0
	v_cmp_ngt_f32_e64 s17, 0x3f200000, |v70|
                                        ; implicit-def: $vgpr128
	s_and_saveexec_b32 s35, s17
	s_xor_b32 s17, exec_lo, s35
	s_cbranch_execz .LBB86_51
	s_branch .LBB86_50
.LBB86_110:                             ;   in Loop: Header=BB86_8 Depth=1
	v_mov_b32_e32 v128, 0
	v_cmp_ngt_f32_e64 s17, 0x3f200000, |v68|
                                        ; implicit-def: $vgpr130
	s_and_saveexec_b32 s35, s17
	s_xor_b32 s17, exec_lo, s35
	s_cbranch_execz .LBB86_63
	s_branch .LBB86_62
.LBB86_111:                             ;   in Loop: Header=BB86_8 Depth=1
	v_mov_b32_e32 v67, 0
	v_cmp_ngt_f32_e64 s17, 0x3f200000, |v66|
                                        ; implicit-def: $vgpr132
	s_and_saveexec_b32 s35, s17
	s_xor_b32 s17, exec_lo, s35
	s_cbranch_execz .LBB86_75
	s_branch .LBB86_74
.LBB86_112:                             ;   in Loop: Header=BB86_8 Depth=1
	v_mov_b32_e32 v65, 0
	v_cmp_ngt_f32_e64 s17, 0x3f200000, |v9|
                                        ; implicit-def: $vgpr132
	s_and_saveexec_b32 s35, s17
	s_xor_b32 s17, exec_lo, s35
	s_cbranch_execz .LBB86_87
	s_branch .LBB86_86
.LBB86_113:                             ;   in Loop: Header=BB86_8 Depth=1
	v_mov_b32_e32 v131, 0
	v_cmp_ngt_f32_e64 s17, 0x3f200000, |v7|
                                        ; implicit-def: $vgpr4
	s_and_saveexec_b32 s35, s17
	s_xor_b32 s17, exec_lo, s35
	s_cbranch_execz .LBB86_99
	s_branch .LBB86_98
.LBB86_114:
	v_mov_b32_e32 v2, 0xfeffffff
	v_mov_b32_e32 v63, 0
	;; [unrolled: 1-line block ×31, first 2 shown]
.LBB86_115:
	s_cmp_gt_i32 s48, s8
	s_cbranch_scc1 .LBB86_118
; %bb.116:
	v_mbcnt_lo_u32_b32 v10, -1, 0
	v_mov_b32_e32 v75, 32
	v_xor_b32_e32 v80, 16, v10
	v_xor_b32_e32 v79, 8, v10
	;; [unrolled: 1-line block ×5, first 2 shown]
	s_cbranch_execz .LBB86_119
; %bb.117:
	v_mov_b32_e32 v20, v10
	s_branch .LBB86_264
.LBB86_118:
                                        ; implicit-def: $vgpr10
                                        ; implicit-def: $vgpr75
                                        ; implicit-def: $vgpr80
                                        ; implicit-def: $vgpr79
                                        ; implicit-def: $vgpr78
                                        ; implicit-def: $vgpr77
                                        ; implicit-def: $vgpr76
.LBB86_119:
	v_lshl_add_u32 v77, v1, 2, v73
	s_mul_hi_i32 s7, s8, s23
	s_mul_i32 s6, s8, s23
	s_mov_b64 s[10:11], src_private_base
	s_lshl_b64 s[6:7], s[6:7], 2
	v_mul_lo_u32 v10, s23, v77
	s_sub_i32 s10, s48, s8
	s_add_u32 s14, s14, s6
	v_lshlrev_b32_e32 v78, 2, v74
	s_addc_u32 s7, s15, s7
	v_cmp_gt_i32_e64 s6, s10, v77
	v_mov_b32_e32 v91, 0
	v_mov_b32_e32 v89, 0
	v_ashrrev_i32_e32 v11, 31, v10
	v_mov_b32_e32 v87, 0
	v_mov_b32_e32 v85, 0
	;; [unrolled: 1-line block ×4, first 2 shown]
	v_lshlrev_b64 v[11:12], 2, v[10:11]
	v_lshl_add_u32 v10, s23, 5, v10
	v_mov_b32_e32 v92, 0
	v_mov_b32_e32 v90, 0
	;; [unrolled: 1-line block ×4, first 2 shown]
	v_add_co_u32 v11, vcc_lo, s14, v11
	v_add_co_ci_u32_e64 v12, null, s7, v12, vcc_lo
	v_mov_b32_e32 v84, 0
	v_add_co_u32 v16, vcc_lo, v11, v78
	v_add_co_ci_u32_e64 v17, null, 0, v12, vcc_lo
	v_mov_b32_e32 v12, 0
	v_cndmask_b32_e64 v13, 0, v16, s6
	v_ashrrev_i32_e32 v11, 31, v10
	v_cndmask_b32_e64 v14, s11, v17, s6
	buffer_store_dword v12, off, s[0:3], 0
	buffer_store_dword v12, off, s[0:3], 0 offset:4
	buffer_store_dword v12, off, s[0:3], 0 offset:8
	buffer_store_dword v12, off, s[0:3], 0 offset:12
	v_mov_b32_e32 v81, 0
	v_lshlrev_b64 v[10:11], 2, v[10:11]
	flat_load_dwordx4 v[73:76], v[13:14]
	v_add_nc_u32_e32 v13, 32, v77
	buffer_store_dword v12, off, s[0:3], 0
	buffer_store_dword v12, off, s[0:3], 0 offset:4
	buffer_store_dword v12, off, s[0:3], 0 offset:8
	;; [unrolled: 1-line block ×3, first 2 shown]
	v_add_co_u32 v10, vcc_lo, s14, v10
	v_add_co_ci_u32_e64 v11, null, s7, v11, vcc_lo
	v_add_co_u32 v16, s7, 0x80, v16
	v_add_co_u32 v14, vcc_lo, v10, v78
	v_add_co_ci_u32_e64 v15, null, 0, v11, vcc_lo
	v_cmp_gt_i32_e32 vcc_lo, s10, v13
	v_mad_u32_u24 v13, 0x90, v77, v78
	v_add_co_ci_u32_e64 v17, null, 0, v17, s7
	v_cndmask_b32_e64 v16, 0, v16, s6
	v_cndmask_b32_e32 v11, s11, v15, vcc_lo
	v_cndmask_b32_e32 v10, 0, v14, vcc_lo
	v_cndmask_b32_e64 v17, s11, v17, s6
	v_add_co_u32 v14, s6, 0x80, v14
	v_add_co_ci_u32_e64 v15, null, 0, v15, s6
	v_cndmask_b32_e32 v14, 0, v14, vcc_lo
	v_cndmask_b32_e32 v15, s11, v15, vcc_lo
	s_waitcnt vmcnt(0) lgkmcnt(0)
	ds_write_b128 v13, v[73:76] offset:16384
	flat_load_dwordx4 v[73:76], v[10:11]
	v_mul_u32_u24_e32 v11, 0x90, v0
	v_mov_b32_e32 v10, 0
	s_waitcnt vmcnt(0) lgkmcnt(0)
	ds_write_b128 v13, v[73:76] offset:20992
	s_waitcnt lgkmcnt(0)
	s_waitcnt_vscnt null, 0x0
	s_barrier
	buffer_gl0_inv
	ds_read_b128 v[76:79], v11 offset:16384
	ds_read_b128 v[93:96], v19
	ds_read_b128 v[97:100], v19 offset:256
	ds_read_b128 v[101:104], v19 offset:512
	;; [unrolled: 1-line block ×8, first 2 shown]
	v_mov_b32_e32 v74, 0
	v_mov_b32_e32 v75, 0
	;; [unrolled: 1-line block ×3, first 2 shown]
	s_waitcnt lgkmcnt(8)
	;;#ASMSTART
	v_dot2_f32_f16 v10, v76, v93, v10
	;;#ASMEND
	;;#ASMSTART
	v_dot2_f32_f16 v10, v77, v94, v10
	;;#ASMEND
	;;#ASMSTART
	v_dot2_f32_f16 v10, v78, v95, v10
	;;#ASMEND
	;;#ASMSTART
	v_dot2_f32_f16 v10, v79, v96, v10
	;;#ASMEND
	s_waitcnt lgkmcnt(7)
	;;#ASMSTART
	v_dot2_f32_f16 v91, v76, v97, v91
	;;#ASMEND
	;;#ASMSTART
	v_dot2_f32_f16 v91, v77, v98, v91
	;;#ASMEND
	;;#ASMSTART
	v_dot2_f32_f16 v91, v78, v99, v91
	;;#ASMEND
	;;#ASMSTART
	v_dot2_f32_f16 v91, v79, v100, v91
	;;#ASMEND
	;; [unrolled: 13-line block ×8, first 2 shown]
	;;#ASMSTART
	v_dot2_f32_f16 v75, v109, v93, v75
	;;#ASMEND
	;;#ASMSTART
	v_dot2_f32_f16 v75, v110, v94, v75
	;;#ASMEND
	;; [unrolled: 3-line block ×32, first 2 shown]
	ds_read_b128 v[76:79], v11 offset:16400
	ds_read_b128 v[93:96], v19 offset:16
	;; [unrolled: 1-line block ×10, first 2 shown]
	s_waitcnt lgkmcnt(8)
	;;#ASMSTART
	v_dot2_f32_f16 v10, v76, v93, v10
	;;#ASMEND
	;;#ASMSTART
	v_dot2_f32_f16 v10, v77, v94, v10
	;;#ASMEND
	;;#ASMSTART
	v_dot2_f32_f16 v10, v78, v95, v10
	;;#ASMEND
	;;#ASMSTART
	v_dot2_f32_f16 v10, v79, v96, v10
	;;#ASMEND
	s_waitcnt lgkmcnt(7)
	;;#ASMSTART
	v_dot2_f32_f16 v91, v76, v97, v91
	;;#ASMEND
	;;#ASMSTART
	v_dot2_f32_f16 v91, v77, v98, v91
	;;#ASMEND
	;;#ASMSTART
	v_dot2_f32_f16 v91, v78, v99, v91
	;;#ASMEND
	;;#ASMSTART
	v_dot2_f32_f16 v91, v79, v100, v91
	;;#ASMEND
	;; [unrolled: 13-line block ×8, first 2 shown]
	;;#ASMSTART
	v_dot2_f32_f16 v75, v109, v93, v75
	;;#ASMEND
	;;#ASMSTART
	v_dot2_f32_f16 v75, v110, v94, v75
	;;#ASMEND
	;; [unrolled: 3-line block ×32, first 2 shown]
	ds_read_b128 v[76:79], v11 offset:16416
	ds_read_b128 v[93:96], v19 offset:32
	;; [unrolled: 1-line block ×10, first 2 shown]
	s_waitcnt lgkmcnt(8)
	;;#ASMSTART
	v_dot2_f32_f16 v10, v76, v93, v10
	;;#ASMEND
	;;#ASMSTART
	v_dot2_f32_f16 v10, v77, v94, v10
	;;#ASMEND
	;;#ASMSTART
	v_dot2_f32_f16 v10, v78, v95, v10
	;;#ASMEND
	;;#ASMSTART
	v_dot2_f32_f16 v10, v79, v96, v10
	;;#ASMEND
	s_waitcnt lgkmcnt(7)
	;;#ASMSTART
	v_dot2_f32_f16 v91, v76, v97, v91
	;;#ASMEND
	;;#ASMSTART
	v_dot2_f32_f16 v91, v77, v98, v91
	;;#ASMEND
	;;#ASMSTART
	v_dot2_f32_f16 v91, v78, v99, v91
	;;#ASMEND
	;;#ASMSTART
	v_dot2_f32_f16 v91, v79, v100, v91
	;;#ASMEND
	;; [unrolled: 13-line block ×8, first 2 shown]
	;;#ASMSTART
	v_dot2_f32_f16 v75, v109, v93, v75
	;;#ASMEND
	;;#ASMSTART
	v_dot2_f32_f16 v75, v110, v94, v75
	;;#ASMEND
	;; [unrolled: 3-line block ×32, first 2 shown]
	ds_read_b128 v[76:79], v11 offset:16432
	ds_read_b128 v[93:96], v19 offset:48
	;; [unrolled: 1-line block ×10, first 2 shown]
	s_waitcnt lgkmcnt(8)
	;;#ASMSTART
	v_dot2_f32_f16 v10, v76, v93, v10
	;;#ASMEND
	;;#ASMSTART
	v_dot2_f32_f16 v10, v77, v94, v10
	;;#ASMEND
	;;#ASMSTART
	v_dot2_f32_f16 v10, v78, v95, v10
	;;#ASMEND
	;;#ASMSTART
	v_dot2_f32_f16 v10, v79, v96, v10
	;;#ASMEND
	s_waitcnt lgkmcnt(7)
	;;#ASMSTART
	v_dot2_f32_f16 v91, v76, v97, v91
	;;#ASMEND
	;;#ASMSTART
	v_dot2_f32_f16 v91, v77, v98, v91
	;;#ASMEND
	;;#ASMSTART
	v_dot2_f32_f16 v91, v78, v99, v91
	;;#ASMEND
	;;#ASMSTART
	v_dot2_f32_f16 v91, v79, v100, v91
	;;#ASMEND
	;; [unrolled: 13-line block ×8, first 2 shown]
	;;#ASMSTART
	v_dot2_f32_f16 v75, v109, v93, v75
	;;#ASMEND
	;;#ASMSTART
	v_dot2_f32_f16 v75, v110, v94, v75
	;;#ASMEND
	;; [unrolled: 3-line block ×32, first 2 shown]
	ds_read_b128 v[76:79], v11 offset:16448
	ds_read_b128 v[93:96], v19 offset:64
	;; [unrolled: 1-line block ×10, first 2 shown]
	s_waitcnt lgkmcnt(8)
	;;#ASMSTART
	v_dot2_f32_f16 v10, v76, v93, v10
	;;#ASMEND
	;;#ASMSTART
	v_dot2_f32_f16 v10, v77, v94, v10
	;;#ASMEND
	;;#ASMSTART
	v_dot2_f32_f16 v10, v78, v95, v10
	;;#ASMEND
	;;#ASMSTART
	v_dot2_f32_f16 v10, v79, v96, v10
	;;#ASMEND
	s_waitcnt lgkmcnt(7)
	;;#ASMSTART
	v_dot2_f32_f16 v91, v76, v97, v91
	;;#ASMEND
	;;#ASMSTART
	v_dot2_f32_f16 v91, v77, v98, v91
	;;#ASMEND
	;;#ASMSTART
	v_dot2_f32_f16 v91, v78, v99, v91
	;;#ASMEND
	;;#ASMSTART
	v_dot2_f32_f16 v91, v79, v100, v91
	;;#ASMEND
	;; [unrolled: 13-line block ×8, first 2 shown]
	;;#ASMSTART
	v_dot2_f32_f16 v75, v109, v93, v75
	;;#ASMEND
	;;#ASMSTART
	v_dot2_f32_f16 v75, v110, v94, v75
	;;#ASMEND
	;; [unrolled: 3-line block ×32, first 2 shown]
	ds_read_b128 v[76:79], v11 offset:16464
	ds_read_b128 v[93:96], v19 offset:80
	;; [unrolled: 1-line block ×10, first 2 shown]
	s_waitcnt lgkmcnt(8)
	;;#ASMSTART
	v_dot2_f32_f16 v10, v76, v93, v10
	;;#ASMEND
	;;#ASMSTART
	v_dot2_f32_f16 v10, v77, v94, v10
	;;#ASMEND
	;;#ASMSTART
	v_dot2_f32_f16 v10, v78, v95, v10
	;;#ASMEND
	;;#ASMSTART
	v_dot2_f32_f16 v10, v79, v96, v10
	;;#ASMEND
	s_waitcnt lgkmcnt(7)
	;;#ASMSTART
	v_dot2_f32_f16 v91, v76, v97, v91
	;;#ASMEND
	;;#ASMSTART
	v_dot2_f32_f16 v91, v77, v98, v91
	;;#ASMEND
	;;#ASMSTART
	v_dot2_f32_f16 v91, v78, v99, v91
	;;#ASMEND
	;;#ASMSTART
	v_dot2_f32_f16 v91, v79, v100, v91
	;;#ASMEND
	;; [unrolled: 13-line block ×8, first 2 shown]
	;;#ASMSTART
	v_dot2_f32_f16 v75, v109, v93, v75
	;;#ASMEND
	;;#ASMSTART
	v_dot2_f32_f16 v75, v110, v94, v75
	;;#ASMEND
	;;#ASMSTART
	v_dot2_f32_f16 v75, v111, v95, v75
	;;#ASMEND
	;;#ASMSTART
	v_dot2_f32_f16 v75, v112, v96, v75
	;;#ASMEND
	;;#ASMSTART
	v_dot2_f32_f16 v92, v109, v97, v92
	;;#ASMEND
	;;#ASMSTART
	v_dot2_f32_f16 v92, v110, v98, v92
	;;#ASMEND
	;;#ASMSTART
	v_dot2_f32_f16 v92, v111, v99, v92
	;;#ASMEND
	;;#ASMSTART
	v_dot2_f32_f16 v92, v112, v100, v92
	;;#ASMEND
	;;#ASMSTART
	v_dot2_f32_f16 v90, v109, v101, v90
	;;#ASMEND
	;;#ASMSTART
	v_dot2_f32_f16 v90, v110, v102, v90
	;;#ASMEND
	;;#ASMSTART
	v_dot2_f32_f16 v90, v111, v103, v90
	;;#ASMEND
	;;#ASMSTART
	v_dot2_f32_f16 v90, v112, v104, v90
	;;#ASMEND
	;;#ASMSTART
	v_dot2_f32_f16 v88, v109, v105, v88
	;;#ASMEND
	;;#ASMSTART
	v_dot2_f32_f16 v88, v110, v106, v88
	;;#ASMEND
	;;#ASMSTART
	v_dot2_f32_f16 v88, v111, v107, v88
	;;#ASMEND
	;;#ASMSTART
	v_dot2_f32_f16 v88, v112, v108, v88
	;;#ASMEND
	;;#ASMSTART
	v_dot2_f32_f16 v86, v109, v113, v86
	;;#ASMEND
	;;#ASMSTART
	v_dot2_f32_f16 v86, v110, v114, v86
	;;#ASMEND
	;;#ASMSTART
	v_dot2_f32_f16 v86, v111, v115, v86
	;;#ASMEND
	;;#ASMSTART
	v_dot2_f32_f16 v86, v112, v116, v86
	;;#ASMEND
	;;#ASMSTART
	v_dot2_f32_f16 v84, v109, v117, v84
	;;#ASMEND
	;;#ASMSTART
	v_dot2_f32_f16 v84, v110, v118, v84
	;;#ASMEND
	;;#ASMSTART
	v_dot2_f32_f16 v84, v111, v119, v84
	;;#ASMEND
	;;#ASMSTART
	v_dot2_f32_f16 v84, v112, v120, v84
	;;#ASMEND
	;;#ASMSTART
	v_dot2_f32_f16 v81, v109, v121, v81
	;;#ASMEND
	;;#ASMSTART
	v_dot2_f32_f16 v81, v110, v122, v81
	;;#ASMEND
	;;#ASMSTART
	v_dot2_f32_f16 v81, v111, v123, v81
	;;#ASMEND
	;;#ASMSTART
	v_dot2_f32_f16 v81, v112, v124, v81
	;;#ASMEND
	;;#ASMSTART
	v_dot2_f32_f16 v73, v109, v125, v73
	;;#ASMEND
	;;#ASMSTART
	v_dot2_f32_f16 v73, v110, v126, v73
	;;#ASMEND
	;;#ASMSTART
	v_dot2_f32_f16 v73, v111, v127, v73
	;;#ASMEND
	;;#ASMSTART
	v_dot2_f32_f16 v73, v112, v128, v73
	;;#ASMEND
	ds_read_b128 v[76:79], v11 offset:16480
	ds_read_b128 v[93:96], v19 offset:96
	;; [unrolled: 1-line block ×10, first 2 shown]
	s_waitcnt lgkmcnt(8)
	;;#ASMSTART
	v_dot2_f32_f16 v10, v76, v93, v10
	;;#ASMEND
	;;#ASMSTART
	v_dot2_f32_f16 v10, v77, v94, v10
	;;#ASMEND
	;;#ASMSTART
	v_dot2_f32_f16 v10, v78, v95, v10
	;;#ASMEND
	;;#ASMSTART
	v_dot2_f32_f16 v10, v79, v96, v10
	;;#ASMEND
	s_waitcnt lgkmcnt(7)
	;;#ASMSTART
	v_dot2_f32_f16 v91, v76, v97, v91
	;;#ASMEND
	;;#ASMSTART
	v_dot2_f32_f16 v91, v77, v98, v91
	;;#ASMEND
	;;#ASMSTART
	v_dot2_f32_f16 v91, v78, v99, v91
	;;#ASMEND
	;;#ASMSTART
	v_dot2_f32_f16 v91, v79, v100, v91
	;;#ASMEND
	;; [unrolled: 13-line block ×8, first 2 shown]
	;;#ASMSTART
	v_dot2_f32_f16 v75, v109, v93, v75
	;;#ASMEND
	;;#ASMSTART
	v_dot2_f32_f16 v75, v110, v94, v75
	;;#ASMEND
	;; [unrolled: 3-line block ×32, first 2 shown]
	ds_read_b128 v[76:79], v11 offset:16496
	ds_read_b128 v[93:96], v19 offset:112
	;; [unrolled: 1-line block ×10, first 2 shown]
	s_waitcnt lgkmcnt(8)
	;;#ASMSTART
	v_dot2_f32_f16 v10, v76, v93, v10
	;;#ASMEND
	;;#ASMSTART
	v_dot2_f32_f16 v10, v77, v94, v10
	;;#ASMEND
	;;#ASMSTART
	v_dot2_f32_f16 v10, v78, v95, v10
	;;#ASMEND
	;;#ASMSTART
	v_dot2_f32_f16 v10, v79, v96, v10
	;;#ASMEND
	s_waitcnt lgkmcnt(7)
	;;#ASMSTART
	v_dot2_f32_f16 v91, v76, v97, v91
	;;#ASMEND
	;;#ASMSTART
	v_dot2_f32_f16 v91, v77, v98, v91
	;;#ASMEND
	;;#ASMSTART
	v_dot2_f32_f16 v91, v78, v99, v91
	;;#ASMEND
	;;#ASMSTART
	v_dot2_f32_f16 v91, v79, v100, v91
	;;#ASMEND
	;; [unrolled: 13-line block ×8, first 2 shown]
	;;#ASMSTART
	v_dot2_f32_f16 v75, v109, v93, v75
	;;#ASMEND
	;;#ASMSTART
	v_dot2_f32_f16 v75, v110, v94, v75
	;;#ASMEND
	;; [unrolled: 3-line block ×32, first 2 shown]
	s_barrier
	buffer_gl0_inv
	buffer_store_dword v12, off, s[0:3], 0
	buffer_store_dword v12, off, s[0:3], 0 offset:4
	buffer_store_dword v12, off, s[0:3], 0 offset:8
	;; [unrolled: 1-line block ×3, first 2 shown]
	flat_load_dwordx4 v[76:79], v[16:17]
	buffer_store_dword v12, off, s[0:3], 0
	buffer_store_dword v12, off, s[0:3], 0 offset:4
	buffer_store_dword v12, off, s[0:3], 0 offset:8
	;; [unrolled: 1-line block ×3, first 2 shown]
	s_waitcnt vmcnt(0) lgkmcnt(0)
	ds_write_b128 v13, v[76:79] offset:16384
	flat_load_dwordx4 v[14:17], v[14:15]
	s_waitcnt vmcnt(0) lgkmcnt(0)
	ds_write_b128 v13, v[14:17] offset:20992
	s_waitcnt lgkmcnt(0)
	s_waitcnt_vscnt null, 0x0
	s_barrier
	buffer_gl0_inv
	ds_read_b128 v[12:15], v11 offset:16384
	ds_read_b128 v[76:79], v19 offset:128
	ds_read_b128 v[93:96], v19 offset:384
	ds_read_b128 v[97:100], v19 offset:640
	ds_read_b128 v[101:104], v19 offset:896
	ds_read_b128 v[105:108], v11 offset:20992
	ds_read_b128 v[109:112], v19 offset:1152
	ds_read_b128 v[113:116], v19 offset:1408
	ds_read_b128 v[117:120], v19 offset:1664
	ds_read_b128 v[121:124], v19 offset:1920
	s_waitcnt lgkmcnt(8)
	;;#ASMSTART
	v_dot2_f32_f16 v10, v12, v76, v10
	;;#ASMEND
	;;#ASMSTART
	v_dot2_f32_f16 v10, v13, v77, v10
	;;#ASMEND
	;;#ASMSTART
	v_dot2_f32_f16 v10, v14, v78, v10
	;;#ASMEND
	;;#ASMSTART
	v_dot2_f32_f16 v10, v15, v79, v10
	;;#ASMEND
	s_waitcnt lgkmcnt(7)
	;;#ASMSTART
	v_dot2_f32_f16 v91, v12, v93, v91
	;;#ASMEND
	;;#ASMSTART
	v_dot2_f32_f16 v91, v13, v94, v91
	;;#ASMEND
	;;#ASMSTART
	v_dot2_f32_f16 v91, v14, v95, v91
	;;#ASMEND
	;;#ASMSTART
	v_dot2_f32_f16 v91, v15, v96, v91
	;;#ASMEND
	;; [unrolled: 13-line block ×8, first 2 shown]
	;;#ASMSTART
	v_dot2_f32_f16 v75, v105, v76, v75
	;;#ASMEND
	;;#ASMSTART
	v_dot2_f32_f16 v75, v106, v77, v75
	;;#ASMEND
	;; [unrolled: 3-line block ×32, first 2 shown]
	ds_read_b128 v[12:15], v11 offset:16400
	ds_read_b128 v[76:79], v19 offset:144
	;; [unrolled: 1-line block ×10, first 2 shown]
	s_waitcnt lgkmcnt(8)
	;;#ASMSTART
	v_dot2_f32_f16 v10, v12, v76, v10
	;;#ASMEND
	;;#ASMSTART
	v_dot2_f32_f16 v10, v13, v77, v10
	;;#ASMEND
	;;#ASMSTART
	v_dot2_f32_f16 v10, v14, v78, v10
	;;#ASMEND
	;;#ASMSTART
	v_dot2_f32_f16 v10, v15, v79, v10
	;;#ASMEND
	s_waitcnt lgkmcnt(7)
	;;#ASMSTART
	v_dot2_f32_f16 v91, v12, v93, v91
	;;#ASMEND
	;;#ASMSTART
	v_dot2_f32_f16 v91, v13, v94, v91
	;;#ASMEND
	;;#ASMSTART
	v_dot2_f32_f16 v91, v14, v95, v91
	;;#ASMEND
	;;#ASMSTART
	v_dot2_f32_f16 v91, v15, v96, v91
	;;#ASMEND
	;; [unrolled: 13-line block ×8, first 2 shown]
	;;#ASMSTART
	v_dot2_f32_f16 v75, v105, v76, v75
	;;#ASMEND
	;;#ASMSTART
	v_dot2_f32_f16 v75, v106, v77, v75
	;;#ASMEND
	;; [unrolled: 3-line block ×32, first 2 shown]
	ds_read_b128 v[12:15], v11 offset:16416
	ds_read_b128 v[76:79], v19 offset:160
	;; [unrolled: 1-line block ×10, first 2 shown]
	s_waitcnt lgkmcnt(8)
	;;#ASMSTART
	v_dot2_f32_f16 v10, v12, v76, v10
	;;#ASMEND
	;;#ASMSTART
	v_dot2_f32_f16 v10, v13, v77, v10
	;;#ASMEND
	;;#ASMSTART
	v_dot2_f32_f16 v10, v14, v78, v10
	;;#ASMEND
	;;#ASMSTART
	v_dot2_f32_f16 v10, v15, v79, v10
	;;#ASMEND
	s_waitcnt lgkmcnt(7)
	;;#ASMSTART
	v_dot2_f32_f16 v91, v12, v93, v91
	;;#ASMEND
	;;#ASMSTART
	v_dot2_f32_f16 v91, v13, v94, v91
	;;#ASMEND
	;;#ASMSTART
	v_dot2_f32_f16 v91, v14, v95, v91
	;;#ASMEND
	;;#ASMSTART
	v_dot2_f32_f16 v91, v15, v96, v91
	;;#ASMEND
	;; [unrolled: 13-line block ×8, first 2 shown]
	;;#ASMSTART
	v_dot2_f32_f16 v75, v105, v76, v75
	;;#ASMEND
	;;#ASMSTART
	v_dot2_f32_f16 v75, v106, v77, v75
	;;#ASMEND
	;; [unrolled: 3-line block ×32, first 2 shown]
	ds_read_b128 v[12:15], v11 offset:16432
	ds_read_b128 v[76:79], v19 offset:176
	;; [unrolled: 1-line block ×10, first 2 shown]
	s_waitcnt lgkmcnt(8)
	;;#ASMSTART
	v_dot2_f32_f16 v10, v12, v76, v10
	;;#ASMEND
	;;#ASMSTART
	v_dot2_f32_f16 v10, v13, v77, v10
	;;#ASMEND
	;;#ASMSTART
	v_dot2_f32_f16 v10, v14, v78, v10
	;;#ASMEND
	;;#ASMSTART
	v_dot2_f32_f16 v10, v15, v79, v10
	;;#ASMEND
	s_waitcnt lgkmcnt(7)
	;;#ASMSTART
	v_dot2_f32_f16 v91, v12, v93, v91
	;;#ASMEND
	;;#ASMSTART
	v_dot2_f32_f16 v91, v13, v94, v91
	;;#ASMEND
	;;#ASMSTART
	v_dot2_f32_f16 v91, v14, v95, v91
	;;#ASMEND
	;;#ASMSTART
	v_dot2_f32_f16 v91, v15, v96, v91
	;;#ASMEND
	;; [unrolled: 13-line block ×8, first 2 shown]
	;;#ASMSTART
	v_dot2_f32_f16 v75, v105, v76, v75
	;;#ASMEND
	;;#ASMSTART
	v_dot2_f32_f16 v75, v106, v77, v75
	;;#ASMEND
	;; [unrolled: 3-line block ×32, first 2 shown]
	ds_read_b128 v[12:15], v11 offset:16448
	ds_read_b128 v[76:79], v19 offset:192
	;; [unrolled: 1-line block ×10, first 2 shown]
	s_waitcnt lgkmcnt(8)
	;;#ASMSTART
	v_dot2_f32_f16 v10, v12, v76, v10
	;;#ASMEND
	;;#ASMSTART
	v_dot2_f32_f16 v10, v13, v77, v10
	;;#ASMEND
	;;#ASMSTART
	v_dot2_f32_f16 v10, v14, v78, v10
	;;#ASMEND
	;;#ASMSTART
	v_dot2_f32_f16 v10, v15, v79, v10
	;;#ASMEND
	s_waitcnt lgkmcnt(7)
	;;#ASMSTART
	v_dot2_f32_f16 v91, v12, v93, v91
	;;#ASMEND
	;;#ASMSTART
	v_dot2_f32_f16 v91, v13, v94, v91
	;;#ASMEND
	;;#ASMSTART
	v_dot2_f32_f16 v91, v14, v95, v91
	;;#ASMEND
	;;#ASMSTART
	v_dot2_f32_f16 v91, v15, v96, v91
	;;#ASMEND
	;; [unrolled: 13-line block ×8, first 2 shown]
	;;#ASMSTART
	v_dot2_f32_f16 v75, v105, v76, v75
	;;#ASMEND
	;;#ASMSTART
	v_dot2_f32_f16 v75, v106, v77, v75
	;;#ASMEND
	;;#ASMSTART
	v_dot2_f32_f16 v75, v107, v78, v75
	;;#ASMEND
	;;#ASMSTART
	v_dot2_f32_f16 v75, v108, v79, v75
	;;#ASMEND
	;;#ASMSTART
	v_dot2_f32_f16 v92, v105, v93, v92
	;;#ASMEND
	;;#ASMSTART
	v_dot2_f32_f16 v92, v106, v94, v92
	;;#ASMEND
	;;#ASMSTART
	v_dot2_f32_f16 v92, v107, v95, v92
	;;#ASMEND
	;;#ASMSTART
	v_dot2_f32_f16 v92, v108, v96, v92
	;;#ASMEND
	;;#ASMSTART
	v_dot2_f32_f16 v90, v105, v97, v90
	;;#ASMEND
	;;#ASMSTART
	v_dot2_f32_f16 v90, v106, v98, v90
	;;#ASMEND
	;;#ASMSTART
	v_dot2_f32_f16 v90, v107, v99, v90
	;;#ASMEND
	;;#ASMSTART
	v_dot2_f32_f16 v90, v108, v100, v90
	;;#ASMEND
	;;#ASMSTART
	v_dot2_f32_f16 v88, v105, v101, v88
	;;#ASMEND
	;;#ASMSTART
	v_dot2_f32_f16 v88, v106, v102, v88
	;;#ASMEND
	;;#ASMSTART
	v_dot2_f32_f16 v88, v107, v103, v88
	;;#ASMEND
	;;#ASMSTART
	v_dot2_f32_f16 v88, v108, v104, v88
	;;#ASMEND
	;;#ASMSTART
	v_dot2_f32_f16 v86, v105, v109, v86
	;;#ASMEND
	;;#ASMSTART
	v_dot2_f32_f16 v86, v106, v110, v86
	;;#ASMEND
	;;#ASMSTART
	v_dot2_f32_f16 v86, v107, v111, v86
	;;#ASMEND
	;;#ASMSTART
	v_dot2_f32_f16 v86, v108, v112, v86
	;;#ASMEND
	;;#ASMSTART
	v_dot2_f32_f16 v84, v105, v113, v84
	;;#ASMEND
	;;#ASMSTART
	v_dot2_f32_f16 v84, v106, v114, v84
	;;#ASMEND
	;;#ASMSTART
	v_dot2_f32_f16 v84, v107, v115, v84
	;;#ASMEND
	;;#ASMSTART
	v_dot2_f32_f16 v84, v108, v116, v84
	;;#ASMEND
	;;#ASMSTART
	v_dot2_f32_f16 v81, v105, v117, v81
	;;#ASMEND
	;;#ASMSTART
	v_dot2_f32_f16 v81, v106, v118, v81
	;;#ASMEND
	;;#ASMSTART
	v_dot2_f32_f16 v81, v107, v119, v81
	;;#ASMEND
	;;#ASMSTART
	v_dot2_f32_f16 v81, v108, v120, v81
	;;#ASMEND
	;;#ASMSTART
	v_dot2_f32_f16 v73, v105, v121, v73
	;;#ASMEND
	;;#ASMSTART
	v_dot2_f32_f16 v73, v106, v122, v73
	;;#ASMEND
	;;#ASMSTART
	v_dot2_f32_f16 v73, v107, v123, v73
	;;#ASMEND
	;;#ASMSTART
	v_dot2_f32_f16 v73, v108, v124, v73
	;;#ASMEND
	ds_read_b128 v[12:15], v11 offset:16464
	ds_read_b128 v[76:79], v19 offset:208
	;; [unrolled: 1-line block ×10, first 2 shown]
	s_waitcnt lgkmcnt(8)
	;;#ASMSTART
	v_dot2_f32_f16 v10, v12, v76, v10
	;;#ASMEND
	;;#ASMSTART
	v_dot2_f32_f16 v10, v13, v77, v10
	;;#ASMEND
	;;#ASMSTART
	v_dot2_f32_f16 v10, v14, v78, v10
	;;#ASMEND
	;;#ASMSTART
	v_dot2_f32_f16 v10, v15, v79, v10
	;;#ASMEND
	s_waitcnt lgkmcnt(7)
	;;#ASMSTART
	v_dot2_f32_f16 v91, v12, v93, v91
	;;#ASMEND
	;;#ASMSTART
	v_dot2_f32_f16 v91, v13, v94, v91
	;;#ASMEND
	;;#ASMSTART
	v_dot2_f32_f16 v91, v14, v95, v91
	;;#ASMEND
	;;#ASMSTART
	v_dot2_f32_f16 v91, v15, v96, v91
	;;#ASMEND
	;; [unrolled: 13-line block ×8, first 2 shown]
	;;#ASMSTART
	v_dot2_f32_f16 v75, v105, v76, v75
	;;#ASMEND
	;;#ASMSTART
	v_dot2_f32_f16 v75, v106, v77, v75
	;;#ASMEND
	;; [unrolled: 3-line block ×32, first 2 shown]
	ds_read_b128 v[12:15], v11 offset:16480
	ds_read_b128 v[76:79], v19 offset:224
	;; [unrolled: 1-line block ×10, first 2 shown]
	s_waitcnt lgkmcnt(8)
	;;#ASMSTART
	v_dot2_f32_f16 v10, v12, v76, v10
	;;#ASMEND
	;;#ASMSTART
	v_dot2_f32_f16 v10, v13, v77, v10
	;;#ASMEND
	;;#ASMSTART
	v_dot2_f32_f16 v10, v14, v78, v10
	;;#ASMEND
	;;#ASMSTART
	v_dot2_f32_f16 v10, v15, v79, v10
	;;#ASMEND
	s_waitcnt lgkmcnt(7)
	;;#ASMSTART
	v_dot2_f32_f16 v91, v12, v93, v91
	;;#ASMEND
	;;#ASMSTART
	v_dot2_f32_f16 v91, v13, v94, v91
	;;#ASMEND
	;;#ASMSTART
	v_dot2_f32_f16 v91, v14, v95, v91
	;;#ASMEND
	;;#ASMSTART
	v_dot2_f32_f16 v91, v15, v96, v91
	;;#ASMEND
	;; [unrolled: 13-line block ×8, first 2 shown]
	;;#ASMSTART
	v_dot2_f32_f16 v75, v105, v76, v75
	;;#ASMEND
	;;#ASMSTART
	v_dot2_f32_f16 v75, v106, v77, v75
	;;#ASMEND
	;;#ASMSTART
	v_dot2_f32_f16 v75, v107, v78, v75
	;;#ASMEND
	;;#ASMSTART
	v_dot2_f32_f16 v75, v108, v79, v75
	;;#ASMEND
	;;#ASMSTART
	v_dot2_f32_f16 v92, v105, v93, v92
	;;#ASMEND
	;;#ASMSTART
	v_dot2_f32_f16 v92, v106, v94, v92
	;;#ASMEND
	;;#ASMSTART
	v_dot2_f32_f16 v92, v107, v95, v92
	;;#ASMEND
	;;#ASMSTART
	v_dot2_f32_f16 v92, v108, v96, v92
	;;#ASMEND
	;;#ASMSTART
	v_dot2_f32_f16 v90, v105, v97, v90
	;;#ASMEND
	;;#ASMSTART
	v_dot2_f32_f16 v90, v106, v98, v90
	;;#ASMEND
	;;#ASMSTART
	v_dot2_f32_f16 v90, v107, v99, v90
	;;#ASMEND
	;;#ASMSTART
	v_dot2_f32_f16 v90, v108, v100, v90
	;;#ASMEND
	;;#ASMSTART
	v_dot2_f32_f16 v88, v105, v101, v88
	;;#ASMEND
	;;#ASMSTART
	v_dot2_f32_f16 v88, v106, v102, v88
	;;#ASMEND
	;;#ASMSTART
	v_dot2_f32_f16 v88, v107, v103, v88
	;;#ASMEND
	;;#ASMSTART
	v_dot2_f32_f16 v88, v108, v104, v88
	;;#ASMEND
	;;#ASMSTART
	v_dot2_f32_f16 v86, v105, v109, v86
	;;#ASMEND
	;;#ASMSTART
	v_dot2_f32_f16 v86, v106, v110, v86
	;;#ASMEND
	;;#ASMSTART
	v_dot2_f32_f16 v86, v107, v111, v86
	;;#ASMEND
	;;#ASMSTART
	v_dot2_f32_f16 v86, v108, v112, v86
	;;#ASMEND
	;;#ASMSTART
	v_dot2_f32_f16 v84, v105, v113, v84
	;;#ASMEND
	;;#ASMSTART
	v_dot2_f32_f16 v84, v106, v114, v84
	;;#ASMEND
	;;#ASMSTART
	v_dot2_f32_f16 v84, v107, v115, v84
	;;#ASMEND
	;;#ASMSTART
	v_dot2_f32_f16 v84, v108, v116, v84
	;;#ASMEND
	;;#ASMSTART
	v_dot2_f32_f16 v81, v105, v117, v81
	;;#ASMEND
	;;#ASMSTART
	v_dot2_f32_f16 v81, v106, v118, v81
	;;#ASMEND
	;;#ASMSTART
	v_dot2_f32_f16 v81, v107, v119, v81
	;;#ASMEND
	;;#ASMSTART
	v_dot2_f32_f16 v81, v108, v120, v81
	;;#ASMEND
	;;#ASMSTART
	v_dot2_f32_f16 v73, v105, v121, v73
	;;#ASMEND
	;;#ASMSTART
	v_dot2_f32_f16 v73, v106, v122, v73
	;;#ASMEND
	;;#ASMSTART
	v_dot2_f32_f16 v73, v107, v123, v73
	;;#ASMEND
	;;#ASMSTART
	v_dot2_f32_f16 v73, v108, v124, v73
	;;#ASMEND
	ds_read_b128 v[12:15], v11 offset:16496
	ds_read_b128 v[76:79], v19 offset:240
	;; [unrolled: 1-line block ×10, first 2 shown]
	s_waitcnt lgkmcnt(8)
	;;#ASMSTART
	v_dot2_f32_f16 v10, v12, v76, v10
	;;#ASMEND
	;;#ASMSTART
	v_dot2_f32_f16 v10, v13, v77, v10
	;;#ASMEND
	;;#ASMSTART
	v_dot2_f32_f16 v10, v14, v78, v10
	;;#ASMEND
	;;#ASMSTART
	v_dot2_f32_f16 v10, v15, v79, v10
	;;#ASMEND
	s_waitcnt lgkmcnt(7)
	;;#ASMSTART
	v_dot2_f32_f16 v91, v12, v93, v91
	;;#ASMEND
	;;#ASMSTART
	v_dot2_f32_f16 v91, v13, v94, v91
	;;#ASMEND
	;;#ASMSTART
	v_dot2_f32_f16 v91, v14, v95, v91
	;;#ASMEND
	;;#ASMSTART
	v_dot2_f32_f16 v91, v15, v96, v91
	;;#ASMEND
	;; [unrolled: 13-line block ×8, first 2 shown]
	;;#ASMSTART
	v_dot2_f32_f16 v75, v105, v76, v75
	;;#ASMEND
	;;#ASMSTART
	v_dot2_f32_f16 v75, v106, v77, v75
	;;#ASMEND
	;; [unrolled: 3-line block ×25, first 2 shown]
	v_cmp_ngt_f32_e64 s6, 0x3f200000, |v10|
	;;#ASMSTART
	v_dot2_f32_f16 v81, v106, v118, v81
	;;#ASMEND
	;;#ASMSTART
	v_dot2_f32_f16 v81, v107, v119, v81
	;;#ASMEND
	;; [unrolled: 3-line block ×7, first 2 shown]
                                        ; implicit-def: $vgpr11
	s_and_saveexec_b32 s7, s6
	s_xor_b32 s6, exec_lo, s7
	s_cbranch_execz .LBB86_121
; %bb.120:
	v_add_f32_e64 v11, |v10|, |v10|
	v_mul_f32_e32 v12, 0x3fb8aa3b, v11
	v_cmp_ngt_f32_e32 vcc_lo, 0xc2ce8ed0, v11
	v_rndne_f32_e32 v13, v12
	v_fma_f32 v14, 0x3fb8aa3b, v11, -v12
	v_sub_f32_e32 v12, v12, v13
	v_fmamk_f32 v14, v11, 0x32a5705f, v14
	v_cvt_i32_f32_e32 v13, v13
	v_add_f32_e32 v12, v12, v14
	v_exp_f32_e32 v12, v12
	v_ldexp_f32 v12, v12, v13
	v_cndmask_b32_e32 v12, 0, v12, vcc_lo
	v_cmp_nlt_f32_e32 vcc_lo, 0x42b17218, v11
	v_cndmask_b32_e32 v11, 0x7f800000, v12, vcc_lo
	v_add_f32_e32 v11, 1.0, v11
	v_rcp_f32_e32 v11, v11
	v_fma_f32 v11, v11, -2.0, 1.0
.LBB86_121:
	s_andn2_saveexec_b32 s6, s6
	s_cbranch_execz .LBB86_123
; %bb.122:
	v_mul_f32_e32 v11, v10, v10
	s_mov_b32 s7, 0xbbbac73d
	v_fmaak_f32 v12, s7, v11, 0x3ca908c9
	v_fmaak_f32 v12, v11, v12, 0xbd5c1c4e
	;; [unrolled: 1-line block ×4, first 2 shown]
	v_mul_f32_e64 v12, |v10|, v12
	v_fma_f32 v11, v11, v12, |v10|
.LBB86_123:
	s_or_b32 exec_lo, exec_lo, s6
	v_bfi_b32 v10, 0x7fffffff, v11, v10
	s_cmp_lg_u64 s[46:47], 0
	v_mad_u64_u32 v[18:19], null, v18, s22, s[8:9]
	s_cselect_b32 s11, -1, 0
	v_mul_f32_e32 v94, s19, v10
	v_mov_b32_e32 v17, v9
	v_cmp_gt_i32_e64 s6, s10, v0
	v_cndmask_b32_e64 v95, 0, 1, s11
	v_mov_b32_e32 v16, v8
	v_mov_b32_e32 v15, v7
	;; [unrolled: 1-line block ×7, first 2 shown]
	s_and_saveexec_b32 s7, s6
	s_cbranch_execz .LBB86_128
; %bb.124:
	s_andn2_b32 vcc_lo, exec_lo, s11
	s_cbranch_vccnz .LBB86_126
; %bb.125:
	v_add_nc_u32_e32 v10, v18, v0
	v_ashrrev_i32_e32 v11, 31, v10
	v_lshlrev_b64 v[10:11], 1, v[10:11]
	v_add_co_u32 v10, vcc_lo, s46, v10
	v_add_co_ci_u32_e64 v11, null, s47, v11, vcc_lo
	global_load_ushort v10, v[10:11], off
	s_waitcnt vmcnt(0)
	v_cvt_f32_f16_e32 v10, v10
	v_mul_f32_e32 v10, v24, v10
	s_branch .LBB86_127
.LBB86_126:
	v_mov_b32_e32 v10, 0
.LBB86_127:
	v_add_f32_e32 v94, v94, v10
	v_max_f32_e32 v11, v2, v2
	v_add_f32_e32 v10, 0x40051340, v94
	v_max_f32_e32 v19, v11, v10
	v_mov_b32_e32 v17, v9
	v_mov_b32_e32 v10, v2
	v_mov_b32_e32 v16, v8
	v_mov_b32_e32 v15, v7
	v_mov_b32_e32 v14, v6
	v_mov_b32_e32 v13, v5
	v_mov_b32_e32 v12, v4
	v_mov_b32_e32 v11, v3
	v_mov_b32_e32 v10, v19
.LBB86_128:
	s_or_b32 exec_lo, exec_lo, s7
	v_cmp_ngt_f32_e64 s7, 0x3f200000, |v75|
                                        ; implicit-def: $vgpr19
	s_and_saveexec_b32 s11, s7
	s_xor_b32 s7, exec_lo, s11
	s_cbranch_execz .LBB86_130
; %bb.129:
	v_add_f32_e64 v19, |v75|, |v75|
	v_mul_f32_e32 v76, 0x3fb8aa3b, v19
	v_cmp_ngt_f32_e32 vcc_lo, 0xc2ce8ed0, v19
	v_rndne_f32_e32 v77, v76
	v_fma_f32 v78, 0x3fb8aa3b, v19, -v76
	v_sub_f32_e32 v76, v76, v77
	v_fmamk_f32 v78, v19, 0x32a5705f, v78
	v_cvt_i32_f32_e32 v77, v77
	v_add_f32_e32 v76, v76, v78
	v_exp_f32_e32 v76, v76
	v_ldexp_f32 v76, v76, v77
	v_cndmask_b32_e32 v76, 0, v76, vcc_lo
	v_cmp_nlt_f32_e32 vcc_lo, 0x42b17218, v19
	v_cndmask_b32_e32 v19, 0x7f800000, v76, vcc_lo
	v_add_f32_e32 v19, 1.0, v19
	v_rcp_f32_e32 v19, v19
	v_fma_f32 v19, v19, -2.0, 1.0
.LBB86_130:
	s_andn2_saveexec_b32 s7, s7
	s_cbranch_execz .LBB86_132
; %bb.131:
	v_mul_f32_e32 v19, v75, v75
	s_mov_b32 s11, 0xbbbac73d
	v_fmaak_f32 v76, s11, v19, 0x3ca908c9
	v_fmaak_f32 v76, v19, v76, 0xbd5c1c4e
	;; [unrolled: 1-line block ×4, first 2 shown]
	v_mul_f32_e64 v76, |v75|, v76
	v_fma_f32 v19, v19, v76, |v75|
.LBB86_132:
	s_or_b32 exec_lo, exec_lo, s7
	v_bfi_b32 v19, 0x7fffffff, v19, v75
	v_add_nc_u32_e32 v93, 32, v0
	v_mul_f32_e32 v96, s19, v19
	v_cmp_gt_i32_e64 s7, s10, v93
	s_and_saveexec_b32 s11, s7
	s_cbranch_execz .LBB86_137
; %bb.133:
	v_cmp_ne_u32_e32 vcc_lo, 1, v95
	s_cbranch_vccnz .LBB86_135
; %bb.134:
	v_ashrrev_i32_e32 v19, 31, v18
	v_add_co_u32 v18, vcc_lo, v18, v0
	v_add_co_ci_u32_e64 v19, null, 0, v19, vcc_lo
	v_lshlrev_b64 v[18:19], 1, v[18:19]
	v_add_co_u32 v18, vcc_lo, s46, v18
	v_add_co_ci_u32_e64 v19, null, s47, v19, vcc_lo
	global_load_ushort v18, v[18:19], off offset:64
	s_waitcnt vmcnt(0)
	v_cvt_f32_f16_e32 v18, v18
	v_mul_f32_e32 v18, v24, v18
	s_branch .LBB86_136
.LBB86_135:
	v_mov_b32_e32 v18, 0
.LBB86_136:
	v_add_f32_e32 v96, v96, v18
	v_max_f32_e32 v10, v10, v10
	v_add_f32_e32 v18, 0x40051340, v96
	v_max_f32_e32 v10, v10, v18
.LBB86_137:
	s_or_b32 exec_lo, exec_lo, s11
	v_xor_b32_e32 v80, 16, v20
	v_xor_b32_e32 v79, 8, v20
	;; [unrolled: 1-line block ×5, first 2 shown]
	v_cmp_gt_i32_e32 vcc_lo, 32, v80
	v_mov_b32_e32 v75, 32
	v_cmp_ngt_f32_e64 s11, 0x3f200000, |v91|
	v_cndmask_b32_e32 v18, v20, v80, vcc_lo
	v_cmp_gt_i32_e32 vcc_lo, 32, v79
	v_lshlrev_b32_e32 v97, 2, v18
	v_cndmask_b32_e32 v19, v20, v79, vcc_lo
	v_cmp_gt_i32_e32 vcc_lo, 32, v78
	ds_bpermute_b32 v18, v97, v10
	v_max_f32_e32 v10, v10, v10
	v_lshlrev_b32_e32 v98, 2, v19
	v_cndmask_b32_e32 v19, v20, v78, vcc_lo
	v_cmp_gt_i32_e32 vcc_lo, 32, v77
	v_lshlrev_b32_e32 v99, 2, v19
	v_cndmask_b32_e32 v19, v20, v77, vcc_lo
	v_cmp_gt_i32_e32 vcc_lo, 32, v76
	v_lshlrev_b32_e32 v100, 2, v19
	v_cndmask_b32_e32 v19, v20, v76, vcc_lo
	v_lshlrev_b32_e32 v101, 2, v19
	s_waitcnt lgkmcnt(0)
	v_max_f32_e32 v18, v18, v18
                                        ; implicit-def: $vgpr19
	v_max_f32_e32 v10, v10, v18
	ds_bpermute_b32 v18, v98, v10
	s_waitcnt lgkmcnt(0)
	v_max_f32_e32 v18, v18, v18
	v_max_f32_e32 v10, v10, v18
	ds_bpermute_b32 v18, v99, v10
	s_waitcnt lgkmcnt(0)
	v_max_f32_e32 v18, v18, v18
	;; [unrolled: 4-line block ×3, first 2 shown]
	v_max_f32_e32 v10, v10, v18
	ds_bpermute_b32 v18, v101, v10
	s_and_saveexec_b32 s14, s11
	s_xor_b32 s11, exec_lo, s14
	s_cbranch_execz .LBB86_139
; %bb.138:
	v_add_f32_e64 v19, |v91|, |v91|
	v_mul_f32_e32 v102, 0x3fb8aa3b, v19
	v_cmp_ngt_f32_e32 vcc_lo, 0xc2ce8ed0, v19
	v_rndne_f32_e32 v103, v102
	v_fma_f32 v104, 0x3fb8aa3b, v19, -v102
	v_sub_f32_e32 v102, v102, v103
	v_fmamk_f32 v104, v19, 0x32a5705f, v104
	v_cvt_i32_f32_e32 v103, v103
	v_add_f32_e32 v102, v102, v104
	v_exp_f32_e32 v102, v102
	v_ldexp_f32 v102, v102, v103
	v_cndmask_b32_e32 v102, 0, v102, vcc_lo
	v_cmp_nlt_f32_e32 vcc_lo, 0x42b17218, v19
	v_cndmask_b32_e32 v19, 0x7f800000, v102, vcc_lo
	v_add_f32_e32 v19, 1.0, v19
	v_rcp_f32_e32 v19, v19
	v_fma_f32 v19, v19, -2.0, 1.0
.LBB86_139:
	s_andn2_saveexec_b32 s11, s11
	s_cbranch_execz .LBB86_141
; %bb.140:
	v_mul_f32_e32 v19, v91, v91
	s_mov_b32 s14, 0xbbbac73d
	v_fmaak_f32 v102, s14, v19, 0x3ca908c9
	v_fmaak_f32 v102, v19, v102, 0xbd5c1c4e
	;; [unrolled: 1-line block ×4, first 2 shown]
	v_mul_f32_e64 v102, |v91|, v102
	v_fma_f32 v19, v19, v102, |v91|
.LBB86_141:
	s_or_b32 exec_lo, exec_lo, s11
	v_mul_hi_u32 v102, s28, v48
	v_max_f32_e32 v10, v10, v10
	v_bfi_b32 v91, 0x7fffffff, v19, v91
	v_add_nc_u32_e32 v102, v48, v102
	v_lshrrev_b32_e32 v102, s29, v102
	v_mul_lo_u32 v102, v102, s30
	v_sub_nc_u32_e32 v48, v48, v102
	s_waitcnt lgkmcnt(0)
	v_max_f32_e32 v102, v18, v18
	v_mad_u64_u32 v[18:19], null, v48, s22, s[8:9]
	v_max_f32_e32 v10, v10, v102
	v_mul_f32_e32 v48, s19, v91
	s_and_saveexec_b32 s11, s6
	s_cbranch_execz .LBB86_146
; %bb.142:
	v_cmp_ne_u32_e32 vcc_lo, 1, v95
	s_cbranch_vccnz .LBB86_144
; %bb.143:
	v_add_nc_u32_e32 v102, v18, v0
	v_ashrrev_i32_e32 v103, 31, v102
	v_lshlrev_b64 v[102:103], 1, v[102:103]
	v_add_co_u32 v102, vcc_lo, s46, v102
	v_add_co_ci_u32_e64 v103, null, s47, v103, vcc_lo
	global_load_ushort v19, v[102:103], off
	s_waitcnt vmcnt(0)
	v_cvt_f32_f16_e32 v19, v19
	v_mul_f32_e32 v19, v24, v19
	s_branch .LBB86_145
.LBB86_144:
	v_mov_b32_e32 v19, 0
.LBB86_145:
	v_add_f32_e32 v48, v48, v19
	v_max_f32_e32 v11, v11, v11
	v_add_f32_e32 v19, 0x40051340, v48
	v_max_f32_e32 v11, v11, v19
.LBB86_146:
	s_or_b32 exec_lo, exec_lo, s11
	v_cmp_ngt_f32_e64 s11, 0x3f200000, |v92|
                                        ; implicit-def: $vgpr19
	s_and_saveexec_b32 s14, s11
	s_xor_b32 s11, exec_lo, s14
	s_cbranch_execz .LBB86_148
; %bb.147:
	v_add_f32_e64 v19, |v92|, |v92|
	v_mul_f32_e32 v91, 0x3fb8aa3b, v19
	v_cmp_ngt_f32_e32 vcc_lo, 0xc2ce8ed0, v19
	v_rndne_f32_e32 v102, v91
	v_fma_f32 v103, 0x3fb8aa3b, v19, -v91
	v_sub_f32_e32 v91, v91, v102
	v_fmamk_f32 v103, v19, 0x32a5705f, v103
	v_cvt_i32_f32_e32 v102, v102
	v_add_f32_e32 v91, v91, v103
	v_exp_f32_e32 v91, v91
	v_ldexp_f32 v91, v91, v102
	v_cndmask_b32_e32 v91, 0, v91, vcc_lo
	v_cmp_nlt_f32_e32 vcc_lo, 0x42b17218, v19
	v_cndmask_b32_e32 v19, 0x7f800000, v91, vcc_lo
	v_add_f32_e32 v19, 1.0, v19
	v_rcp_f32_e32 v19, v19
	v_fma_f32 v19, v19, -2.0, 1.0
.LBB86_148:
	s_andn2_saveexec_b32 s11, s11
	s_cbranch_execz .LBB86_150
; %bb.149:
	v_mul_f32_e32 v19, v92, v92
	s_mov_b32 s14, 0xbbbac73d
	v_fmaak_f32 v91, s14, v19, 0x3ca908c9
	v_fmaak_f32 v91, v19, v91, 0xbd5c1c4e
	;; [unrolled: 1-line block ×4, first 2 shown]
	v_mul_f32_e64 v91, |v92|, v91
	v_fma_f32 v19, v19, v91, |v92|
.LBB86_150:
	s_or_b32 exec_lo, exec_lo, s11
	v_bfi_b32 v19, 0x7fffffff, v19, v92
	v_mul_f32_e32 v91, s19, v19
	s_and_saveexec_b32 s11, s7
	s_cbranch_execz .LBB86_155
; %bb.151:
	v_cmp_ne_u32_e32 vcc_lo, 1, v95
	s_cbranch_vccnz .LBB86_153
; %bb.152:
	v_ashrrev_i32_e32 v19, 31, v18
	v_add_co_u32 v18, vcc_lo, v18, v0
	v_add_co_ci_u32_e64 v19, null, 0, v19, vcc_lo
	v_lshlrev_b64 v[18:19], 1, v[18:19]
	v_add_co_u32 v18, vcc_lo, s46, v18
	v_add_co_ci_u32_e64 v19, null, s47, v19, vcc_lo
	global_load_ushort v18, v[18:19], off offset:64
	s_waitcnt vmcnt(0)
	v_cvt_f32_f16_e32 v18, v18
	v_mul_f32_e32 v18, v24, v18
	s_branch .LBB86_154
.LBB86_153:
	v_mov_b32_e32 v18, 0
.LBB86_154:
	v_add_f32_e32 v91, v91, v18
	v_max_f32_e32 v11, v11, v11
	v_add_f32_e32 v18, 0x40051340, v91
	v_max_f32_e32 v11, v11, v18
.LBB86_155:
	s_or_b32 exec_lo, exec_lo, s11
	ds_bpermute_b32 v18, v97, v11
	v_max_f32_e32 v11, v11, v11
	v_cmp_ngt_f32_e64 s11, 0x3f200000, |v89|
                                        ; implicit-def: $vgpr19
	s_waitcnt lgkmcnt(0)
	v_max_f32_e32 v18, v18, v18
	v_max_f32_e32 v11, v11, v18
	ds_bpermute_b32 v18, v98, v11
	s_waitcnt lgkmcnt(0)
	v_max_f32_e32 v18, v18, v18
	v_max_f32_e32 v11, v11, v18
	ds_bpermute_b32 v18, v99, v11
	;; [unrolled: 4-line block ×4, first 2 shown]
	s_and_saveexec_b32 s14, s11
	s_xor_b32 s11, exec_lo, s14
	s_cbranch_execz .LBB86_157
; %bb.156:
	v_add_f32_e64 v19, |v89|, |v89|
	v_mul_f32_e32 v92, 0x3fb8aa3b, v19
	v_cmp_ngt_f32_e32 vcc_lo, 0xc2ce8ed0, v19
	v_rndne_f32_e32 v102, v92
	v_fma_f32 v103, 0x3fb8aa3b, v19, -v92
	v_sub_f32_e32 v92, v92, v102
	v_fmamk_f32 v103, v19, 0x32a5705f, v103
	v_cvt_i32_f32_e32 v102, v102
	v_add_f32_e32 v92, v92, v103
	v_exp_f32_e32 v92, v92
	v_ldexp_f32 v92, v92, v102
	v_cndmask_b32_e32 v92, 0, v92, vcc_lo
	v_cmp_nlt_f32_e32 vcc_lo, 0x42b17218, v19
	v_cndmask_b32_e32 v19, 0x7f800000, v92, vcc_lo
	v_add_f32_e32 v19, 1.0, v19
	v_rcp_f32_e32 v19, v19
	v_fma_f32 v19, v19, -2.0, 1.0
.LBB86_157:
	s_andn2_saveexec_b32 s11, s11
	s_cbranch_execz .LBB86_159
; %bb.158:
	v_mul_f32_e32 v19, v89, v89
	s_mov_b32 s14, 0xbbbac73d
	v_fmaak_f32 v92, s14, v19, 0x3ca908c9
	v_fmaak_f32 v92, v19, v92, 0xbd5c1c4e
	v_fmaak_f32 v92, v19, v92, 0x3e088382
	v_fmaak_f32 v92, v19, v92, 0xbeaaaa99
	v_mul_f32_e64 v92, |v89|, v92
	v_fma_f32 v19, v19, v92, |v89|
.LBB86_159:
	s_or_b32 exec_lo, exec_lo, s11
	v_mul_hi_u32 v92, s28, v47
	v_max_f32_e32 v11, v11, v11
	v_bfi_b32 v89, 0x7fffffff, v19, v89
	v_add_nc_u32_e32 v92, v47, v92
	v_lshrrev_b32_e32 v92, s29, v92
	v_mul_lo_u32 v92, v92, s30
	v_sub_nc_u32_e32 v47, v47, v92
	s_waitcnt lgkmcnt(0)
	v_max_f32_e32 v92, v18, v18
	v_mad_u64_u32 v[18:19], null, v47, s22, s[8:9]
	v_max_f32_e32 v11, v11, v92
	v_mul_f32_e32 v47, s19, v89
	s_and_saveexec_b32 s11, s6
	s_cbranch_execz .LBB86_164
; %bb.160:
	v_cmp_ne_u32_e32 vcc_lo, 1, v95
	s_cbranch_vccnz .LBB86_162
; %bb.161:
	v_add_nc_u32_e32 v102, v18, v0
	v_ashrrev_i32_e32 v103, 31, v102
	v_lshlrev_b64 v[102:103], 1, v[102:103]
	v_add_co_u32 v102, vcc_lo, s46, v102
	v_add_co_ci_u32_e64 v103, null, s47, v103, vcc_lo
	global_load_ushort v19, v[102:103], off
	s_waitcnt vmcnt(0)
	v_cvt_f32_f16_e32 v19, v19
	v_mul_f32_e32 v19, v24, v19
	s_branch .LBB86_163
.LBB86_162:
	v_mov_b32_e32 v19, 0
.LBB86_163:
	v_add_f32_e32 v47, v47, v19
	v_max_f32_e32 v12, v12, v12
	v_add_f32_e32 v19, 0x40051340, v47
	v_max_f32_e32 v12, v12, v19
.LBB86_164:
	s_or_b32 exec_lo, exec_lo, s11
	v_cmp_ngt_f32_e64 s11, 0x3f200000, |v90|
                                        ; implicit-def: $vgpr19
	s_and_saveexec_b32 s14, s11
	s_xor_b32 s11, exec_lo, s14
	s_cbranch_execz .LBB86_166
; %bb.165:
	v_add_f32_e64 v19, |v90|, |v90|
	v_mul_f32_e32 v89, 0x3fb8aa3b, v19
	v_cmp_ngt_f32_e32 vcc_lo, 0xc2ce8ed0, v19
	v_rndne_f32_e32 v92, v89
	v_fma_f32 v102, 0x3fb8aa3b, v19, -v89
	v_sub_f32_e32 v89, v89, v92
	v_fmamk_f32 v102, v19, 0x32a5705f, v102
	v_cvt_i32_f32_e32 v92, v92
	v_add_f32_e32 v89, v89, v102
	v_exp_f32_e32 v89, v89
	v_ldexp_f32 v89, v89, v92
	v_cndmask_b32_e32 v89, 0, v89, vcc_lo
	v_cmp_nlt_f32_e32 vcc_lo, 0x42b17218, v19
	v_cndmask_b32_e32 v19, 0x7f800000, v89, vcc_lo
	v_add_f32_e32 v19, 1.0, v19
	v_rcp_f32_e32 v19, v19
	v_fma_f32 v19, v19, -2.0, 1.0
.LBB86_166:
	s_andn2_saveexec_b32 s11, s11
	s_cbranch_execz .LBB86_168
; %bb.167:
	v_mul_f32_e32 v19, v90, v90
	s_mov_b32 s14, 0xbbbac73d
	v_fmaak_f32 v89, s14, v19, 0x3ca908c9
	v_fmaak_f32 v89, v19, v89, 0xbd5c1c4e
	;; [unrolled: 1-line block ×4, first 2 shown]
	v_mul_f32_e64 v89, |v90|, v89
	v_fma_f32 v19, v19, v89, |v90|
.LBB86_168:
	s_or_b32 exec_lo, exec_lo, s11
	v_bfi_b32 v19, 0x7fffffff, v19, v90
	v_mul_f32_e32 v89, s19, v19
	s_and_saveexec_b32 s11, s7
	s_cbranch_execz .LBB86_173
; %bb.169:
	v_cmp_ne_u32_e32 vcc_lo, 1, v95
	s_cbranch_vccnz .LBB86_171
; %bb.170:
	v_ashrrev_i32_e32 v19, 31, v18
	v_add_co_u32 v18, vcc_lo, v18, v0
	v_add_co_ci_u32_e64 v19, null, 0, v19, vcc_lo
	v_lshlrev_b64 v[18:19], 1, v[18:19]
	v_add_co_u32 v18, vcc_lo, s46, v18
	v_add_co_ci_u32_e64 v19, null, s47, v19, vcc_lo
	global_load_ushort v18, v[18:19], off offset:64
	s_waitcnt vmcnt(0)
	v_cvt_f32_f16_e32 v18, v18
	v_mul_f32_e32 v18, v24, v18
	s_branch .LBB86_172
.LBB86_171:
	v_mov_b32_e32 v18, 0
.LBB86_172:
	v_add_f32_e32 v89, v89, v18
	v_max_f32_e32 v12, v12, v12
	v_add_f32_e32 v18, 0x40051340, v89
	v_max_f32_e32 v12, v12, v18
.LBB86_173:
	s_or_b32 exec_lo, exec_lo, s11
	ds_bpermute_b32 v18, v97, v12
	v_max_f32_e32 v12, v12, v12
	v_cmp_ngt_f32_e64 s11, 0x3f200000, |v87|
                                        ; implicit-def: $vgpr19
	s_waitcnt lgkmcnt(0)
	v_max_f32_e32 v18, v18, v18
	v_max_f32_e32 v12, v12, v18
	ds_bpermute_b32 v18, v98, v12
	s_waitcnt lgkmcnt(0)
	v_max_f32_e32 v18, v18, v18
	v_max_f32_e32 v12, v12, v18
	ds_bpermute_b32 v18, v99, v12
	;; [unrolled: 4-line block ×4, first 2 shown]
	s_and_saveexec_b32 s14, s11
	s_xor_b32 s11, exec_lo, s14
	s_cbranch_execz .LBB86_175
; %bb.174:
	v_add_f32_e64 v19, |v87|, |v87|
	v_mul_f32_e32 v90, 0x3fb8aa3b, v19
	v_cmp_ngt_f32_e32 vcc_lo, 0xc2ce8ed0, v19
	v_rndne_f32_e32 v92, v90
	v_fma_f32 v102, 0x3fb8aa3b, v19, -v90
	v_sub_f32_e32 v90, v90, v92
	v_fmamk_f32 v102, v19, 0x32a5705f, v102
	v_cvt_i32_f32_e32 v92, v92
	v_add_f32_e32 v90, v90, v102
	v_exp_f32_e32 v90, v90
	v_ldexp_f32 v90, v90, v92
	v_cndmask_b32_e32 v90, 0, v90, vcc_lo
	v_cmp_nlt_f32_e32 vcc_lo, 0x42b17218, v19
	v_cndmask_b32_e32 v19, 0x7f800000, v90, vcc_lo
	v_add_f32_e32 v19, 1.0, v19
	v_rcp_f32_e32 v19, v19
	v_fma_f32 v19, v19, -2.0, 1.0
.LBB86_175:
	s_andn2_saveexec_b32 s11, s11
	s_cbranch_execz .LBB86_177
; %bb.176:
	v_mul_f32_e32 v19, v87, v87
	s_mov_b32 s14, 0xbbbac73d
	v_fmaak_f32 v90, s14, v19, 0x3ca908c9
	v_fmaak_f32 v90, v19, v90, 0xbd5c1c4e
	;; [unrolled: 1-line block ×4, first 2 shown]
	v_mul_f32_e64 v90, |v87|, v90
	v_fma_f32 v19, v19, v90, |v87|
.LBB86_177:
	s_or_b32 exec_lo, exec_lo, s11
	v_mul_hi_u32 v90, s28, v46
	v_max_f32_e32 v12, v12, v12
	v_bfi_b32 v87, 0x7fffffff, v19, v87
	v_add_nc_u32_e32 v90, v46, v90
	v_lshrrev_b32_e32 v90, s29, v90
	v_mul_lo_u32 v90, v90, s30
	v_sub_nc_u32_e32 v46, v46, v90
	s_waitcnt lgkmcnt(0)
	v_max_f32_e32 v90, v18, v18
	v_mad_u64_u32 v[18:19], null, v46, s22, s[8:9]
	v_max_f32_e32 v12, v12, v90
	v_mul_f32_e32 v46, s19, v87
	s_and_saveexec_b32 s11, s6
	s_cbranch_execz .LBB86_182
; %bb.178:
	v_cmp_ne_u32_e32 vcc_lo, 1, v95
	s_cbranch_vccnz .LBB86_180
; %bb.179:
	v_add_nc_u32_e32 v102, v18, v0
	v_ashrrev_i32_e32 v103, 31, v102
	v_lshlrev_b64 v[102:103], 1, v[102:103]
	v_add_co_u32 v102, vcc_lo, s46, v102
	v_add_co_ci_u32_e64 v103, null, s47, v103, vcc_lo
	global_load_ushort v19, v[102:103], off
	s_waitcnt vmcnt(0)
	v_cvt_f32_f16_e32 v19, v19
	v_mul_f32_e32 v19, v24, v19
	s_branch .LBB86_181
.LBB86_180:
	v_mov_b32_e32 v19, 0
.LBB86_181:
	v_add_f32_e32 v46, v46, v19
	v_max_f32_e32 v13, v13, v13
	v_add_f32_e32 v19, 0x40051340, v46
	v_max_f32_e32 v13, v13, v19
.LBB86_182:
	s_or_b32 exec_lo, exec_lo, s11
	v_cmp_ngt_f32_e64 s11, 0x3f200000, |v88|
                                        ; implicit-def: $vgpr19
	s_and_saveexec_b32 s14, s11
	s_xor_b32 s11, exec_lo, s14
	s_cbranch_execz .LBB86_184
; %bb.183:
	v_add_f32_e64 v19, |v88|, |v88|
	v_mul_f32_e32 v87, 0x3fb8aa3b, v19
	v_cmp_ngt_f32_e32 vcc_lo, 0xc2ce8ed0, v19
	v_rndne_f32_e32 v90, v87
	v_fma_f32 v92, 0x3fb8aa3b, v19, -v87
	v_sub_f32_e32 v87, v87, v90
	v_fmamk_f32 v92, v19, 0x32a5705f, v92
	v_cvt_i32_f32_e32 v90, v90
	v_add_f32_e32 v87, v87, v92
	v_exp_f32_e32 v87, v87
	v_ldexp_f32 v87, v87, v90
	v_cndmask_b32_e32 v87, 0, v87, vcc_lo
	v_cmp_nlt_f32_e32 vcc_lo, 0x42b17218, v19
	v_cndmask_b32_e32 v19, 0x7f800000, v87, vcc_lo
	v_add_f32_e32 v19, 1.0, v19
	v_rcp_f32_e32 v19, v19
	v_fma_f32 v19, v19, -2.0, 1.0
.LBB86_184:
	s_andn2_saveexec_b32 s11, s11
	s_cbranch_execz .LBB86_186
; %bb.185:
	v_mul_f32_e32 v19, v88, v88
	s_mov_b32 s14, 0xbbbac73d
	v_fmaak_f32 v87, s14, v19, 0x3ca908c9
	v_fmaak_f32 v87, v19, v87, 0xbd5c1c4e
	;; [unrolled: 1-line block ×4, first 2 shown]
	v_mul_f32_e64 v87, |v88|, v87
	v_fma_f32 v19, v19, v87, |v88|
.LBB86_186:
	s_or_b32 exec_lo, exec_lo, s11
	v_bfi_b32 v19, 0x7fffffff, v19, v88
	v_mul_f32_e32 v87, s19, v19
	s_and_saveexec_b32 s11, s7
	s_cbranch_execz .LBB86_191
; %bb.187:
	v_cmp_ne_u32_e32 vcc_lo, 1, v95
	s_cbranch_vccnz .LBB86_189
; %bb.188:
	v_ashrrev_i32_e32 v19, 31, v18
	v_add_co_u32 v18, vcc_lo, v18, v0
	v_add_co_ci_u32_e64 v19, null, 0, v19, vcc_lo
	v_lshlrev_b64 v[18:19], 1, v[18:19]
	v_add_co_u32 v18, vcc_lo, s46, v18
	v_add_co_ci_u32_e64 v19, null, s47, v19, vcc_lo
	global_load_ushort v18, v[18:19], off offset:64
	s_waitcnt vmcnt(0)
	v_cvt_f32_f16_e32 v18, v18
	v_mul_f32_e32 v18, v24, v18
	s_branch .LBB86_190
.LBB86_189:
	v_mov_b32_e32 v18, 0
.LBB86_190:
	v_add_f32_e32 v87, v87, v18
	v_max_f32_e32 v13, v13, v13
	v_add_f32_e32 v18, 0x40051340, v87
	v_max_f32_e32 v13, v13, v18
.LBB86_191:
	s_or_b32 exec_lo, exec_lo, s11
	ds_bpermute_b32 v18, v97, v13
	v_max_f32_e32 v13, v13, v13
	v_cmp_ngt_f32_e64 s11, 0x3f200000, |v85|
                                        ; implicit-def: $vgpr19
	s_waitcnt lgkmcnt(0)
	v_max_f32_e32 v18, v18, v18
	v_max_f32_e32 v13, v13, v18
	ds_bpermute_b32 v18, v98, v13
	s_waitcnt lgkmcnt(0)
	v_max_f32_e32 v18, v18, v18
	v_max_f32_e32 v13, v13, v18
	ds_bpermute_b32 v18, v99, v13
	;; [unrolled: 4-line block ×4, first 2 shown]
	s_and_saveexec_b32 s14, s11
	s_xor_b32 s11, exec_lo, s14
	s_cbranch_execz .LBB86_193
; %bb.192:
	v_add_f32_e64 v19, |v85|, |v85|
	v_mul_f32_e32 v88, 0x3fb8aa3b, v19
	v_cmp_ngt_f32_e32 vcc_lo, 0xc2ce8ed0, v19
	v_rndne_f32_e32 v90, v88
	v_fma_f32 v92, 0x3fb8aa3b, v19, -v88
	v_sub_f32_e32 v88, v88, v90
	v_fmamk_f32 v92, v19, 0x32a5705f, v92
	v_cvt_i32_f32_e32 v90, v90
	v_add_f32_e32 v88, v88, v92
	v_exp_f32_e32 v88, v88
	v_ldexp_f32 v88, v88, v90
	v_cndmask_b32_e32 v88, 0, v88, vcc_lo
	v_cmp_nlt_f32_e32 vcc_lo, 0x42b17218, v19
	v_cndmask_b32_e32 v19, 0x7f800000, v88, vcc_lo
	v_add_f32_e32 v19, 1.0, v19
	v_rcp_f32_e32 v19, v19
	v_fma_f32 v19, v19, -2.0, 1.0
.LBB86_193:
	s_andn2_saveexec_b32 s11, s11
	s_cbranch_execz .LBB86_195
; %bb.194:
	v_mul_f32_e32 v19, v85, v85
	s_mov_b32 s14, 0xbbbac73d
	v_fmaak_f32 v88, s14, v19, 0x3ca908c9
	v_fmaak_f32 v88, v19, v88, 0xbd5c1c4e
	;; [unrolled: 1-line block ×4, first 2 shown]
	v_mul_f32_e64 v88, |v85|, v88
	v_fma_f32 v19, v19, v88, |v85|
.LBB86_195:
	s_or_b32 exec_lo, exec_lo, s11
	v_mul_hi_u32 v88, s28, v45
	v_max_f32_e32 v13, v13, v13
	v_bfi_b32 v85, 0x7fffffff, v19, v85
	v_add_nc_u32_e32 v88, v45, v88
	v_lshrrev_b32_e32 v88, s29, v88
	v_mul_lo_u32 v88, v88, s30
	v_sub_nc_u32_e32 v45, v45, v88
	s_waitcnt lgkmcnt(0)
	v_max_f32_e32 v88, v18, v18
	v_mad_u64_u32 v[18:19], null, v45, s22, s[8:9]
	v_max_f32_e32 v13, v13, v88
	v_mul_f32_e32 v45, s19, v85
	s_and_saveexec_b32 s11, s6
	s_cbranch_execz .LBB86_200
; %bb.196:
	v_cmp_ne_u32_e32 vcc_lo, 1, v95
	s_cbranch_vccnz .LBB86_198
; %bb.197:
	v_add_nc_u32_e32 v102, v18, v0
	v_ashrrev_i32_e32 v103, 31, v102
	v_lshlrev_b64 v[102:103], 1, v[102:103]
	v_add_co_u32 v102, vcc_lo, s46, v102
	v_add_co_ci_u32_e64 v103, null, s47, v103, vcc_lo
	global_load_ushort v19, v[102:103], off
	s_waitcnt vmcnt(0)
	v_cvt_f32_f16_e32 v19, v19
	v_mul_f32_e32 v19, v24, v19
	s_branch .LBB86_199
.LBB86_198:
	v_mov_b32_e32 v19, 0
.LBB86_199:
	v_add_f32_e32 v45, v45, v19
	v_max_f32_e32 v14, v14, v14
	v_add_f32_e32 v19, 0x40051340, v45
	v_max_f32_e32 v14, v14, v19
.LBB86_200:
	s_or_b32 exec_lo, exec_lo, s11
	v_cmp_ngt_f32_e64 s11, 0x3f200000, |v86|
                                        ; implicit-def: $vgpr19
	s_and_saveexec_b32 s14, s11
	s_xor_b32 s11, exec_lo, s14
	s_cbranch_execz .LBB86_202
; %bb.201:
	v_add_f32_e64 v19, |v86|, |v86|
	v_mul_f32_e32 v85, 0x3fb8aa3b, v19
	v_cmp_ngt_f32_e32 vcc_lo, 0xc2ce8ed0, v19
	v_rndne_f32_e32 v88, v85
	v_fma_f32 v90, 0x3fb8aa3b, v19, -v85
	v_sub_f32_e32 v85, v85, v88
	v_fmamk_f32 v90, v19, 0x32a5705f, v90
	v_cvt_i32_f32_e32 v88, v88
	v_add_f32_e32 v85, v85, v90
	v_exp_f32_e32 v85, v85
	v_ldexp_f32 v85, v85, v88
	v_cndmask_b32_e32 v85, 0, v85, vcc_lo
	v_cmp_nlt_f32_e32 vcc_lo, 0x42b17218, v19
	v_cndmask_b32_e32 v19, 0x7f800000, v85, vcc_lo
	v_add_f32_e32 v19, 1.0, v19
	v_rcp_f32_e32 v19, v19
	v_fma_f32 v19, v19, -2.0, 1.0
.LBB86_202:
	s_andn2_saveexec_b32 s11, s11
	s_cbranch_execz .LBB86_204
; %bb.203:
	v_mul_f32_e32 v19, v86, v86
	s_mov_b32 s14, 0xbbbac73d
	v_fmaak_f32 v85, s14, v19, 0x3ca908c9
	v_fmaak_f32 v85, v19, v85, 0xbd5c1c4e
	;; [unrolled: 1-line block ×4, first 2 shown]
	v_mul_f32_e64 v85, |v86|, v85
	v_fma_f32 v19, v19, v85, |v86|
.LBB86_204:
	s_or_b32 exec_lo, exec_lo, s11
	v_bfi_b32 v19, 0x7fffffff, v19, v86
	v_mul_f32_e32 v85, s19, v19
	s_and_saveexec_b32 s11, s7
	s_cbranch_execz .LBB86_209
; %bb.205:
	v_cmp_ne_u32_e32 vcc_lo, 1, v95
	s_cbranch_vccnz .LBB86_207
; %bb.206:
	v_ashrrev_i32_e32 v19, 31, v18
	v_add_co_u32 v18, vcc_lo, v18, v0
	v_add_co_ci_u32_e64 v19, null, 0, v19, vcc_lo
	v_lshlrev_b64 v[18:19], 1, v[18:19]
	v_add_co_u32 v18, vcc_lo, s46, v18
	v_add_co_ci_u32_e64 v19, null, s47, v19, vcc_lo
	global_load_ushort v18, v[18:19], off offset:64
	s_waitcnt vmcnt(0)
	v_cvt_f32_f16_e32 v18, v18
	v_mul_f32_e32 v18, v24, v18
	s_branch .LBB86_208
.LBB86_207:
	v_mov_b32_e32 v18, 0
.LBB86_208:
	v_add_f32_e32 v85, v85, v18
	v_max_f32_e32 v14, v14, v14
	v_add_f32_e32 v18, 0x40051340, v85
	v_max_f32_e32 v14, v14, v18
.LBB86_209:
	s_or_b32 exec_lo, exec_lo, s11
	ds_bpermute_b32 v18, v97, v14
	v_max_f32_e32 v14, v14, v14
	v_cmp_ngt_f32_e64 s11, 0x3f200000, |v83|
                                        ; implicit-def: $vgpr19
	s_waitcnt lgkmcnt(0)
	v_max_f32_e32 v18, v18, v18
	v_max_f32_e32 v14, v14, v18
	ds_bpermute_b32 v18, v98, v14
	s_waitcnt lgkmcnt(0)
	v_max_f32_e32 v18, v18, v18
	v_max_f32_e32 v14, v14, v18
	ds_bpermute_b32 v18, v99, v14
	;; [unrolled: 4-line block ×4, first 2 shown]
	s_and_saveexec_b32 s14, s11
	s_xor_b32 s11, exec_lo, s14
	s_cbranch_execz .LBB86_211
; %bb.210:
	v_add_f32_e64 v19, |v83|, |v83|
	v_mul_f32_e32 v86, 0x3fb8aa3b, v19
	v_cmp_ngt_f32_e32 vcc_lo, 0xc2ce8ed0, v19
	v_rndne_f32_e32 v88, v86
	v_fma_f32 v90, 0x3fb8aa3b, v19, -v86
	v_sub_f32_e32 v86, v86, v88
	v_fmamk_f32 v90, v19, 0x32a5705f, v90
	v_cvt_i32_f32_e32 v88, v88
	v_add_f32_e32 v86, v86, v90
	v_exp_f32_e32 v86, v86
	v_ldexp_f32 v86, v86, v88
	v_cndmask_b32_e32 v86, 0, v86, vcc_lo
	v_cmp_nlt_f32_e32 vcc_lo, 0x42b17218, v19
	v_cndmask_b32_e32 v19, 0x7f800000, v86, vcc_lo
	v_add_f32_e32 v19, 1.0, v19
	v_rcp_f32_e32 v19, v19
	v_fma_f32 v19, v19, -2.0, 1.0
.LBB86_211:
	s_andn2_saveexec_b32 s11, s11
	s_cbranch_execz .LBB86_213
; %bb.212:
	v_mul_f32_e32 v19, v83, v83
	s_mov_b32 s14, 0xbbbac73d
	v_fmaak_f32 v86, s14, v19, 0x3ca908c9
	v_fmaak_f32 v86, v19, v86, 0xbd5c1c4e
	;; [unrolled: 1-line block ×4, first 2 shown]
	v_mul_f32_e64 v86, |v83|, v86
	v_fma_f32 v19, v19, v86, |v83|
.LBB86_213:
	s_or_b32 exec_lo, exec_lo, s11
	v_mul_hi_u32 v86, s28, v44
	v_max_f32_e32 v14, v14, v14
	v_bfi_b32 v83, 0x7fffffff, v19, v83
	v_add_nc_u32_e32 v86, v44, v86
	v_lshrrev_b32_e32 v86, s29, v86
	v_mul_lo_u32 v86, v86, s30
	v_sub_nc_u32_e32 v44, v44, v86
	s_waitcnt lgkmcnt(0)
	v_max_f32_e32 v86, v18, v18
	v_mad_u64_u32 v[18:19], null, v44, s22, s[8:9]
	v_max_f32_e32 v14, v14, v86
	v_mul_f32_e32 v44, s19, v83
	s_and_saveexec_b32 s11, s6
	s_cbranch_execz .LBB86_218
; %bb.214:
	v_cmp_ne_u32_e32 vcc_lo, 1, v95
	s_cbranch_vccnz .LBB86_216
; %bb.215:
	v_add_nc_u32_e32 v102, v18, v0
	v_ashrrev_i32_e32 v103, 31, v102
	v_lshlrev_b64 v[102:103], 1, v[102:103]
	v_add_co_u32 v102, vcc_lo, s46, v102
	v_add_co_ci_u32_e64 v103, null, s47, v103, vcc_lo
	global_load_ushort v19, v[102:103], off
	s_waitcnt vmcnt(0)
	v_cvt_f32_f16_e32 v19, v19
	v_mul_f32_e32 v19, v24, v19
	s_branch .LBB86_217
.LBB86_216:
	v_mov_b32_e32 v19, 0
.LBB86_217:
	v_add_f32_e32 v44, v44, v19
	v_max_f32_e32 v15, v15, v15
	v_add_f32_e32 v19, 0x40051340, v44
	v_max_f32_e32 v15, v15, v19
.LBB86_218:
	s_or_b32 exec_lo, exec_lo, s11
	v_cmp_ngt_f32_e64 s11, 0x3f200000, |v84|
                                        ; implicit-def: $vgpr19
	s_and_saveexec_b32 s14, s11
	s_xor_b32 s11, exec_lo, s14
	s_cbranch_execz .LBB86_220
; %bb.219:
	v_add_f32_e64 v19, |v84|, |v84|
	v_mul_f32_e32 v83, 0x3fb8aa3b, v19
	v_cmp_ngt_f32_e32 vcc_lo, 0xc2ce8ed0, v19
	v_rndne_f32_e32 v86, v83
	v_fma_f32 v88, 0x3fb8aa3b, v19, -v83
	v_sub_f32_e32 v83, v83, v86
	v_fmamk_f32 v88, v19, 0x32a5705f, v88
	v_cvt_i32_f32_e32 v86, v86
	v_add_f32_e32 v83, v83, v88
	v_exp_f32_e32 v83, v83
	v_ldexp_f32 v83, v83, v86
	v_cndmask_b32_e32 v83, 0, v83, vcc_lo
	v_cmp_nlt_f32_e32 vcc_lo, 0x42b17218, v19
	v_cndmask_b32_e32 v19, 0x7f800000, v83, vcc_lo
	v_add_f32_e32 v19, 1.0, v19
	v_rcp_f32_e32 v19, v19
	v_fma_f32 v19, v19, -2.0, 1.0
.LBB86_220:
	s_andn2_saveexec_b32 s11, s11
	s_cbranch_execz .LBB86_222
; %bb.221:
	v_mul_f32_e32 v19, v84, v84
	s_mov_b32 s14, 0xbbbac73d
	v_fmaak_f32 v83, s14, v19, 0x3ca908c9
	v_fmaak_f32 v83, v19, v83, 0xbd5c1c4e
	;; [unrolled: 1-line block ×4, first 2 shown]
	v_mul_f32_e64 v83, |v84|, v83
	v_fma_f32 v19, v19, v83, |v84|
.LBB86_222:
	s_or_b32 exec_lo, exec_lo, s11
	v_bfi_b32 v19, 0x7fffffff, v19, v84
	v_mul_f32_e32 v83, s19, v19
	s_and_saveexec_b32 s11, s7
	s_cbranch_execz .LBB86_227
; %bb.223:
	v_cmp_ne_u32_e32 vcc_lo, 1, v95
	s_cbranch_vccnz .LBB86_225
; %bb.224:
	v_ashrrev_i32_e32 v19, 31, v18
	v_add_co_u32 v18, vcc_lo, v18, v0
	v_add_co_ci_u32_e64 v19, null, 0, v19, vcc_lo
	v_lshlrev_b64 v[18:19], 1, v[18:19]
	v_add_co_u32 v18, vcc_lo, s46, v18
	v_add_co_ci_u32_e64 v19, null, s47, v19, vcc_lo
	global_load_ushort v18, v[18:19], off offset:64
	s_waitcnt vmcnt(0)
	v_cvt_f32_f16_e32 v18, v18
	v_mul_f32_e32 v18, v24, v18
	s_branch .LBB86_226
.LBB86_225:
	v_mov_b32_e32 v18, 0
.LBB86_226:
	v_add_f32_e32 v83, v83, v18
	v_max_f32_e32 v15, v15, v15
	v_add_f32_e32 v18, 0x40051340, v83
	v_max_f32_e32 v15, v15, v18
.LBB86_227:
	s_or_b32 exec_lo, exec_lo, s11
	ds_bpermute_b32 v18, v97, v15
	v_max_f32_e32 v15, v15, v15
	v_cmp_ngt_f32_e64 s11, 0x3f200000, |v82|
                                        ; implicit-def: $vgpr19
	s_waitcnt lgkmcnt(0)
	v_max_f32_e32 v18, v18, v18
	v_max_f32_e32 v15, v15, v18
	ds_bpermute_b32 v18, v98, v15
	s_waitcnt lgkmcnt(0)
	v_max_f32_e32 v18, v18, v18
	v_max_f32_e32 v15, v15, v18
	ds_bpermute_b32 v18, v99, v15
	;; [unrolled: 4-line block ×4, first 2 shown]
	s_and_saveexec_b32 s14, s11
	s_xor_b32 s11, exec_lo, s14
	s_cbranch_execz .LBB86_229
; %bb.228:
	v_add_f32_e64 v19, |v82|, |v82|
	v_mul_f32_e32 v84, 0x3fb8aa3b, v19
	v_cmp_ngt_f32_e32 vcc_lo, 0xc2ce8ed0, v19
	v_rndne_f32_e32 v86, v84
	v_fma_f32 v88, 0x3fb8aa3b, v19, -v84
	v_sub_f32_e32 v84, v84, v86
	v_fmamk_f32 v88, v19, 0x32a5705f, v88
	v_cvt_i32_f32_e32 v86, v86
	v_add_f32_e32 v84, v84, v88
	v_exp_f32_e32 v84, v84
	v_ldexp_f32 v84, v84, v86
	v_cndmask_b32_e32 v84, 0, v84, vcc_lo
	v_cmp_nlt_f32_e32 vcc_lo, 0x42b17218, v19
	v_cndmask_b32_e32 v19, 0x7f800000, v84, vcc_lo
	v_add_f32_e32 v19, 1.0, v19
	v_rcp_f32_e32 v19, v19
	v_fma_f32 v19, v19, -2.0, 1.0
.LBB86_229:
	s_andn2_saveexec_b32 s11, s11
	s_cbranch_execz .LBB86_231
; %bb.230:
	v_mul_f32_e32 v19, v82, v82
	s_mov_b32 s14, 0xbbbac73d
	v_fmaak_f32 v84, s14, v19, 0x3ca908c9
	v_fmaak_f32 v84, v19, v84, 0xbd5c1c4e
	;; [unrolled: 1-line block ×4, first 2 shown]
	v_mul_f32_e64 v84, |v82|, v84
	v_fma_f32 v19, v19, v84, |v82|
.LBB86_231:
	s_or_b32 exec_lo, exec_lo, s11
	v_mul_hi_u32 v84, s28, v43
	v_max_f32_e32 v15, v15, v15
	v_bfi_b32 v82, 0x7fffffff, v19, v82
	v_mul_f32_e32 v82, s19, v82
	v_add_nc_u32_e32 v84, v43, v84
	v_lshrrev_b32_e32 v84, s29, v84
	v_mul_lo_u32 v84, v84, s30
	v_sub_nc_u32_e32 v43, v43, v84
	s_waitcnt lgkmcnt(0)
	v_max_f32_e32 v84, v18, v18
	v_mad_u64_u32 v[18:19], null, v43, s22, s[8:9]
	v_max_f32_e32 v15, v15, v84
	s_and_saveexec_b32 s11, s6
	s_cbranch_execz .LBB86_236
; %bb.232:
	v_cmp_ne_u32_e32 vcc_lo, 1, v95
	s_cbranch_vccnz .LBB86_234
; %bb.233:
	v_add_nc_u32_e32 v102, v18, v0
	v_ashrrev_i32_e32 v103, 31, v102
	v_lshlrev_b64 v[102:103], 1, v[102:103]
	v_add_co_u32 v102, vcc_lo, s46, v102
	v_add_co_ci_u32_e64 v103, null, s47, v103, vcc_lo
	global_load_ushort v19, v[102:103], off
	s_waitcnt vmcnt(0)
	v_cvt_f32_f16_e32 v19, v19
	v_mul_f32_e32 v19, v24, v19
	s_branch .LBB86_235
.LBB86_234:
	v_mov_b32_e32 v19, 0
.LBB86_235:
	v_add_f32_e32 v82, v82, v19
	v_max_f32_e32 v16, v16, v16
	v_add_f32_e32 v19, 0x40051340, v82
	v_max_f32_e32 v16, v16, v19
.LBB86_236:
	s_or_b32 exec_lo, exec_lo, s11
	v_cmp_ngt_f32_e64 s11, 0x3f200000, |v81|
                                        ; implicit-def: $vgpr19
	s_and_saveexec_b32 s14, s11
	s_xor_b32 s11, exec_lo, s14
	s_cbranch_execz .LBB86_238
; %bb.237:
	v_add_f32_e64 v19, |v81|, |v81|
	v_mul_f32_e32 v43, 0x3fb8aa3b, v19
	v_cmp_ngt_f32_e32 vcc_lo, 0xc2ce8ed0, v19
	v_rndne_f32_e32 v84, v43
	v_fma_f32 v86, 0x3fb8aa3b, v19, -v43
	v_sub_f32_e32 v43, v43, v84
	v_fmamk_f32 v86, v19, 0x32a5705f, v86
	v_cvt_i32_f32_e32 v84, v84
	v_add_f32_e32 v43, v43, v86
	v_exp_f32_e32 v43, v43
	v_ldexp_f32 v43, v43, v84
	v_cndmask_b32_e32 v43, 0, v43, vcc_lo
	v_cmp_nlt_f32_e32 vcc_lo, 0x42b17218, v19
	v_cndmask_b32_e32 v19, 0x7f800000, v43, vcc_lo
	v_add_f32_e32 v19, 1.0, v19
	v_rcp_f32_e32 v19, v19
	v_fma_f32 v19, v19, -2.0, 1.0
.LBB86_238:
	s_andn2_saveexec_b32 s11, s11
	s_cbranch_execz .LBB86_240
; %bb.239:
	v_mul_f32_e32 v19, v81, v81
	s_mov_b32 s14, 0xbbbac73d
	v_fmaak_f32 v43, s14, v19, 0x3ca908c9
	v_fmaak_f32 v43, v19, v43, 0xbd5c1c4e
	;; [unrolled: 1-line block ×4, first 2 shown]
	v_mul_f32_e64 v43, |v81|, v43
	v_fma_f32 v19, v19, v43, |v81|
.LBB86_240:
	s_or_b32 exec_lo, exec_lo, s11
	v_bfi_b32 v19, 0x7fffffff, v19, v81
	v_mul_f32_e32 v81, s19, v19
	s_and_saveexec_b32 s11, s7
	s_cbranch_execz .LBB86_245
; %bb.241:
	v_cmp_ne_u32_e32 vcc_lo, 1, v95
	s_cbranch_vccnz .LBB86_243
; %bb.242:
	v_ashrrev_i32_e32 v19, 31, v18
	v_add_co_u32 v18, vcc_lo, v18, v0
	v_add_co_ci_u32_e64 v19, null, 0, v19, vcc_lo
	v_lshlrev_b64 v[18:19], 1, v[18:19]
	v_add_co_u32 v18, vcc_lo, s46, v18
	v_add_co_ci_u32_e64 v19, null, s47, v19, vcc_lo
	global_load_ushort v18, v[18:19], off offset:64
	s_waitcnt vmcnt(0)
	v_cvt_f32_f16_e32 v18, v18
	v_mul_f32_e32 v18, v24, v18
	s_branch .LBB86_244
.LBB86_243:
	v_mov_b32_e32 v18, 0
.LBB86_244:
	v_add_f32_e32 v81, v81, v18
	v_max_f32_e32 v16, v16, v16
	v_add_f32_e32 v18, 0x40051340, v81
	v_max_f32_e32 v16, v16, v18
.LBB86_245:
	s_or_b32 exec_lo, exec_lo, s11
	ds_bpermute_b32 v18, v97, v16
	v_max_f32_e32 v16, v16, v16
	v_cmp_ngt_f32_e64 s11, 0x3f200000, |v74|
                                        ; implicit-def: $vgpr19
	s_waitcnt lgkmcnt(0)
	v_max_f32_e32 v18, v18, v18
	v_max_f32_e32 v16, v16, v18
	ds_bpermute_b32 v18, v98, v16
	s_waitcnt lgkmcnt(0)
	v_max_f32_e32 v18, v18, v18
	v_max_f32_e32 v16, v16, v18
	ds_bpermute_b32 v18, v99, v16
	;; [unrolled: 4-line block ×4, first 2 shown]
	s_and_saveexec_b32 s14, s11
	s_xor_b32 s11, exec_lo, s14
	s_cbranch_execz .LBB86_247
; %bb.246:
	v_add_f32_e64 v19, |v74|, |v74|
	v_mul_f32_e32 v43, 0x3fb8aa3b, v19
	v_cmp_ngt_f32_e32 vcc_lo, 0xc2ce8ed0, v19
	v_rndne_f32_e32 v84, v43
	v_fma_f32 v86, 0x3fb8aa3b, v19, -v43
	v_sub_f32_e32 v43, v43, v84
	v_fmamk_f32 v86, v19, 0x32a5705f, v86
	v_cvt_i32_f32_e32 v84, v84
	v_add_f32_e32 v43, v43, v86
	v_exp_f32_e32 v43, v43
	v_ldexp_f32 v43, v43, v84
	v_cndmask_b32_e32 v43, 0, v43, vcc_lo
	v_cmp_nlt_f32_e32 vcc_lo, 0x42b17218, v19
	v_cndmask_b32_e32 v19, 0x7f800000, v43, vcc_lo
	v_add_f32_e32 v19, 1.0, v19
	v_rcp_f32_e32 v19, v19
	v_fma_f32 v19, v19, -2.0, 1.0
.LBB86_247:
	s_andn2_saveexec_b32 s11, s11
	s_cbranch_execz .LBB86_249
; %bb.248:
	v_mul_f32_e32 v19, v74, v74
	s_mov_b32 s14, 0xbbbac73d
	v_fmaak_f32 v43, s14, v19, 0x3ca908c9
	v_fmaak_f32 v43, v19, v43, 0xbd5c1c4e
	;; [unrolled: 1-line block ×4, first 2 shown]
	v_mul_f32_e64 v43, |v74|, v43
	v_fma_f32 v19, v19, v43, |v74|
.LBB86_249:
	s_or_b32 exec_lo, exec_lo, s11
	v_mul_hi_u32 v43, s28, v25
	v_max_f32_e32 v16, v16, v16
	v_bfi_b32 v74, 0x7fffffff, v19, v74
	v_mul_f32_e32 v74, s19, v74
	v_add_nc_u32_e32 v43, v25, v43
	v_lshrrev_b32_e32 v43, s29, v43
	v_mul_lo_u32 v43, v43, s30
	v_sub_nc_u32_e32 v25, v25, v43
	s_waitcnt lgkmcnt(0)
	v_max_f32_e32 v43, v18, v18
	v_mad_u64_u32 v[18:19], null, v25, s22, s[8:9]
	v_max_f32_e32 v16, v16, v43
	s_and_saveexec_b32 s11, s6
	s_cbranch_execz .LBB86_254
; %bb.250:
	v_cmp_ne_u32_e32 vcc_lo, 1, v95
	s_cbranch_vccnz .LBB86_252
; %bb.251:
	v_add_nc_u32_e32 v102, v18, v0
	v_ashrrev_i32_e32 v103, 31, v102
	v_lshlrev_b64 v[102:103], 1, v[102:103]
	v_add_co_u32 v102, vcc_lo, s46, v102
	v_add_co_ci_u32_e64 v103, null, s47, v103, vcc_lo
	global_load_ushort v19, v[102:103], off
	s_waitcnt vmcnt(0)
	v_cvt_f32_f16_e32 v19, v19
	v_mul_f32_e32 v19, v24, v19
	s_branch .LBB86_253
.LBB86_252:
	v_mov_b32_e32 v19, 0
.LBB86_253:
	v_add_f32_e32 v74, v74, v19
	v_max_f32_e32 v17, v17, v17
	v_add_f32_e32 v19, 0x40051340, v74
	v_max_f32_e32 v17, v17, v19
.LBB86_254:
	s_or_b32 exec_lo, exec_lo, s11
	v_cmp_ngt_f32_e64 s6, 0x3f200000, |v73|
                                        ; implicit-def: $vgpr19
	s_and_saveexec_b32 s11, s6
	s_xor_b32 s6, exec_lo, s11
	s_cbranch_execz .LBB86_256
; %bb.255:
	v_add_f32_e64 v19, |v73|, |v73|
	v_mul_f32_e32 v25, 0x3fb8aa3b, v19
	v_cmp_ngt_f32_e32 vcc_lo, 0xc2ce8ed0, v19
	v_rndne_f32_e32 v43, v25
	v_fma_f32 v84, 0x3fb8aa3b, v19, -v25
	v_sub_f32_e32 v25, v25, v43
	v_fmamk_f32 v84, v19, 0x32a5705f, v84
	v_cvt_i32_f32_e32 v43, v43
	v_add_f32_e32 v25, v25, v84
	v_exp_f32_e32 v25, v25
	v_ldexp_f32 v25, v25, v43
	v_cndmask_b32_e32 v25, 0, v25, vcc_lo
	v_cmp_nlt_f32_e32 vcc_lo, 0x42b17218, v19
	v_cndmask_b32_e32 v19, 0x7f800000, v25, vcc_lo
	v_add_f32_e32 v19, 1.0, v19
	v_rcp_f32_e32 v19, v19
	v_fma_f32 v19, v19, -2.0, 1.0
.LBB86_256:
	s_andn2_saveexec_b32 s6, s6
	s_cbranch_execz .LBB86_258
; %bb.257:
	v_mul_f32_e32 v19, v73, v73
	s_mov_b32 s11, 0xbbbac73d
	v_fmaak_f32 v25, s11, v19, 0x3ca908c9
	v_fmaak_f32 v25, v19, v25, 0xbd5c1c4e
	;; [unrolled: 1-line block ×4, first 2 shown]
	v_mul_f32_e64 v25, |v73|, v25
	v_fma_f32 v19, v19, v25, |v73|
.LBB86_258:
	s_or_b32 exec_lo, exec_lo, s6
	v_bfi_b32 v19, 0x7fffffff, v19, v73
	v_mul_f32_e32 v73, s19, v19
	s_and_saveexec_b32 s6, s7
	s_cbranch_execz .LBB86_263
; %bb.259:
	v_cmp_ne_u32_e32 vcc_lo, 1, v95
	s_cbranch_vccnz .LBB86_261
; %bb.260:
	v_ashrrev_i32_e32 v19, 31, v18
	v_add_co_u32 v18, vcc_lo, v18, v0
	v_add_co_ci_u32_e64 v19, null, 0, v19, vcc_lo
	v_lshlrev_b64 v[18:19], 1, v[18:19]
	v_add_co_u32 v18, vcc_lo, s46, v18
	v_add_co_ci_u32_e64 v19, null, s47, v19, vcc_lo
	global_load_ushort v18, v[18:19], off offset:64
	s_waitcnt vmcnt(0)
	v_cvt_f32_f16_e32 v18, v18
	v_mul_f32_e32 v18, v24, v18
	s_branch .LBB86_262
.LBB86_261:
	v_mov_b32_e32 v18, 0
.LBB86_262:
	v_add_f32_e32 v73, v73, v18
	v_max_f32_e32 v17, v17, v17
	v_add_f32_e32 v18, 0x40051340, v73
	v_max_f32_e32 v17, v17, v18
.LBB86_263:
	s_or_b32 exec_lo, exec_lo, s6
	ds_bpermute_b32 v18, v97, v17
	v_max_f32_e32 v17, v17, v17
	v_cmp_gt_u32_e32 vcc_lo, s10, v0
	v_sub_f32_e32 v2, v2, v10
	v_lshlrev_b32_e32 v19, 10, v1
	s_waitcnt lgkmcnt(0)
	s_barrier
	buffer_gl0_inv
	s_mul_hi_i32 s15, s8, s12
	s_mul_i32 s14, s8, s12
	s_lshl_b64 s[14:15], s[14:15], 2
	s_add_u32 s11, s9, s14
	s_addc_u32 s14, s13, s15
	v_max_f32_e32 v18, v18, v18
	v_max_f32_e32 v17, v17, v18
	ds_bpermute_b32 v18, v98, v17
	s_waitcnt lgkmcnt(0)
	v_max_f32_e32 v18, v18, v18
	v_max_f32_e32 v17, v17, v18
	ds_bpermute_b32 v18, v99, v17
	s_waitcnt lgkmcnt(0)
	;; [unrolled: 4-line block ×4, first 2 shown]
	v_max_f32_e32 v18, v18, v18
	v_max_f32_e32 v17, v17, v18
	v_sub_f32_e32 v18, v94, v10
	v_mul_f32_e32 v24, 0x3fb8aa3b, v18
	v_cmp_ngt_f32_e64 s6, 0xc2ce8ed0, v18
	v_fma_f32 v25, 0x3fb8aa3b, v18, -v24
	v_rndne_f32_e32 v43, v24
	v_fmac_f32_e32 v25, 0x32a5705f, v18
	v_sub_f32_e32 v24, v24, v43
	v_add_f32_e32 v24, v24, v25
	v_cvt_i32_f32_e32 v25, v43
	v_exp_f32_e32 v24, v24
	v_ldexp_f32 v24, v24, v25
	v_cndmask_b32_e64 v24, 0, v24, s6
	v_cmp_nlt_f32_e64 s6, 0x42b17218, v18
	v_cndmask_b32_e64 v18, 0x7f800000, v24, s6
	v_sub_f32_e32 v24, v96, v10
	v_cmp_gt_u32_e64 s6, s10, v93
	v_cndmask_b32_e32 v18, 0, v18, vcc_lo
	v_mul_f32_e32 v25, 0x3fb8aa3b, v24
	v_cmp_ngt_f32_e64 s7, 0xc2ce8ed0, v24
	v_cvt_f16_f32_e32 v84, v18
	v_fma_f32 v43, 0x3fb8aa3b, v24, -v25
	v_rndne_f32_e32 v86, v25
	v_fmac_f32_e32 v43, 0x32a5705f, v24
	v_sub_f32_e32 v25, v25, v86
	v_add_f32_e32 v25, v25, v43
	v_cvt_i32_f32_e32 v43, v86
	v_exp_f32_e32 v25, v25
	v_ldexp_f32 v25, v25, v43
	v_cndmask_b32_e64 v25, 0, v25, s7
	v_cmp_nlt_f32_e64 s7, 0x42b17218, v24
	v_cndmask_b32_e64 v24, 0x7f800000, v25, s7
	v_cmp_ngt_f32_e64 s7, 0xc2ce8ed0, v2
	v_cndmask_b32_e64 v24, 0, v24, s6
	v_add_f32_e32 v18, v18, v24
	v_cvt_f16_f32_e32 v86, v24
	v_mul_f32_e32 v24, 0x3fb8aa3b, v2
	v_fma_f32 v25, 0x3fb8aa3b, v2, -v24
	v_rndne_f32_e32 v43, v24
	v_fmac_f32_e32 v25, 0x32a5705f, v2
	v_sub_f32_e32 v24, v24, v43
	v_add_f32_e32 v24, v24, v25
	v_cvt_i32_f32_e32 v25, v43
	v_exp_f32_e32 v24, v24
	v_ldexp_f32 v24, v24, v25
	v_cndmask_b32_e64 v24, 0, v24, s7
	v_cmp_nlt_f32_e64 s7, 0x42b17218, v2
	v_cndmask_b32_e64 v2, 0x7f800000, v24, s7
	v_mov_b32_e32 v24, 0x10001
	v_fmac_f32_e32 v18, v72, v2
	v_cvt_f16_f32_e32 v2, v2
	v_mul_u32_u24_sdwa v2, v2, v24 dst_sel:DWORD dst_unused:UNUSED_PAD src0_sel:WORD_0 src1_sel:DWORD
	v_pk_mul_f16 v72, v63, v2
	v_pk_mul_f16 v63, v64, v2
	v_sub_f32_e32 v2, v3, v11
	v_sub_f32_e32 v3, v48, v11
	v_mul_f32_e32 v25, 0x3fb8aa3b, v3
	v_cmp_ngt_f32_e64 s7, 0xc2ce8ed0, v3
	v_fma_f32 v43, 0x3fb8aa3b, v3, -v25
	v_rndne_f32_e32 v48, v25
	v_fmac_f32_e32 v43, 0x32a5705f, v3
	v_sub_f32_e32 v25, v25, v48
	v_add_f32_e32 v25, v25, v43
	v_cvt_i32_f32_e32 v43, v48
	v_exp_f32_e32 v25, v25
	v_ldexp_f32 v25, v25, v43
	v_cndmask_b32_e64 v25, 0, v25, s7
	v_cmp_nlt_f32_e64 s7, 0x42b17218, v3
	v_cndmask_b32_e64 v3, 0x7f800000, v25, s7
	v_sub_f32_e32 v25, v91, v11
	v_cndmask_b32_e32 v3, 0, v3, vcc_lo
	v_mul_f32_e32 v43, 0x3fb8aa3b, v25
	v_cmp_ngt_f32_e64 s7, 0xc2ce8ed0, v25
	v_cvt_f16_f32_e32 v48, v3
	v_fma_f32 v64, 0x3fb8aa3b, v25, -v43
	v_rndne_f32_e32 v88, v43
	v_fmac_f32_e32 v64, 0x32a5705f, v25
	v_sub_f32_e32 v43, v43, v88
	v_add_f32_e32 v43, v43, v64
	v_cvt_i32_f32_e32 v64, v88
	v_exp_f32_e32 v43, v43
	v_ldexp_f32 v43, v43, v64
	v_cndmask_b32_e64 v43, 0, v43, s7
	v_cmp_nlt_f32_e64 s7, 0x42b17218, v25
	v_cndmask_b32_e64 v25, 0x7f800000, v43, s7
	v_cmp_ngt_f32_e64 s7, 0xc2ce8ed0, v2
	v_cndmask_b32_e64 v43, 0, v25, s6
	v_add_f32_e32 v25, v3, v43
	v_cvt_f16_f32_e32 v3, v43
	v_mul_f32_e32 v43, 0x3fb8aa3b, v2
	v_fma_f32 v64, 0x3fb8aa3b, v2, -v43
	v_rndne_f32_e32 v88, v43
	v_fmac_f32_e32 v64, 0x32a5705f, v2
	v_sub_f32_e32 v43, v43, v88
	v_add_f32_e32 v43, v43, v64
	v_cvt_i32_f32_e32 v64, v88
	v_exp_f32_e32 v43, v43
	v_ldexp_f32 v43, v43, v64
	v_cndmask_b32_e64 v43, 0, v43, s7
	v_cmp_nlt_f32_e64 s7, 0x42b17218, v2
	v_cndmask_b32_e64 v2, 0x7f800000, v43, s7
	v_fmac_f32_e32 v25, v71, v2
	v_cvt_f16_f32_e32 v2, v2
	v_mul_u32_u24_sdwa v2, v2, v24 dst_sel:DWORD dst_unused:UNUSED_PAD src0_sel:WORD_0 src1_sel:DWORD
	v_pk_mul_f16 v64, v61, v2
	v_pk_mul_f16 v61, v62, v2
	v_sub_f32_e32 v2, v4, v12
	v_sub_f32_e32 v4, v47, v12
	v_mul_f32_e32 v43, 0x3fb8aa3b, v4
	v_cmp_ngt_f32_e64 s7, 0xc2ce8ed0, v4
	v_fma_f32 v47, 0x3fb8aa3b, v4, -v43
	v_rndne_f32_e32 v62, v43
	v_fmac_f32_e32 v47, 0x32a5705f, v4
	v_sub_f32_e32 v43, v43, v62
	v_add_f32_e32 v43, v43, v47
	v_cvt_i32_f32_e32 v47, v62
	v_exp_f32_e32 v43, v43
	v_ldexp_f32 v43, v43, v47
	v_cndmask_b32_e64 v43, 0, v43, s7
	v_cmp_nlt_f32_e64 s7, 0x42b17218, v4
	v_cndmask_b32_e64 v4, 0x7f800000, v43, s7
	v_sub_f32_e32 v43, v89, v12
	v_cndmask_b32_e32 v4, 0, v4, vcc_lo
	v_mul_f32_e32 v47, 0x3fb8aa3b, v43
	v_cmp_ngt_f32_e64 s7, 0xc2ce8ed0, v43
	v_cvt_f16_f32_e32 v71, v4
	v_fma_f32 v62, 0x3fb8aa3b, v43, -v47
	v_rndne_f32_e32 v88, v47
	v_fmac_f32_e32 v62, 0x32a5705f, v43
	v_sub_f32_e32 v47, v47, v88
	v_add_f32_e32 v47, v47, v62
	v_cvt_i32_f32_e32 v62, v88
	v_exp_f32_e32 v47, v47
	v_ldexp_f32 v47, v47, v62
	v_cndmask_b32_e64 v47, 0, v47, s7
	v_cmp_nlt_f32_e64 s7, 0x42b17218, v43
	v_cndmask_b32_e64 v43, 0x7f800000, v47, s7
	v_cmp_ngt_f32_e64 s7, 0xc2ce8ed0, v2
	v_cndmask_b32_e64 v47, 0, v43, s6
	v_add_f32_e32 v43, v4, v47
	v_cvt_f16_f32_e32 v4, v47
	v_mul_f32_e32 v47, 0x3fb8aa3b, v2
	v_fma_f32 v62, 0x3fb8aa3b, v2, -v47
	v_rndne_f32_e32 v88, v47
	v_fmac_f32_e32 v62, 0x32a5705f, v2
	v_sub_f32_e32 v47, v47, v88
	v_add_f32_e32 v47, v47, v62
	v_cvt_i32_f32_e32 v62, v88
	v_exp_f32_e32 v47, v47
	v_ldexp_f32 v47, v47, v62
	v_cndmask_b32_e64 v47, 0, v47, s7
	v_cmp_nlt_f32_e64 s7, 0x42b17218, v2
	v_cndmask_b32_e64 v2, 0x7f800000, v47, s7
	v_fmac_f32_e32 v43, v70, v2
	v_cvt_f16_f32_e32 v2, v2
	v_mul_u32_u24_sdwa v2, v2, v24 dst_sel:DWORD dst_unused:UNUSED_PAD src0_sel:WORD_0 src1_sel:DWORD
	v_pk_mul_f16 v62, v59, v2
	v_pk_mul_f16 v59, v60, v2
	v_sub_f32_e32 v2, v5, v13
	v_sub_f32_e32 v5, v46, v13
	v_mul_f32_e32 v46, 0x3fb8aa3b, v5
	v_cmp_ngt_f32_e64 s7, 0xc2ce8ed0, v5
	v_fma_f32 v47, 0x3fb8aa3b, v5, -v46
	v_rndne_f32_e32 v60, v46
	v_fmac_f32_e32 v47, 0x32a5705f, v5
	v_sub_f32_e32 v46, v46, v60
	v_add_f32_e32 v46, v46, v47
	v_cvt_i32_f32_e32 v47, v60
	v_exp_f32_e32 v46, v46
	v_ldexp_f32 v46, v46, v47
	v_cndmask_b32_e64 v46, 0, v46, s7
	v_cmp_nlt_f32_e64 s7, 0x42b17218, v5
	v_cndmask_b32_e64 v5, 0x7f800000, v46, s7
	v_sub_f32_e32 v46, v87, v13
	v_cndmask_b32_e32 v5, 0, v5, vcc_lo
	v_mul_f32_e32 v47, 0x3fb8aa3b, v46
	v_cmp_ngt_f32_e64 s7, 0xc2ce8ed0, v46
	v_cvt_f16_f32_e32 v70, v5
	v_fma_f32 v60, 0x3fb8aa3b, v46, -v47
	v_rndne_f32_e32 v87, v47
	v_fmac_f32_e32 v60, 0x32a5705f, v46
	v_sub_f32_e32 v47, v47, v87
	v_add_f32_e32 v47, v47, v60
	v_cvt_i32_f32_e32 v60, v87
	v_exp_f32_e32 v47, v47
	v_ldexp_f32 v47, v47, v60
	v_cndmask_b32_e64 v47, 0, v47, s7
	v_cmp_nlt_f32_e64 s7, 0x42b17218, v46
	v_cndmask_b32_e64 v46, 0x7f800000, v47, s7
	v_cmp_ngt_f32_e64 s7, 0xc2ce8ed0, v2
	v_cndmask_b32_e64 v46, 0, v46, s6
	v_add_f32_e32 v5, v5, v46
	v_cvt_f16_f32_e32 v87, v46
	v_mul_f32_e32 v46, 0x3fb8aa3b, v2
	v_fma_f32 v47, 0x3fb8aa3b, v2, -v46
	v_rndne_f32_e32 v60, v46
	v_fmac_f32_e32 v47, 0x32a5705f, v2
	v_sub_f32_e32 v46, v46, v60
	v_add_f32_e32 v46, v46, v47
	v_cvt_i32_f32_e32 v47, v60
	v_exp_f32_e32 v46, v46
	v_ldexp_f32 v46, v46, v47
	v_cndmask_b32_e64 v46, 0, v46, s7
	v_cmp_nlt_f32_e64 s7, 0x42b17218, v2
	v_cndmask_b32_e64 v2, 0x7f800000, v46, s7
	v_fmac_f32_e32 v5, v69, v2
	v_cvt_f16_f32_e32 v2, v2
	v_mul_u32_u24_sdwa v2, v2, v24 dst_sel:DWORD dst_unused:UNUSED_PAD src0_sel:WORD_0 src1_sel:DWORD
	v_pk_mul_f16 v60, v57, v2
	v_pk_mul_f16 v57, v58, v2
	v_sub_f32_e32 v2, v6, v14
	v_sub_f32_e32 v6, v45, v14
	v_mul_f32_e32 v45, 0x3fb8aa3b, v6
	v_cmp_ngt_f32_e64 s7, 0xc2ce8ed0, v6
	v_fma_f32 v46, 0x3fb8aa3b, v6, -v45
	v_rndne_f32_e32 v47, v45
	v_fmac_f32_e32 v46, 0x32a5705f, v6
	v_sub_f32_e32 v45, v45, v47
	v_add_f32_e32 v45, v45, v46
	v_cvt_i32_f32_e32 v46, v47
	v_exp_f32_e32 v45, v45
	v_ldexp_f32 v45, v45, v46
	v_sub_f32_e32 v46, v85, v14
	v_cndmask_b32_e64 v45, 0, v45, s7
	v_mul_f32_e32 v47, 0x3fb8aa3b, v46
	v_cmp_nlt_f32_e64 s7, 0x42b17218, v6
	v_fma_f32 v58, 0x3fb8aa3b, v46, -v47
	v_rndne_f32_e32 v69, v47
	v_cndmask_b32_e64 v6, 0x7f800000, v45, s7
	v_cmp_ngt_f32_e64 s7, 0xc2ce8ed0, v46
	v_fmac_f32_e32 v58, 0x32a5705f, v46
	v_sub_f32_e32 v47, v47, v69
	v_cndmask_b32_e32 v6, 0, v6, vcc_lo
	v_add_f32_e32 v47, v47, v58
	v_cvt_i32_f32_e32 v58, v69
	v_cvt_f16_f32_e32 v45, v6
	v_exp_f32_e32 v47, v47
	v_ldexp_f32 v47, v47, v58
	v_cndmask_b32_e64 v47, 0, v47, s7
	v_cmp_nlt_f32_e64 s7, 0x42b17218, v46
	v_cndmask_b32_e64 v46, 0x7f800000, v47, s7
	v_cmp_ngt_f32_e64 s7, 0xc2ce8ed0, v2
	v_cndmask_b32_e64 v46, 0, v46, s6
	v_add_f32_e32 v6, v6, v46
	v_cvt_f16_f32_e32 v69, v46
	v_mul_f32_e32 v46, 0x3fb8aa3b, v2
	v_fma_f32 v47, 0x3fb8aa3b, v2, -v46
	v_rndne_f32_e32 v58, v46
	v_fmac_f32_e32 v47, 0x32a5705f, v2
	v_sub_f32_e32 v46, v46, v58
	v_add_f32_e32 v46, v46, v47
	v_cvt_i32_f32_e32 v47, v58
	v_exp_f32_e32 v46, v46
	v_ldexp_f32 v46, v46, v47
	v_cndmask_b32_e64 v46, 0, v46, s7
	v_cmp_nlt_f32_e64 s7, 0x42b17218, v2
	v_cndmask_b32_e64 v2, 0x7f800000, v46, s7
	v_fmac_f32_e32 v6, v68, v2
	v_cvt_f16_f32_e32 v2, v2
	v_mul_u32_u24_sdwa v2, v2, v24 dst_sel:DWORD dst_unused:UNUSED_PAD src0_sel:WORD_0 src1_sel:DWORD
	v_pk_mul_f16 v58, v55, v2
	v_pk_mul_f16 v55, v56, v2
	v_sub_f32_e32 v2, v7, v15
	v_sub_f32_e32 v7, v44, v15
	v_mul_f32_e32 v44, 0x3fb8aa3b, v7
	v_cmp_ngt_f32_e64 s7, 0xc2ce8ed0, v7
	v_fma_f32 v46, 0x3fb8aa3b, v7, -v44
	v_rndne_f32_e32 v47, v44
	v_fmac_f32_e32 v46, 0x32a5705f, v7
	v_sub_f32_e32 v44, v44, v47
	v_add_f32_e32 v44, v44, v46
	v_cvt_i32_f32_e32 v46, v47
	v_exp_f32_e32 v44, v44
	v_ldexp_f32 v44, v44, v46
	v_sub_f32_e32 v46, v83, v15
	v_cndmask_b32_e64 v44, 0, v44, s7
	v_mul_f32_e32 v47, 0x3fb8aa3b, v46
	v_cmp_nlt_f32_e64 s7, 0x42b17218, v7
	v_fma_f32 v56, 0x3fb8aa3b, v46, -v47
	v_rndne_f32_e32 v68, v47
	v_cndmask_b32_e64 v7, 0x7f800000, v44, s7
	v_cmp_ngt_f32_e64 s7, 0xc2ce8ed0, v46
	v_fmac_f32_e32 v56, 0x32a5705f, v46
	v_sub_f32_e32 v47, v47, v68
	v_cndmask_b32_e32 v7, 0, v7, vcc_lo
	v_add_f32_e32 v47, v47, v56
	v_cvt_i32_f32_e32 v56, v68
	v_cvt_f16_f32_e32 v44, v7
	v_exp_f32_e32 v47, v47
	v_ldexp_f32 v47, v47, v56
	v_cndmask_b32_e64 v47, 0, v47, s7
	v_cmp_nlt_f32_e64 s7, 0x42b17218, v46
	v_cndmask_b32_e64 v46, 0x7f800000, v47, s7
	v_cmp_ngt_f32_e64 s7, 0xc2ce8ed0, v2
	v_cndmask_b32_e64 v46, 0, v46, s6
	v_add_f32_e32 v7, v7, v46
	v_cvt_f16_f32_e32 v68, v46
	v_mul_f32_e32 v46, 0x3fb8aa3b, v2
	v_fma_f32 v47, 0x3fb8aa3b, v2, -v46
	v_rndne_f32_e32 v56, v46
	v_fmac_f32_e32 v47, 0x32a5705f, v2
	v_sub_f32_e32 v46, v46, v56
	v_add_f32_e32 v46, v46, v47
	v_cvt_i32_f32_e32 v47, v56
	v_exp_f32_e32 v46, v46
	v_ldexp_f32 v46, v46, v47
	v_cndmask_b32_e64 v46, 0, v46, s7
	v_cmp_nlt_f32_e64 s7, 0x42b17218, v2
	v_cndmask_b32_e64 v2, 0x7f800000, v46, s7
	;; [unrolled: 52-line block ×3, first 2 shown]
	v_fmac_f32_e32 v8, v66, v2
	v_cvt_f16_f32_e32 v2, v2
	v_mul_u32_u24_sdwa v2, v2, v24 dst_sel:DWORD dst_unused:UNUSED_PAD src0_sel:WORD_0 src1_sel:DWORD
	v_pk_mul_f16 v54, v51, v2
	v_pk_mul_f16 v51, v52, v2
	v_sub_f32_e32 v2, v9, v17
	v_sub_f32_e32 v9, v74, v17
	v_mul_f32_e32 v47, 0x3fb8aa3b, v9
	v_cmp_ngt_f32_e64 s7, 0xc2ce8ed0, v9
	v_fma_f32 v52, 0x3fb8aa3b, v9, -v47
	v_rndne_f32_e32 v66, v47
	v_fmac_f32_e32 v52, 0x32a5705f, v9
	v_sub_f32_e32 v47, v47, v66
	v_add_f32_e32 v47, v47, v52
	v_cvt_i32_f32_e32 v52, v66
	v_exp_f32_e32 v47, v47
	v_ldexp_f32 v47, v47, v52
	v_sub_f32_e32 v52, v73, v17
	v_cndmask_b32_e64 v47, 0, v47, s7
	v_mul_f32_e32 v66, 0x3fb8aa3b, v52
	v_cmp_nlt_f32_e64 s7, 0x42b17218, v9
	v_fma_f32 v73, 0x3fb8aa3b, v52, -v66
	v_rndne_f32_e32 v74, v66
	v_cndmask_b32_e64 v9, 0x7f800000, v47, s7
	v_fmac_f32_e32 v73, 0x32a5705f, v52
	v_sub_f32_e32 v66, v66, v74
	v_cndmask_b32_e32 v9, 0, v9, vcc_lo
	v_cmp_ngt_f32_e32 vcc_lo, 0xc2ce8ed0, v52
	v_add_f32_e32 v66, v66, v73
	v_cvt_i32_f32_e32 v73, v74
	v_cvt_f16_f32_e32 v47, v9
	v_exp_f32_e32 v66, v66
	v_pack_b32_f16 v47, v46, v47
	v_pack_b32_f16 v46, v45, v44
	;; [unrolled: 1-line block ×4, first 2 shown]
	v_ldexp_f32 v66, v66, v73
	v_cndmask_b32_e32 v66, 0, v66, vcc_lo
	v_cmp_nlt_f32_e32 vcc_lo, 0x42b17218, v52
	v_cndmask_b32_e32 v52, 0x7f800000, v66, vcc_lo
	v_cmp_ngt_f32_e32 vcc_lo, 0xc2ce8ed0, v2
	v_cndmask_b32_e64 v52, 0, v52, s6
	s_mov_b64 s[6:7], src_private_base
	v_add_f32_e32 v9, v9, v52
	v_cvt_f16_f32_e32 v66, v52
	v_mul_f32_e32 v52, 0x3fb8aa3b, v2
	v_fma_f32 v73, 0x3fb8aa3b, v2, -v52
	v_rndne_f32_e32 v74, v52
	v_fmac_f32_e32 v73, 0x32a5705f, v2
	v_sub_f32_e32 v52, v52, v74
	v_add_f32_e32 v52, v52, v73
	v_cvt_i32_f32_e32 v73, v74
	v_exp_f32_e32 v52, v52
	v_ldexp_f32 v52, v52, v73
	v_cndmask_b32_e32 v52, 0, v52, vcc_lo
	v_cmp_nlt_f32_e32 vcc_lo, 0x42b17218, v2
	v_cndmask_b32_e32 v2, 0x7f800000, v52, vcc_lo
	v_fmac_f32_e32 v9, v65, v2
	v_cvt_f16_f32_e32 v2, v2
	v_mul_u32_u24_sdwa v2, v2, v24 dst_sel:DWORD dst_unused:UNUSED_PAD src0_sel:WORD_0 src1_sel:DWORD
	v_pk_mul_f16 v65, v50, v2
	v_pk_mul_f16 v52, v49, v2
	v_add_nc_u32_e32 v2, 0x6400, v19
	v_mov_b32_e32 v50, 0
	v_lshl_add_u32 v49, v0, 4, v2
	v_lshl_add_u32 v2, v93, 4, v2
	ds_write_b128 v49, v[44:47]
	v_lshl_add_u32 v49, v1, 1, v22
	v_pack_b32_f16 v47, v67, v66
	v_pack_b32_f16 v46, v69, v68
	;; [unrolled: 1-line block ×4, first 2 shown]
	v_mul_lo_u32 v1, s12, v49
	v_cmp_gt_i32_e32 vcc_lo, s10, v49
	v_add_nc_u32_e32 v48, 16, v49
	ds_write_b128 v2, v[44:47]
	v_lshlrev_b32_e32 v46, 2, v23
	buffer_store_dword v50, off, s[0:3], 0
	buffer_store_dword v50, off, s[0:3], 0 offset:4
	buffer_store_dword v50, off, s[0:3], 0 offset:8
	;; [unrolled: 1-line block ×3, first 2 shown]
	v_add_nc_u32_e32 v44, 0x4000, v21
	v_ashrrev_i32_e32 v2, 31, v1
	v_lshl_add_u32 v22, s12, 4, v1
	v_lshl_or_b32 v47, v49, 8, v46
	v_lshl_or_b32 v45, v48, 8, v46
	v_lshlrev_b64 v[3:4], 2, v[1:2]
	v_ashrrev_i32_e32 v23, 31, v22
	v_add_co_u32 v1, s6, s11, v3
	v_add_co_ci_u32_e64 v2, null, s14, v4, s6
	v_add_co_u32 v1, s6, v1, v46
	v_add_co_ci_u32_e64 v2, null, 0, v2, s6
	v_cndmask_b32_e32 v1, 0, v1, vcc_lo
	v_cndmask_b32_e32 v2, s7, v2, vcc_lo
	v_cmp_gt_i32_e32 vcc_lo, s10, v48
	flat_load_dwordx4 v[66:69], v[1:2]
	v_lshlrev_b64 v[1:2], 2, v[22:23]
	v_add_co_u32 v22, s6, s11, v1
	v_add_co_ci_u32_e64 v23, null, s14, v2, s6
	v_add_co_u32 v22, s6, v22, v46
	v_add_co_ci_u32_e64 v23, null, 0, v23, s6
	s_or_b32 s6, s8, 32
	v_cndmask_b32_e32 v22, 0, v22, vcc_lo
	s_mul_hi_i32 s15, s6, s12
	v_cndmask_b32_e32 v23, s7, v23, vcc_lo
	s_mul_i32 s14, s6, s12
	s_lshl_b64 s[14:15], s[14:15], 2
	s_add_u32 s8, s9, s14
	s_addc_u32 s9, s13, s15
	v_add_co_u32 v3, s6, s8, v3
	v_add_co_ci_u32_e64 v4, null, s9, v4, s6
	s_sub_i32 s10, s10, 32
	v_add_co_u32 v3, s6, v3, v46
	v_cmp_gt_i32_e32 vcc_lo, s10, v49
	v_add_co_ci_u32_e64 v4, null, 0, v4, s6
	v_add_co_u32 v1, s6, s8, v1
	v_cndmask_b32_e32 v3, 0, v3, vcc_lo
	v_cndmask_b32_e32 v4, s7, v4, vcc_lo
	v_add_co_ci_u32_e64 v2, null, s9, v2, s6
	v_add_co_u32 v1, s6, v1, v46
	v_cmp_gt_i32_e32 vcc_lo, s10, v48
	v_add_co_ci_u32_e64 v2, null, 0, v2, s6
	v_cndmask_b32_e32 v1, 0, v1, vcc_lo
	v_cndmask_b32_e32 v2, s7, v2, vcc_lo
	s_waitcnt vmcnt(0) lgkmcnt(0)
	ds_write_b128 v47, v[66:69] offset:16384
	buffer_store_dword v50, off, s[0:3], 0
	buffer_store_dword v50, off, s[0:3], 0 offset:4
	buffer_store_dword v50, off, s[0:3], 0 offset:8
	;; [unrolled: 1-line block ×3, first 2 shown]
	flat_load_dwordx4 v[66:69], v[22:23]
	s_waitcnt vmcnt(0) lgkmcnt(0)
	ds_write_b128 v45, v[66:69] offset:16384
	s_waitcnt lgkmcnt(0)
	s_waitcnt_vscnt null, 0x0
	s_barrier
	buffer_gl0_inv
	ds_read2_b64 v[66:69], v44 offset1:32
	ds_read_b128 v[81:84], v19 offset:25600
	ds_read_b128 v[85:88], v19 offset:25616
	;; [unrolled: 1-line block ×4, first 2 shown]
	s_waitcnt lgkmcnt(3)
	v_mul_u32_u24_sdwa v22, v81, v24 dst_sel:DWORD dst_unused:UNUSED_PAD src0_sel:WORD_0 src1_sel:DWORD
	v_mul_u32_u24_sdwa v23, v81, v24 dst_sel:DWORD dst_unused:UNUSED_PAD src0_sel:WORD_1 src1_sel:DWORD
	v_mul_u32_u24_sdwa v70, v82, v24 dst_sel:DWORD dst_unused:UNUSED_PAD src0_sel:WORD_0 src1_sel:DWORD
	v_mul_u32_u24_sdwa v71, v82, v24 dst_sel:DWORD dst_unused:UNUSED_PAD src0_sel:WORD_1 src1_sel:DWORD
	;; [unrolled: 2-line block ×4, first 2 shown]
	v_pk_fma_f16 v72, v66, v22, v72
	v_pk_fma_f16 v64, v66, v23, v64
	;; [unrolled: 1-line block ×16, first 2 shown]
	s_waitcnt lgkmcnt(2)
	v_mul_u32_u24_sdwa v61, v85, v24 dst_sel:DWORD dst_unused:UNUSED_PAD src0_sel:WORD_0 src1_sel:DWORD
	v_mul_u32_u24_sdwa v63, v85, v24 dst_sel:DWORD dst_unused:UNUSED_PAD src0_sel:WORD_1 src1_sel:DWORD
	v_mul_u32_u24_sdwa v66, v86, v24 dst_sel:DWORD dst_unused:UNUSED_PAD src0_sel:WORD_0 src1_sel:DWORD
	v_mul_u32_u24_sdwa v71, v87, v24 dst_sel:DWORD dst_unused:UNUSED_PAD src0_sel:WORD_1 src1_sel:DWORD
	;; [unrolled: 2-line block ×3, first 2 shown]
	v_pk_fma_f16 v72, v68, v61, v72
	v_pk_fma_f16 v64, v68, v63, v64
	;; [unrolled: 1-line block ×10, first 2 shown]
	ds_read2_b64 v[51:54], v44 offset0:64 offset1:96
	v_mul_u32_u24_sdwa v67, v86, v24 dst_sel:DWORD dst_unused:UNUSED_PAD src0_sel:WORD_1 src1_sel:DWORD
	v_mul_u32_u24_sdwa v70, v87, v24 dst_sel:DWORD dst_unused:UNUSED_PAD src0_sel:WORD_0 src1_sel:DWORD
	v_pk_fma_f16 v56, v68, v71, v56
	v_pk_fma_f16 v65, v68, v74, v65
	s_waitcnt lgkmcnt(2)
	v_mul_u32_u24_sdwa v71, v91, v24 dst_sel:DWORD dst_unused:UNUSED_PAD src0_sel:WORD_0 src1_sel:DWORD
	v_pk_fma_f16 v60, v68, v67, v60
	v_pk_fma_f16 v58, v68, v70, v58
	;; [unrolled: 1-line block ×4, first 2 shown]
	v_mul_u32_u24_sdwa v67, v89, v24 dst_sel:DWORD dst_unused:UNUSED_PAD src0_sel:WORD_0 src1_sel:DWORD
	v_mul_u32_u24_sdwa v68, v89, v24 dst_sel:DWORD dst_unused:UNUSED_PAD src0_sel:WORD_1 src1_sel:DWORD
	v_mul_u32_u24_sdwa v69, v90, v24 dst_sel:DWORD dst_unused:UNUSED_PAD src0_sel:WORD_0 src1_sel:DWORD
	v_mul_u32_u24_sdwa v70, v90, v24 dst_sel:DWORD dst_unused:UNUSED_PAD src0_sel:WORD_1 src1_sel:DWORD
	v_mul_u32_u24_sdwa v73, v91, v24 dst_sel:DWORD dst_unused:UNUSED_PAD src0_sel:WORD_1 src1_sel:DWORD
	v_mul_u32_u24_sdwa v74, v92, v24 dst_sel:DWORD dst_unused:UNUSED_PAD src0_sel:WORD_0 src1_sel:DWORD
	v_mul_u32_u24_sdwa v82, v92, v24 dst_sel:DWORD dst_unused:UNUSED_PAD src0_sel:WORD_1 src1_sel:DWORD
	s_waitcnt lgkmcnt(0)
	v_pk_fma_f16 v72, v51, v67, v72
	v_pk_fma_f16 v64, v51, v68, v64
	;; [unrolled: 1-line block ×16, first 2 shown]
	v_mul_u32_u24_sdwa v65, v93, v24 dst_sel:DWORD dst_unused:UNUSED_PAD src0_sel:WORD_0 src1_sel:DWORD
	v_mul_u32_u24_sdwa v66, v93, v24 dst_sel:DWORD dst_unused:UNUSED_PAD src0_sel:WORD_1 src1_sel:DWORD
	v_mul_u32_u24_sdwa v67, v94, v24 dst_sel:DWORD dst_unused:UNUSED_PAD src0_sel:WORD_0 src1_sel:DWORD
	v_mul_u32_u24_sdwa v68, v94, v24 dst_sel:DWORD dst_unused:UNUSED_PAD src0_sel:WORD_1 src1_sel:DWORD
	v_mul_u32_u24_sdwa v69, v95, v24 dst_sel:DWORD dst_unused:UNUSED_PAD src0_sel:WORD_0 src1_sel:DWORD
	v_mul_u32_u24_sdwa v70, v95, v24 dst_sel:DWORD dst_unused:UNUSED_PAD src0_sel:WORD_1 src1_sel:DWORD
	v_mul_u32_u24_sdwa v71, v96, v24 dst_sel:DWORD dst_unused:UNUSED_PAD src0_sel:WORD_0 src1_sel:DWORD
	v_mul_u32_u24_sdwa v73, v96, v24 dst_sel:DWORD dst_unused:UNUSED_PAD src0_sel:WORD_1 src1_sel:DWORD
	v_pk_fma_f16 v72, v53, v65, v72
	v_pk_fma_f16 v64, v53, v66, v64
	;; [unrolled: 1-line block ×16, first 2 shown]
	ds_read2_b64 v[51:54], v44 offset0:128 offset1:160
	ds_read_b128 v[55:58], v19 offset:25664
	s_waitcnt lgkmcnt(0)
	v_mul_u32_u24_sdwa v68, v55, v24 dst_sel:DWORD dst_unused:UNUSED_PAD src0_sel:WORD_0 src1_sel:DWORD
	v_mul_u32_u24_sdwa v55, v55, v24 dst_sel:DWORD dst_unused:UNUSED_PAD src0_sel:WORD_1 src1_sel:DWORD
	v_mul_u32_u24_sdwa v69, v56, v24 dst_sel:DWORD dst_unused:UNUSED_PAD src0_sel:WORD_0 src1_sel:DWORD
	v_mul_u32_u24_sdwa v56, v56, v24 dst_sel:DWORD dst_unused:UNUSED_PAD src0_sel:WORD_1 src1_sel:DWORD
	;; [unrolled: 2-line block ×4, first 2 shown]
	v_pk_fma_f16 v72, v51, v68, v72
	v_pk_fma_f16 v64, v51, v55, v64
	;; [unrolled: 1-line block ×16, first 2 shown]
	ds_read_b128 v[55:58], v19 offset:25680
	s_waitcnt lgkmcnt(0)
	v_mul_u32_u24_sdwa v67, v55, v24 dst_sel:DWORD dst_unused:UNUSED_PAD src0_sel:WORD_0 src1_sel:DWORD
	v_mul_u32_u24_sdwa v55, v55, v24 dst_sel:DWORD dst_unused:UNUSED_PAD src0_sel:WORD_1 src1_sel:DWORD
	v_mul_u32_u24_sdwa v68, v56, v24 dst_sel:DWORD dst_unused:UNUSED_PAD src0_sel:WORD_0 src1_sel:DWORD
	v_mul_u32_u24_sdwa v56, v56, v24 dst_sel:DWORD dst_unused:UNUSED_PAD src0_sel:WORD_1 src1_sel:DWORD
	;; [unrolled: 2-line block ×4, first 2 shown]
	v_pk_fma_f16 v71, v53, v67, v72
	v_pk_fma_f16 v64, v53, v55, v64
	;; [unrolled: 1-line block ×16, first 2 shown]
	ds_read2_b64 v[51:54], v44 offset0:192 offset1:224
	ds_read_b128 v[55:58], v19 offset:25696
	s_waitcnt lgkmcnt(0)
	v_mul_u32_u24_sdwa v68, v55, v24 dst_sel:DWORD dst_unused:UNUSED_PAD src0_sel:WORD_0 src1_sel:DWORD
	v_mul_u32_u24_sdwa v55, v55, v24 dst_sel:DWORD dst_unused:UNUSED_PAD src0_sel:WORD_1 src1_sel:DWORD
	v_mul_u32_u24_sdwa v69, v56, v24 dst_sel:DWORD dst_unused:UNUSED_PAD src0_sel:WORD_0 src1_sel:DWORD
	v_mul_u32_u24_sdwa v56, v56, v24 dst_sel:DWORD dst_unused:UNUSED_PAD src0_sel:WORD_1 src1_sel:DWORD
	v_mul_u32_u24_sdwa v70, v57, v24 dst_sel:DWORD dst_unused:UNUSED_PAD src0_sel:WORD_0 src1_sel:DWORD
	v_mul_u32_u24_sdwa v57, v57, v24 dst_sel:DWORD dst_unused:UNUSED_PAD src0_sel:WORD_1 src1_sel:DWORD
	v_mul_u32_u24_sdwa v82, v58, v24 dst_sel:DWORD dst_unused:UNUSED_PAD src0_sel:WORD_0 src1_sel:DWORD
	v_mul_u32_u24_sdwa v58, v58, v24 dst_sel:DWORD dst_unused:UNUSED_PAD src0_sel:WORD_1 src1_sel:DWORD
	v_pk_fma_f16 v71, v51, v68, v71
	v_pk_fma_f16 v64, v51, v55, v64
	;; [unrolled: 1-line block ×16, first 2 shown]
	ds_read_b128 v[55:58], v19 offset:25712
	s_waitcnt lgkmcnt(0)
	v_mul_u32_u24_sdwa v67, v55, v24 dst_sel:DWORD dst_unused:UNUSED_PAD src0_sel:WORD_0 src1_sel:DWORD
	v_mul_u32_u24_sdwa v55, v55, v24 dst_sel:DWORD dst_unused:UNUSED_PAD src0_sel:WORD_1 src1_sel:DWORD
	v_mul_u32_u24_sdwa v68, v56, v24 dst_sel:DWORD dst_unused:UNUSED_PAD src0_sel:WORD_0 src1_sel:DWORD
	v_mul_u32_u24_sdwa v56, v56, v24 dst_sel:DWORD dst_unused:UNUSED_PAD src0_sel:WORD_1 src1_sel:DWORD
	;; [unrolled: 2-line block ×4, first 2 shown]
	v_pk_fma_f16 v71, v53, v67, v71
	v_pk_fma_f16 v67, v54, v67, v22
	v_add_nc_u32_e32 v22, 0x4800, v21
	v_pk_fma_f16 v64, v53, v55, v64
	v_pk_fma_f16 v62, v53, v68, v62
	;; [unrolled: 1-line block ×14, first 2 shown]
	ds_read2_b64 v[51:54], v22 offset1:32
	ds_read_b128 v[55:58], v19 offset:25728
	s_waitcnt lgkmcnt(0)
	v_mul_u32_u24_sdwa v69, v55, v24 dst_sel:DWORD dst_unused:UNUSED_PAD src0_sel:WORD_0 src1_sel:DWORD
	v_mul_u32_u24_sdwa v55, v55, v24 dst_sel:DWORD dst_unused:UNUSED_PAD src0_sel:WORD_1 src1_sel:DWORD
	v_mul_u32_u24_sdwa v70, v56, v24 dst_sel:DWORD dst_unused:UNUSED_PAD src0_sel:WORD_0 src1_sel:DWORD
	v_mul_u32_u24_sdwa v56, v56, v24 dst_sel:DWORD dst_unused:UNUSED_PAD src0_sel:WORD_1 src1_sel:DWORD
	v_mul_u32_u24_sdwa v82, v57, v24 dst_sel:DWORD dst_unused:UNUSED_PAD src0_sel:WORD_0 src1_sel:DWORD
	v_mul_u32_u24_sdwa v57, v57, v24 dst_sel:DWORD dst_unused:UNUSED_PAD src0_sel:WORD_1 src1_sel:DWORD
	v_mul_u32_u24_sdwa v83, v58, v24 dst_sel:DWORD dst_unused:UNUSED_PAD src0_sel:WORD_0 src1_sel:DWORD
	v_mul_u32_u24_sdwa v58, v58, v24 dst_sel:DWORD dst_unused:UNUSED_PAD src0_sel:WORD_1 src1_sel:DWORD
	v_pk_fma_f16 v71, v51, v69, v71
	v_pk_fma_f16 v64, v51, v55, v64
	v_pk_fma_f16 v62, v51, v70, v62
	v_pk_fma_f16 v60, v51, v56, v60
	v_pk_fma_f16 v72, v51, v82, v72
	v_pk_fma_f16 v73, v51, v57, v73
	v_pk_fma_f16 v74, v51, v83, v74
	v_pk_fma_f16 v51, v51, v58, v81
	v_pk_fma_f16 v67, v52, v69, v67
	v_pk_fma_f16 v23, v52, v55, v23
	v_pk_fma_f16 v59, v52, v70, v59
	v_pk_fma_f16 v65, v52, v56, v65
	v_pk_fma_f16 v66, v52, v82, v66
	v_pk_fma_f16 v61, v52, v57, v61
	v_pk_fma_f16 v63, v52, v83, v63
	v_pk_fma_f16 v52, v52, v58, v68
	ds_read_b128 v[55:58], v19 offset:25744
	s_waitcnt lgkmcnt(0)
	v_mul_u32_u24_sdwa v68, v55, v24 dst_sel:DWORD dst_unused:UNUSED_PAD src0_sel:WORD_0 src1_sel:DWORD
	v_mul_u32_u24_sdwa v55, v55, v24 dst_sel:DWORD dst_unused:UNUSED_PAD src0_sel:WORD_1 src1_sel:DWORD
	v_mul_u32_u24_sdwa v69, v56, v24 dst_sel:DWORD dst_unused:UNUSED_PAD src0_sel:WORD_0 src1_sel:DWORD
	v_mul_u32_u24_sdwa v56, v56, v24 dst_sel:DWORD dst_unused:UNUSED_PAD src0_sel:WORD_1 src1_sel:DWORD
	v_mul_u32_u24_sdwa v70, v57, v24 dst_sel:DWORD dst_unused:UNUSED_PAD src0_sel:WORD_0 src1_sel:DWORD
	v_mul_u32_u24_sdwa v57, v57, v24 dst_sel:DWORD dst_unused:UNUSED_PAD src0_sel:WORD_1 src1_sel:DWORD
	v_mul_u32_u24_sdwa v81, v58, v24 dst_sel:DWORD dst_unused:UNUSED_PAD src0_sel:WORD_0 src1_sel:DWORD
	v_mul_u32_u24_sdwa v58, v58, v24 dst_sel:DWORD dst_unused:UNUSED_PAD src0_sel:WORD_1 src1_sel:DWORD
	v_pk_fma_f16 v71, v53, v68, v71
	v_pk_fma_f16 v64, v53, v55, v64
	v_pk_fma_f16 v62, v53, v69, v62
	v_pk_fma_f16 v60, v53, v56, v60
	v_pk_fma_f16 v72, v53, v70, v72
	v_pk_fma_f16 v73, v53, v57, v73
	v_pk_fma_f16 v74, v53, v81, v74
	v_pk_fma_f16 v82, v53, v58, v51
	v_pk_fma_f16 v67, v54, v68, v67
	v_pk_fma_f16 v23, v54, v55, v23
	v_pk_fma_f16 v59, v54, v69, v59
	v_pk_fma_f16 v65, v54, v56, v65
	v_pk_fma_f16 v66, v54, v70, v66
	v_pk_fma_f16 v61, v54, v57, v61
	v_pk_fma_f16 v63, v54, v81, v63
	v_pk_fma_f16 v68, v54, v58, v52
	ds_read2_b64 v[51:54], v22 offset0:64 offset1:96
	ds_read_b128 v[55:58], v19 offset:25760
	s_waitcnt lgkmcnt(0)
	v_mul_u32_u24_sdwa v69, v55, v24 dst_sel:DWORD dst_unused:UNUSED_PAD src0_sel:WORD_0 src1_sel:DWORD
	v_mul_u32_u24_sdwa v55, v55, v24 dst_sel:DWORD dst_unused:UNUSED_PAD src0_sel:WORD_1 src1_sel:DWORD
	v_mul_u32_u24_sdwa v70, v56, v24 dst_sel:DWORD dst_unused:UNUSED_PAD src0_sel:WORD_0 src1_sel:DWORD
	v_mul_u32_u24_sdwa v56, v56, v24 dst_sel:DWORD dst_unused:UNUSED_PAD src0_sel:WORD_1 src1_sel:DWORD
	v_mul_u32_u24_sdwa v81, v57, v24 dst_sel:DWORD dst_unused:UNUSED_PAD src0_sel:WORD_0 src1_sel:DWORD
	v_mul_u32_u24_sdwa v57, v57, v24 dst_sel:DWORD dst_unused:UNUSED_PAD src0_sel:WORD_1 src1_sel:DWORD
	v_mul_u32_u24_sdwa v83, v58, v24 dst_sel:DWORD dst_unused:UNUSED_PAD src0_sel:WORD_0 src1_sel:DWORD
	v_mul_u32_u24_sdwa v58, v58, v24 dst_sel:DWORD dst_unused:UNUSED_PAD src0_sel:WORD_1 src1_sel:DWORD
	v_pk_fma_f16 v71, v51, v69, v71
	v_pk_fma_f16 v64, v51, v55, v64
	v_pk_fma_f16 v62, v51, v70, v62
	v_pk_fma_f16 v60, v51, v56, v60
	v_pk_fma_f16 v72, v51, v81, v72
	v_pk_fma_f16 v73, v51, v57, v73
	v_pk_fma_f16 v74, v51, v83, v74
	v_pk_fma_f16 v51, v51, v58, v82
	v_pk_fma_f16 v67, v52, v69, v67
	v_pk_fma_f16 v23, v52, v55, v23
	v_pk_fma_f16 v59, v52, v70, v59
	v_pk_fma_f16 v65, v52, v56, v65
	v_pk_fma_f16 v66, v52, v81, v66
	v_pk_fma_f16 v61, v52, v57, v61
	v_pk_fma_f16 v63, v52, v83, v63
	v_pk_fma_f16 v52, v52, v58, v68
	ds_read_b128 v[55:58], v19 offset:25776
	s_waitcnt lgkmcnt(0)
	v_mul_u32_u24_sdwa v68, v55, v24 dst_sel:DWORD dst_unused:UNUSED_PAD src0_sel:WORD_0 src1_sel:DWORD
	v_mul_u32_u24_sdwa v55, v55, v24 dst_sel:DWORD dst_unused:UNUSED_PAD src0_sel:WORD_1 src1_sel:DWORD
	v_mul_u32_u24_sdwa v69, v56, v24 dst_sel:DWORD dst_unused:UNUSED_PAD src0_sel:WORD_0 src1_sel:DWORD
	v_mul_u32_u24_sdwa v56, v56, v24 dst_sel:DWORD dst_unused:UNUSED_PAD src0_sel:WORD_1 src1_sel:DWORD
	v_mul_u32_u24_sdwa v70, v57, v24 dst_sel:DWORD dst_unused:UNUSED_PAD src0_sel:WORD_0 src1_sel:DWORD
	v_mul_u32_u24_sdwa v57, v57, v24 dst_sel:DWORD dst_unused:UNUSED_PAD src0_sel:WORD_1 src1_sel:DWORD
	v_mul_u32_u24_sdwa v81, v58, v24 dst_sel:DWORD dst_unused:UNUSED_PAD src0_sel:WORD_0 src1_sel:DWORD
	v_mul_u32_u24_sdwa v58, v58, v24 dst_sel:DWORD dst_unused:UNUSED_PAD src0_sel:WORD_1 src1_sel:DWORD
	v_pk_fma_f16 v71, v53, v68, v71
	v_pk_fma_f16 v64, v53, v55, v64
	v_pk_fma_f16 v62, v53, v69, v62
	v_pk_fma_f16 v60, v53, v56, v60
	v_pk_fma_f16 v72, v53, v70, v72
	v_pk_fma_f16 v73, v53, v57, v73
	v_pk_fma_f16 v74, v53, v81, v74
	v_pk_fma_f16 v82, v53, v58, v51
	v_pk_fma_f16 v67, v54, v68, v67
	v_pk_fma_f16 v23, v54, v55, v23
	v_pk_fma_f16 v59, v54, v69, v59
	v_pk_fma_f16 v65, v54, v56, v65
	v_pk_fma_f16 v66, v54, v70, v66
	v_pk_fma_f16 v61, v54, v57, v61
	v_pk_fma_f16 v63, v54, v81, v63
	v_pk_fma_f16 v68, v54, v58, v52
	ds_read2_b64 v[51:54], v22 offset0:128 offset1:160
	;; [unrolled: 53-line block ×3, first 2 shown]
	ds_read_b128 v[55:58], v19 offset:25824
	s_waitcnt lgkmcnt(0)
	v_mul_u32_u24_sdwa v69, v55, v24 dst_sel:DWORD dst_unused:UNUSED_PAD src0_sel:WORD_0 src1_sel:DWORD
	v_mul_u32_u24_sdwa v55, v55, v24 dst_sel:DWORD dst_unused:UNUSED_PAD src0_sel:WORD_1 src1_sel:DWORD
	v_mul_u32_u24_sdwa v70, v56, v24 dst_sel:DWORD dst_unused:UNUSED_PAD src0_sel:WORD_0 src1_sel:DWORD
	v_mul_u32_u24_sdwa v56, v56, v24 dst_sel:DWORD dst_unused:UNUSED_PAD src0_sel:WORD_1 src1_sel:DWORD
	;; [unrolled: 2-line block ×4, first 2 shown]
	v_pk_fma_f16 v71, v51, v69, v71
	v_pk_fma_f16 v64, v51, v55, v64
	;; [unrolled: 1-line block ×16, first 2 shown]
	ds_read_b128 v[55:58], v19 offset:25840
	s_waitcnt lgkmcnt(0)
	v_mul_u32_u24_sdwa v68, v55, v24 dst_sel:DWORD dst_unused:UNUSED_PAD src0_sel:WORD_0 src1_sel:DWORD
	v_mul_u32_u24_sdwa v55, v55, v24 dst_sel:DWORD dst_unused:UNUSED_PAD src0_sel:WORD_1 src1_sel:DWORD
	v_mul_u32_u24_sdwa v69, v56, v24 dst_sel:DWORD dst_unused:UNUSED_PAD src0_sel:WORD_0 src1_sel:DWORD
	v_mul_u32_u24_sdwa v56, v56, v24 dst_sel:DWORD dst_unused:UNUSED_PAD src0_sel:WORD_1 src1_sel:DWORD
	;; [unrolled: 2-line block ×4, first 2 shown]
	v_pk_fma_f16 v71, v53, v68, v71
	v_pk_fma_f16 v67, v54, v68, v67
	;; [unrolled: 1-line block ×3, first 2 shown]
	v_add_nc_u32_e32 v23, 0x5000, v21
	v_pk_fma_f16 v64, v53, v55, v64
	v_pk_fma_f16 v62, v53, v69, v62
	;; [unrolled: 1-line block ×13, first 2 shown]
	ds_read2_b64 v[51:54], v23 offset1:32
	ds_read_b128 v[55:58], v19 offset:25856
	v_add_nc_u32_e32 v21, 0x5800, v21
	s_waitcnt lgkmcnt(0)
	v_mul_u32_u24_sdwa v70, v55, v24 dst_sel:DWORD dst_unused:UNUSED_PAD src0_sel:WORD_0 src1_sel:DWORD
	v_mul_u32_u24_sdwa v55, v55, v24 dst_sel:DWORD dst_unused:UNUSED_PAD src0_sel:WORD_1 src1_sel:DWORD
	v_mul_u32_u24_sdwa v81, v56, v24 dst_sel:DWORD dst_unused:UNUSED_PAD src0_sel:WORD_0 src1_sel:DWORD
	v_mul_u32_u24_sdwa v56, v56, v24 dst_sel:DWORD dst_unused:UNUSED_PAD src0_sel:WORD_1 src1_sel:DWORD
	v_mul_u32_u24_sdwa v83, v57, v24 dst_sel:DWORD dst_unused:UNUSED_PAD src0_sel:WORD_0 src1_sel:DWORD
	v_mul_u32_u24_sdwa v57, v57, v24 dst_sel:DWORD dst_unused:UNUSED_PAD src0_sel:WORD_1 src1_sel:DWORD
	v_mul_u32_u24_sdwa v84, v58, v24 dst_sel:DWORD dst_unused:UNUSED_PAD src0_sel:WORD_0 src1_sel:DWORD
	v_mul_u32_u24_sdwa v58, v58, v24 dst_sel:DWORD dst_unused:UNUSED_PAD src0_sel:WORD_1 src1_sel:DWORD
	v_pk_fma_f16 v71, v51, v70, v71
	v_pk_fma_f16 v64, v51, v55, v64
	v_pk_fma_f16 v62, v51, v81, v62
	v_pk_fma_f16 v60, v51, v56, v60
	v_pk_fma_f16 v72, v51, v83, v72
	v_pk_fma_f16 v73, v51, v57, v73
	v_pk_fma_f16 v74, v51, v84, v74
	v_pk_fma_f16 v51, v51, v58, v82
	v_pk_fma_f16 v67, v52, v70, v67
	v_pk_fma_f16 v68, v52, v55, v68
	v_pk_fma_f16 v59, v52, v81, v59
	v_pk_fma_f16 v65, v52, v56, v65
	v_pk_fma_f16 v66, v52, v83, v66
	v_pk_fma_f16 v61, v52, v57, v61
	v_pk_fma_f16 v63, v52, v84, v63
	v_pk_fma_f16 v52, v52, v58, v69
	ds_read_b128 v[55:58], v19 offset:25872
	s_waitcnt lgkmcnt(0)
	v_mul_u32_u24_sdwa v69, v55, v24 dst_sel:DWORD dst_unused:UNUSED_PAD src0_sel:WORD_0 src1_sel:DWORD
	v_mul_u32_u24_sdwa v55, v55, v24 dst_sel:DWORD dst_unused:UNUSED_PAD src0_sel:WORD_1 src1_sel:DWORD
	v_mul_u32_u24_sdwa v70, v56, v24 dst_sel:DWORD dst_unused:UNUSED_PAD src0_sel:WORD_0 src1_sel:DWORD
	v_mul_u32_u24_sdwa v56, v56, v24 dst_sel:DWORD dst_unused:UNUSED_PAD src0_sel:WORD_1 src1_sel:DWORD
	v_mul_u32_u24_sdwa v81, v57, v24 dst_sel:DWORD dst_unused:UNUSED_PAD src0_sel:WORD_0 src1_sel:DWORD
	v_mul_u32_u24_sdwa v57, v57, v24 dst_sel:DWORD dst_unused:UNUSED_PAD src0_sel:WORD_1 src1_sel:DWORD
	v_mul_u32_u24_sdwa v82, v58, v24 dst_sel:DWORD dst_unused:UNUSED_PAD src0_sel:WORD_0 src1_sel:DWORD
	v_mul_u32_u24_sdwa v58, v58, v24 dst_sel:DWORD dst_unused:UNUSED_PAD src0_sel:WORD_1 src1_sel:DWORD
	v_pk_fma_f16 v71, v53, v69, v71
	v_pk_fma_f16 v64, v53, v55, v64
	v_pk_fma_f16 v62, v53, v70, v62
	v_pk_fma_f16 v60, v53, v56, v60
	v_pk_fma_f16 v72, v53, v81, v72
	v_pk_fma_f16 v73, v53, v57, v73
	v_pk_fma_f16 v74, v53, v82, v74
	v_pk_fma_f16 v83, v53, v58, v51
	v_pk_fma_f16 v67, v54, v69, v67
	v_pk_fma_f16 v68, v54, v55, v68
	v_pk_fma_f16 v59, v54, v70, v59
	v_pk_fma_f16 v65, v54, v56, v65
	v_pk_fma_f16 v66, v54, v81, v66
	v_pk_fma_f16 v61, v54, v57, v61
	v_pk_fma_f16 v63, v54, v82, v63
	v_pk_fma_f16 v69, v54, v58, v52
	ds_read2_b64 v[51:54], v23 offset0:64 offset1:96
	ds_read_b128 v[55:58], v19 offset:25888
	s_waitcnt lgkmcnt(0)
	v_mul_u32_u24_sdwa v70, v55, v24 dst_sel:DWORD dst_unused:UNUSED_PAD src0_sel:WORD_0 src1_sel:DWORD
	v_mul_u32_u24_sdwa v55, v55, v24 dst_sel:DWORD dst_unused:UNUSED_PAD src0_sel:WORD_1 src1_sel:DWORD
	v_mul_u32_u24_sdwa v81, v56, v24 dst_sel:DWORD dst_unused:UNUSED_PAD src0_sel:WORD_0 src1_sel:DWORD
	v_mul_u32_u24_sdwa v56, v56, v24 dst_sel:DWORD dst_unused:UNUSED_PAD src0_sel:WORD_1 src1_sel:DWORD
	v_mul_u32_u24_sdwa v82, v57, v24 dst_sel:DWORD dst_unused:UNUSED_PAD src0_sel:WORD_0 src1_sel:DWORD
	v_mul_u32_u24_sdwa v57, v57, v24 dst_sel:DWORD dst_unused:UNUSED_PAD src0_sel:WORD_1 src1_sel:DWORD
	v_mul_u32_u24_sdwa v84, v58, v24 dst_sel:DWORD dst_unused:UNUSED_PAD src0_sel:WORD_0 src1_sel:DWORD
	v_mul_u32_u24_sdwa v58, v58, v24 dst_sel:DWORD dst_unused:UNUSED_PAD src0_sel:WORD_1 src1_sel:DWORD
	v_pk_fma_f16 v71, v51, v70, v71
	v_pk_fma_f16 v64, v51, v55, v64
	v_pk_fma_f16 v62, v51, v81, v62
	v_pk_fma_f16 v60, v51, v56, v60
	v_pk_fma_f16 v72, v51, v82, v72
	v_pk_fma_f16 v73, v51, v57, v73
	v_pk_fma_f16 v74, v51, v84, v74
	v_pk_fma_f16 v51, v51, v58, v83
	v_pk_fma_f16 v67, v52, v70, v67
	v_pk_fma_f16 v68, v52, v55, v68
	v_pk_fma_f16 v59, v52, v81, v59
	v_pk_fma_f16 v65, v52, v56, v65
	v_pk_fma_f16 v66, v52, v82, v66
	v_pk_fma_f16 v61, v52, v57, v61
	v_pk_fma_f16 v63, v52, v84, v63
	v_pk_fma_f16 v52, v52, v58, v69
	ds_read_b128 v[55:58], v19 offset:25904
	s_waitcnt lgkmcnt(0)
	v_mul_u32_u24_sdwa v69, v55, v24 dst_sel:DWORD dst_unused:UNUSED_PAD src0_sel:WORD_0 src1_sel:DWORD
	v_mul_u32_u24_sdwa v55, v55, v24 dst_sel:DWORD dst_unused:UNUSED_PAD src0_sel:WORD_1 src1_sel:DWORD
	v_mul_u32_u24_sdwa v70, v56, v24 dst_sel:DWORD dst_unused:UNUSED_PAD src0_sel:WORD_0 src1_sel:DWORD
	v_mul_u32_u24_sdwa v56, v56, v24 dst_sel:DWORD dst_unused:UNUSED_PAD src0_sel:WORD_1 src1_sel:DWORD
	v_mul_u32_u24_sdwa v81, v57, v24 dst_sel:DWORD dst_unused:UNUSED_PAD src0_sel:WORD_0 src1_sel:DWORD
	v_mul_u32_u24_sdwa v57, v57, v24 dst_sel:DWORD dst_unused:UNUSED_PAD src0_sel:WORD_1 src1_sel:DWORD
	v_mul_u32_u24_sdwa v82, v58, v24 dst_sel:DWORD dst_unused:UNUSED_PAD src0_sel:WORD_0 src1_sel:DWORD
	v_mul_u32_u24_sdwa v58, v58, v24 dst_sel:DWORD dst_unused:UNUSED_PAD src0_sel:WORD_1 src1_sel:DWORD
	v_pk_fma_f16 v71, v53, v69, v71
	v_pk_fma_f16 v64, v53, v55, v64
	v_pk_fma_f16 v62, v53, v70, v62
	v_pk_fma_f16 v60, v53, v56, v60
	v_pk_fma_f16 v72, v53, v81, v72
	v_pk_fma_f16 v73, v53, v57, v73
	v_pk_fma_f16 v74, v53, v82, v74
	v_pk_fma_f16 v83, v53, v58, v51
	v_pk_fma_f16 v67, v54, v69, v67
	v_pk_fma_f16 v68, v54, v55, v68
	v_pk_fma_f16 v59, v54, v70, v59
	v_pk_fma_f16 v65, v54, v56, v65
	v_pk_fma_f16 v66, v54, v81, v66
	v_pk_fma_f16 v61, v54, v57, v61
	v_pk_fma_f16 v63, v54, v82, v63
	v_pk_fma_f16 v69, v54, v58, v52
	ds_read2_b64 v[51:54], v23 offset0:128 offset1:160
	ds_read_b128 v[55:58], v19 offset:25920
	;; [unrolled: 53-line block ×3, first 2 shown]
	s_waitcnt lgkmcnt(0)
	v_mul_u32_u24_sdwa v70, v55, v24 dst_sel:DWORD dst_unused:UNUSED_PAD src0_sel:WORD_0 src1_sel:DWORD
	v_mul_u32_u24_sdwa v55, v55, v24 dst_sel:DWORD dst_unused:UNUSED_PAD src0_sel:WORD_1 src1_sel:DWORD
	v_mul_u32_u24_sdwa v81, v56, v24 dst_sel:DWORD dst_unused:UNUSED_PAD src0_sel:WORD_0 src1_sel:DWORD
	v_mul_u32_u24_sdwa v56, v56, v24 dst_sel:DWORD dst_unused:UNUSED_PAD src0_sel:WORD_1 src1_sel:DWORD
	;; [unrolled: 2-line block ×4, first 2 shown]
	v_pk_fma_f16 v71, v51, v70, v71
	v_pk_fma_f16 v64, v51, v55, v64
	v_pk_fma_f16 v62, v51, v81, v62
	v_pk_fma_f16 v60, v51, v56, v60
	v_pk_fma_f16 v72, v51, v82, v72
	v_pk_fma_f16 v73, v51, v57, v73
	v_pk_fma_f16 v74, v51, v84, v74
	v_pk_fma_f16 v51, v51, v58, v83
	v_pk_fma_f16 v67, v52, v70, v67
	v_pk_fma_f16 v68, v52, v55, v68
	v_pk_fma_f16 v59, v52, v81, v59
	v_pk_fma_f16 v65, v52, v56, v65
	v_pk_fma_f16 v66, v52, v82, v66
	v_pk_fma_f16 v61, v52, v57, v61
	v_pk_fma_f16 v63, v52, v84, v63
	v_pk_fma_f16 v52, v52, v58, v69
	ds_read_b128 v[55:58], v19 offset:25968
	s_waitcnt lgkmcnt(0)
	v_mul_u32_u24_sdwa v69, v55, v24 dst_sel:DWORD dst_unused:UNUSED_PAD src0_sel:WORD_0 src1_sel:DWORD
	v_mul_u32_u24_sdwa v55, v55, v24 dst_sel:DWORD dst_unused:UNUSED_PAD src0_sel:WORD_1 src1_sel:DWORD
	v_mul_u32_u24_sdwa v70, v56, v24 dst_sel:DWORD dst_unused:UNUSED_PAD src0_sel:WORD_0 src1_sel:DWORD
	v_mul_u32_u24_sdwa v56, v56, v24 dst_sel:DWORD dst_unused:UNUSED_PAD src0_sel:WORD_1 src1_sel:DWORD
	;; [unrolled: 2-line block ×4, first 2 shown]
	v_pk_fma_f16 v71, v53, v69, v71
	v_pk_fma_f16 v64, v53, v55, v64
	;; [unrolled: 1-line block ×16, first 2 shown]
	ds_read2_b64 v[51:54], v21 offset1:32
	ds_read_b128 v[55:58], v19 offset:25984
	s_waitcnt lgkmcnt(0)
	v_mul_u32_u24_sdwa v70, v55, v24 dst_sel:DWORD dst_unused:UNUSED_PAD src0_sel:WORD_0 src1_sel:DWORD
	v_mul_u32_u24_sdwa v55, v55, v24 dst_sel:DWORD dst_unused:UNUSED_PAD src0_sel:WORD_1 src1_sel:DWORD
	v_mul_u32_u24_sdwa v81, v56, v24 dst_sel:DWORD dst_unused:UNUSED_PAD src0_sel:WORD_0 src1_sel:DWORD
	v_mul_u32_u24_sdwa v56, v56, v24 dst_sel:DWORD dst_unused:UNUSED_PAD src0_sel:WORD_1 src1_sel:DWORD
	v_mul_u32_u24_sdwa v82, v57, v24 dst_sel:DWORD dst_unused:UNUSED_PAD src0_sel:WORD_0 src1_sel:DWORD
	v_mul_u32_u24_sdwa v57, v57, v24 dst_sel:DWORD dst_unused:UNUSED_PAD src0_sel:WORD_1 src1_sel:DWORD
	v_mul_u32_u24_sdwa v84, v58, v24 dst_sel:DWORD dst_unused:UNUSED_PAD src0_sel:WORD_0 src1_sel:DWORD
	v_mul_u32_u24_sdwa v58, v58, v24 dst_sel:DWORD dst_unused:UNUSED_PAD src0_sel:WORD_1 src1_sel:DWORD
	v_pk_fma_f16 v71, v51, v70, v71
	v_pk_fma_f16 v64, v51, v55, v64
	v_pk_fma_f16 v62, v51, v81, v62
	v_pk_fma_f16 v60, v51, v56, v60
	v_pk_fma_f16 v72, v51, v82, v72
	v_pk_fma_f16 v73, v51, v57, v73
	v_pk_fma_f16 v74, v51, v84, v74
	v_pk_fma_f16 v51, v51, v58, v83
	v_pk_fma_f16 v67, v52, v70, v67
	v_pk_fma_f16 v68, v52, v55, v68
	v_pk_fma_f16 v59, v52, v81, v59
	v_pk_fma_f16 v65, v52, v56, v65
	v_pk_fma_f16 v66, v52, v82, v66
	v_pk_fma_f16 v61, v52, v57, v61
	v_pk_fma_f16 v63, v52, v84, v63
	v_pk_fma_f16 v52, v52, v58, v69
	ds_read_b128 v[55:58], v19 offset:26000
	s_waitcnt lgkmcnt(0)
	v_mul_u32_u24_sdwa v69, v55, v24 dst_sel:DWORD dst_unused:UNUSED_PAD src0_sel:WORD_0 src1_sel:DWORD
	v_mul_u32_u24_sdwa v55, v55, v24 dst_sel:DWORD dst_unused:UNUSED_PAD src0_sel:WORD_1 src1_sel:DWORD
	v_mul_u32_u24_sdwa v70, v56, v24 dst_sel:DWORD dst_unused:UNUSED_PAD src0_sel:WORD_0 src1_sel:DWORD
	v_mul_u32_u24_sdwa v56, v56, v24 dst_sel:DWORD dst_unused:UNUSED_PAD src0_sel:WORD_1 src1_sel:DWORD
	v_mul_u32_u24_sdwa v81, v57, v24 dst_sel:DWORD dst_unused:UNUSED_PAD src0_sel:WORD_0 src1_sel:DWORD
	v_mul_u32_u24_sdwa v57, v57, v24 dst_sel:DWORD dst_unused:UNUSED_PAD src0_sel:WORD_1 src1_sel:DWORD
	v_mul_u32_u24_sdwa v82, v58, v24 dst_sel:DWORD dst_unused:UNUSED_PAD src0_sel:WORD_0 src1_sel:DWORD
	v_mul_u32_u24_sdwa v58, v58, v24 dst_sel:DWORD dst_unused:UNUSED_PAD src0_sel:WORD_1 src1_sel:DWORD
	v_pk_fma_f16 v71, v53, v69, v71
	v_pk_fma_f16 v64, v53, v55, v64
	v_pk_fma_f16 v62, v53, v70, v62
	v_pk_fma_f16 v60, v53, v56, v60
	v_pk_fma_f16 v72, v53, v81, v72
	v_pk_fma_f16 v73, v53, v57, v73
	v_pk_fma_f16 v74, v53, v82, v74
	v_pk_fma_f16 v83, v53, v58, v51
	v_pk_fma_f16 v67, v54, v69, v67
	v_pk_fma_f16 v68, v54, v55, v68
	v_pk_fma_f16 v59, v54, v70, v59
	v_pk_fma_f16 v65, v54, v56, v65
	v_pk_fma_f16 v66, v54, v81, v66
	v_pk_fma_f16 v61, v54, v57, v61
	v_pk_fma_f16 v63, v54, v82, v63
	v_pk_fma_f16 v69, v54, v58, v52
	ds_read2_b64 v[51:54], v21 offset0:64 offset1:96
	ds_read_b128 v[55:58], v19 offset:26016
	s_waitcnt lgkmcnt(0)
	v_mul_u32_u24_sdwa v70, v55, v24 dst_sel:DWORD dst_unused:UNUSED_PAD src0_sel:WORD_0 src1_sel:DWORD
	v_mul_u32_u24_sdwa v55, v55, v24 dst_sel:DWORD dst_unused:UNUSED_PAD src0_sel:WORD_1 src1_sel:DWORD
	v_mul_u32_u24_sdwa v81, v56, v24 dst_sel:DWORD dst_unused:UNUSED_PAD src0_sel:WORD_0 src1_sel:DWORD
	v_mul_u32_u24_sdwa v56, v56, v24 dst_sel:DWORD dst_unused:UNUSED_PAD src0_sel:WORD_1 src1_sel:DWORD
	v_mul_u32_u24_sdwa v82, v57, v24 dst_sel:DWORD dst_unused:UNUSED_PAD src0_sel:WORD_0 src1_sel:DWORD
	v_mul_u32_u24_sdwa v57, v57, v24 dst_sel:DWORD dst_unused:UNUSED_PAD src0_sel:WORD_1 src1_sel:DWORD
	v_mul_u32_u24_sdwa v84, v58, v24 dst_sel:DWORD dst_unused:UNUSED_PAD src0_sel:WORD_0 src1_sel:DWORD
	v_mul_u32_u24_sdwa v58, v58, v24 dst_sel:DWORD dst_unused:UNUSED_PAD src0_sel:WORD_1 src1_sel:DWORD
	v_pk_fma_f16 v71, v51, v70, v71
	v_pk_fma_f16 v64, v51, v55, v64
	v_pk_fma_f16 v62, v51, v81, v62
	v_pk_fma_f16 v60, v51, v56, v60
	v_pk_fma_f16 v72, v51, v82, v72
	v_pk_fma_f16 v73, v51, v57, v73
	v_pk_fma_f16 v74, v51, v84, v74
	v_pk_fma_f16 v51, v51, v58, v83
	v_pk_fma_f16 v67, v52, v70, v67
	v_pk_fma_f16 v68, v52, v55, v68
	v_pk_fma_f16 v59, v52, v81, v59
	v_pk_fma_f16 v65, v52, v56, v65
	v_pk_fma_f16 v66, v52, v82, v66
	v_pk_fma_f16 v61, v52, v57, v61
	v_pk_fma_f16 v63, v52, v84, v63
	v_pk_fma_f16 v52, v52, v58, v69
	ds_read_b128 v[55:58], v19 offset:26032
	s_waitcnt lgkmcnt(0)
	v_mul_u32_u24_sdwa v69, v55, v24 dst_sel:DWORD dst_unused:UNUSED_PAD src0_sel:WORD_0 src1_sel:DWORD
	v_mul_u32_u24_sdwa v55, v55, v24 dst_sel:DWORD dst_unused:UNUSED_PAD src0_sel:WORD_1 src1_sel:DWORD
	v_mul_u32_u24_sdwa v70, v56, v24 dst_sel:DWORD dst_unused:UNUSED_PAD src0_sel:WORD_0 src1_sel:DWORD
	v_mul_u32_u24_sdwa v56, v56, v24 dst_sel:DWORD dst_unused:UNUSED_PAD src0_sel:WORD_1 src1_sel:DWORD
	v_mul_u32_u24_sdwa v81, v57, v24 dst_sel:DWORD dst_unused:UNUSED_PAD src0_sel:WORD_0 src1_sel:DWORD
	v_mul_u32_u24_sdwa v57, v57, v24 dst_sel:DWORD dst_unused:UNUSED_PAD src0_sel:WORD_1 src1_sel:DWORD
	v_mul_u32_u24_sdwa v82, v58, v24 dst_sel:DWORD dst_unused:UNUSED_PAD src0_sel:WORD_0 src1_sel:DWORD
	v_mul_u32_u24_sdwa v58, v58, v24 dst_sel:DWORD dst_unused:UNUSED_PAD src0_sel:WORD_1 src1_sel:DWORD
	v_pk_fma_f16 v71, v53, v69, v71
	v_pk_fma_f16 v64, v53, v55, v64
	v_pk_fma_f16 v62, v53, v70, v62
	v_pk_fma_f16 v60, v53, v56, v60
	v_pk_fma_f16 v72, v53, v81, v72
	v_pk_fma_f16 v73, v53, v57, v73
	v_pk_fma_f16 v74, v53, v82, v74
	v_pk_fma_f16 v83, v53, v58, v51
	v_pk_fma_f16 v67, v54, v69, v67
	v_pk_fma_f16 v68, v54, v55, v68
	v_pk_fma_f16 v59, v54, v70, v59
	v_pk_fma_f16 v65, v54, v56, v65
	v_pk_fma_f16 v66, v54, v81, v66
	v_pk_fma_f16 v61, v54, v57, v61
	v_pk_fma_f16 v63, v54, v82, v63
	v_pk_fma_f16 v69, v54, v58, v52
	ds_read2_b64 v[51:54], v21 offset0:128 offset1:160
	;; [unrolled: 53-line block ×3, first 2 shown]
	ds_read_b128 v[55:58], v19 offset:26080
	s_waitcnt lgkmcnt(0)
	v_mul_u32_u24_sdwa v70, v55, v24 dst_sel:DWORD dst_unused:UNUSED_PAD src0_sel:WORD_0 src1_sel:DWORD
	v_mul_u32_u24_sdwa v55, v55, v24 dst_sel:DWORD dst_unused:UNUSED_PAD src0_sel:WORD_1 src1_sel:DWORD
	v_mul_u32_u24_sdwa v81, v56, v24 dst_sel:DWORD dst_unused:UNUSED_PAD src0_sel:WORD_0 src1_sel:DWORD
	v_mul_u32_u24_sdwa v56, v56, v24 dst_sel:DWORD dst_unused:UNUSED_PAD src0_sel:WORD_1 src1_sel:DWORD
	;; [unrolled: 2-line block ×4, first 2 shown]
	v_pk_fma_f16 v71, v51, v70, v71
	v_pk_fma_f16 v64, v51, v55, v64
	;; [unrolled: 1-line block ×16, first 2 shown]
	ds_read_b128 v[55:58], v19 offset:26096
	s_waitcnt lgkmcnt(0)
	s_barrier
	buffer_gl0_inv
	buffer_store_dword v50, off, s[0:3], 0
	buffer_store_dword v50, off, s[0:3], 0 offset:4
	buffer_store_dword v50, off, s[0:3], 0 offset:8
	;; [unrolled: 1-line block ×3, first 2 shown]
	v_mul_u32_u24_sdwa v69, v55, v24 dst_sel:DWORD dst_unused:UNUSED_PAD src0_sel:WORD_0 src1_sel:DWORD
	v_mul_u32_u24_sdwa v55, v55, v24 dst_sel:DWORD dst_unused:UNUSED_PAD src0_sel:WORD_1 src1_sel:DWORD
	v_mul_u32_u24_sdwa v70, v56, v24 dst_sel:DWORD dst_unused:UNUSED_PAD src0_sel:WORD_0 src1_sel:DWORD
	v_mul_u32_u24_sdwa v56, v56, v24 dst_sel:DWORD dst_unused:UNUSED_PAD src0_sel:WORD_1 src1_sel:DWORD
	;; [unrolled: 2-line block ×4, first 2 shown]
	v_pk_fma_f16 v71, v53, v69, v71
	v_pk_fma_f16 v64, v53, v55, v64
	v_pk_fma_f16 v62, v53, v70, v62
	v_pk_fma_f16 v83, v53, v56, v60
	v_pk_fma_f16 v72, v53, v81, v72
	v_pk_fma_f16 v73, v53, v57, v73
	v_pk_fma_f16 v74, v53, v82, v74
	v_pk_fma_f16 v84, v53, v58, v51
	v_pk_fma_f16 v67, v54, v69, v67
	v_pk_fma_f16 v68, v54, v55, v68
	v_pk_fma_f16 v69, v54, v70, v59
	v_pk_fma_f16 v65, v54, v56, v65
	v_pk_fma_f16 v66, v54, v81, v66
	v_pk_fma_f16 v61, v54, v57, v61
	v_pk_fma_f16 v63, v54, v82, v63
	v_pk_fma_f16 v70, v54, v58, v52
	flat_load_dwordx4 v[51:54], v[3:4]
	s_waitcnt vmcnt(0) lgkmcnt(0)
	ds_write_b128 v47, v[51:54] offset:16384
	buffer_store_dword v50, off, s[0:3], 0
	buffer_store_dword v50, off, s[0:3], 0 offset:4
	buffer_store_dword v50, off, s[0:3], 0 offset:8
	;; [unrolled: 1-line block ×3, first 2 shown]
	flat_load_dwordx4 v[1:4], v[1:2]
	s_waitcnt vmcnt(0) lgkmcnt(0)
	ds_write_b128 v45, v[1:4] offset:16384
	s_waitcnt lgkmcnt(0)
	s_waitcnt_vscnt null, 0x0
	s_barrier
	buffer_gl0_inv
	ds_read2_b64 v[1:4], v44 offset1:32
	ds_read_b128 v[45:48], v19 offset:26112
	ds_read_b128 v[49:52], v19 offset:26128
	;; [unrolled: 1-line block ×4, first 2 shown]
	s_waitcnt lgkmcnt(3)
	v_mul_u32_u24_sdwa v81, v45, v24 dst_sel:DWORD dst_unused:UNUSED_PAD src0_sel:WORD_0 src1_sel:DWORD
	v_mul_u32_u24_sdwa v45, v45, v24 dst_sel:DWORD dst_unused:UNUSED_PAD src0_sel:WORD_1 src1_sel:DWORD
	v_mul_u32_u24_sdwa v82, v46, v24 dst_sel:DWORD dst_unused:UNUSED_PAD src0_sel:WORD_0 src1_sel:DWORD
	v_mul_u32_u24_sdwa v46, v46, v24 dst_sel:DWORD dst_unused:UNUSED_PAD src0_sel:WORD_1 src1_sel:DWORD
	;; [unrolled: 2-line block ×4, first 2 shown]
	v_pk_fma_f16 v71, v1, v81, v71
	v_pk_fma_f16 v64, v1, v45, v64
	;; [unrolled: 1-line block ×16, first 2 shown]
	s_waitcnt lgkmcnt(2)
	v_mul_u32_u24_sdwa v48, v49, v24 dst_sel:DWORD dst_unused:UNUSED_PAD src0_sel:WORD_0 src1_sel:DWORD
	v_mul_u32_u24_sdwa v49, v49, v24 dst_sel:DWORD dst_unused:UNUSED_PAD src0_sel:WORD_1 src1_sel:DWORD
	v_mul_u32_u24_sdwa v63, v50, v24 dst_sel:DWORD dst_unused:UNUSED_PAD src0_sel:WORD_0 src1_sel:DWORD
	v_mul_u32_u24_sdwa v50, v50, v24 dst_sel:DWORD dst_unused:UNUSED_PAD src0_sel:WORD_1 src1_sel:DWORD
	v_mul_u32_u24_sdwa v66, v51, v24 dst_sel:DWORD dst_unused:UNUSED_PAD src0_sel:WORD_0 src1_sel:DWORD
	v_mul_u32_u24_sdwa v51, v51, v24 dst_sel:DWORD dst_unused:UNUSED_PAD src0_sel:WORD_1 src1_sel:DWORD
	v_mul_u32_u24_sdwa v69, v52, v24 dst_sel:DWORD dst_unused:UNUSED_PAD src0_sel:WORD_0 src1_sel:DWORD
	v_mul_u32_u24_sdwa v52, v52, v24 dst_sel:DWORD dst_unused:UNUSED_PAD src0_sel:WORD_1 src1_sel:DWORD
	v_pk_fma_f16 v70, v3, v48, v71
	v_pk_fma_f16 v64, v3, v49, v64
	;; [unrolled: 1-line block ×16, first 2 shown]
	ds_read2_b64 v[1:4], v44 offset0:64 offset1:96
	s_waitcnt lgkmcnt(2)
	v_mul_u32_u24_sdwa v61, v53, v24 dst_sel:DWORD dst_unused:UNUSED_PAD src0_sel:WORD_0 src1_sel:DWORD
	v_mul_u32_u24_sdwa v53, v53, v24 dst_sel:DWORD dst_unused:UNUSED_PAD src0_sel:WORD_1 src1_sel:DWORD
	v_mul_u32_u24_sdwa v63, v54, v24 dst_sel:DWORD dst_unused:UNUSED_PAD src0_sel:WORD_0 src1_sel:DWORD
	v_mul_u32_u24_sdwa v54, v54, v24 dst_sel:DWORD dst_unused:UNUSED_PAD src0_sel:WORD_1 src1_sel:DWORD
	;; [unrolled: 2-line block ×4, first 2 shown]
	s_waitcnt lgkmcnt(0)
	v_pk_fma_f16 v67, v1, v61, v70
	v_pk_fma_f16 v64, v1, v53, v64
	v_pk_fma_f16 v62, v1, v63, v62
	v_pk_fma_f16 v68, v1, v54, v71
	v_pk_fma_f16 v69, v1, v65, v72
	v_pk_fma_f16 v70, v1, v55, v73
	v_pk_fma_f16 v71, v1, v66, v74
	v_pk_fma_f16 v1, v1, v56, v81
	v_pk_fma_f16 v48, v2, v61, v48
	v_pk_fma_f16 v45, v2, v53, v45
	v_pk_fma_f16 v49, v2, v63, v49
	v_pk_fma_f16 v46, v2, v54, v46
	v_pk_fma_f16 v50, v2, v65, v50
	v_pk_fma_f16 v47, v2, v55, v47
	v_pk_fma_f16 v51, v2, v66, v51
	v_pk_fma_f16 v2, v2, v56, v52
	v_mul_u32_u24_sdwa v52, v57, v24 dst_sel:DWORD dst_unused:UNUSED_PAD src0_sel:WORD_0 src1_sel:DWORD
	v_mul_u32_u24_sdwa v53, v57, v24 dst_sel:DWORD dst_unused:UNUSED_PAD src0_sel:WORD_1 src1_sel:DWORD
	v_mul_u32_u24_sdwa v54, v58, v24 dst_sel:DWORD dst_unused:UNUSED_PAD src0_sel:WORD_0 src1_sel:DWORD
	v_mul_u32_u24_sdwa v55, v58, v24 dst_sel:DWORD dst_unused:UNUSED_PAD src0_sel:WORD_1 src1_sel:DWORD
	;; [unrolled: 2-line block ×4, first 2 shown]
	v_pk_fma_f16 v60, v3, v52, v67
	v_pk_fma_f16 v61, v3, v53, v64
	v_pk_fma_f16 v62, v3, v54, v62
	v_pk_fma_f16 v63, v3, v55, v68
	v_pk_fma_f16 v64, v3, v56, v69
	v_pk_fma_f16 v65, v3, v57, v70
	v_pk_fma_f16 v66, v3, v58, v71
	v_pk_fma_f16 v67, v3, v59, v1
	v_pk_fma_f16 v52, v4, v52, v48
	v_pk_fma_f16 v53, v4, v53, v45
	v_pk_fma_f16 v49, v4, v54, v49
	v_pk_fma_f16 v54, v4, v55, v46
	v_pk_fma_f16 v50, v4, v56, v50
	v_pk_fma_f16 v55, v4, v57, v47
	v_pk_fma_f16 v51, v4, v58, v51
	v_pk_fma_f16 v56, v4, v59, v2
	ds_read2_b64 v[1:4], v44 offset0:128 offset1:160
	ds_read_b128 v[45:48], v19 offset:26176
	v_mov_b32_e32 v69, v5
	v_mov_b32_e32 v70, v43
	;; [unrolled: 1-line block ×4, first 2 shown]
	s_waitcnt lgkmcnt(0)
	v_mul_u32_u24_sdwa v57, v45, v24 dst_sel:DWORD dst_unused:UNUSED_PAD src0_sel:WORD_0 src1_sel:DWORD
	v_mul_u32_u24_sdwa v45, v45, v24 dst_sel:DWORD dst_unused:UNUSED_PAD src0_sel:WORD_1 src1_sel:DWORD
	v_mul_u32_u24_sdwa v58, v46, v24 dst_sel:DWORD dst_unused:UNUSED_PAD src0_sel:WORD_0 src1_sel:DWORD
	v_mul_u32_u24_sdwa v46, v46, v24 dst_sel:DWORD dst_unused:UNUSED_PAD src0_sel:WORD_1 src1_sel:DWORD
	;; [unrolled: 2-line block ×4, first 2 shown]
	v_pk_fma_f16 v60, v1, v57, v60
	v_pk_fma_f16 v61, v1, v45, v61
	;; [unrolled: 1-line block ×16, first 2 shown]
	ds_read_b128 v[45:48], v19 offset:26192
	s_waitcnt lgkmcnt(0)
	v_mul_u32_u24_sdwa v56, v45, v24 dst_sel:DWORD dst_unused:UNUSED_PAD src0_sel:WORD_0 src1_sel:DWORD
	v_mul_u32_u24_sdwa v45, v45, v24 dst_sel:DWORD dst_unused:UNUSED_PAD src0_sel:WORD_1 src1_sel:DWORD
	v_mul_u32_u24_sdwa v57, v46, v24 dst_sel:DWORD dst_unused:UNUSED_PAD src0_sel:WORD_0 src1_sel:DWORD
	v_mul_u32_u24_sdwa v46, v46, v24 dst_sel:DWORD dst_unused:UNUSED_PAD src0_sel:WORD_1 src1_sel:DWORD
	;; [unrolled: 2-line block ×4, first 2 shown]
	v_pk_fma_f16 v60, v3, v56, v60
	v_pk_fma_f16 v61, v3, v45, v61
	;; [unrolled: 1-line block ×16, first 2 shown]
	ds_read2_b64 v[1:4], v44 offset0:192 offset1:224
	ds_read_b128 v[44:47], v19 offset:26208
	s_waitcnt lgkmcnt(0)
	v_mul_u32_u24_sdwa v56, v44, v24 dst_sel:DWORD dst_unused:UNUSED_PAD src0_sel:WORD_0 src1_sel:DWORD
	v_mul_u32_u24_sdwa v44, v44, v24 dst_sel:DWORD dst_unused:UNUSED_PAD src0_sel:WORD_1 src1_sel:DWORD
	v_mul_u32_u24_sdwa v57, v45, v24 dst_sel:DWORD dst_unused:UNUSED_PAD src0_sel:WORD_0 src1_sel:DWORD
	v_mul_u32_u24_sdwa v45, v45, v24 dst_sel:DWORD dst_unused:UNUSED_PAD src0_sel:WORD_1 src1_sel:DWORD
	;; [unrolled: 2-line block ×4, first 2 shown]
	v_pk_fma_f16 v60, v1, v56, v60
	v_pk_fma_f16 v61, v1, v44, v61
	;; [unrolled: 1-line block ×16, first 2 shown]
	ds_read_b128 v[44:47], v19 offset:26224
	s_waitcnt lgkmcnt(0)
	v_mul_u32_u24_sdwa v48, v44, v24 dst_sel:DWORD dst_unused:UNUSED_PAD src0_sel:WORD_0 src1_sel:DWORD
	v_mul_u32_u24_sdwa v44, v44, v24 dst_sel:DWORD dst_unused:UNUSED_PAD src0_sel:WORD_1 src1_sel:DWORD
	v_mul_u32_u24_sdwa v56, v45, v24 dst_sel:DWORD dst_unused:UNUSED_PAD src0_sel:WORD_0 src1_sel:DWORD
	v_mul_u32_u24_sdwa v45, v45, v24 dst_sel:DWORD dst_unused:UNUSED_PAD src0_sel:WORD_1 src1_sel:DWORD
	;; [unrolled: 2-line block ×4, first 2 shown]
	v_pk_fma_f16 v59, v3, v48, v60
	v_pk_fma_f16 v60, v3, v44, v61
	;; [unrolled: 1-line block ×16, first 2 shown]
	ds_read2_b64 v[1:4], v22 offset1:32
	ds_read_b128 v[44:47], v19 offset:26240
	s_waitcnt lgkmcnt(0)
	v_mul_u32_u24_sdwa v56, v44, v24 dst_sel:DWORD dst_unused:UNUSED_PAD src0_sel:WORD_0 src1_sel:DWORD
	v_mul_u32_u24_sdwa v44, v44, v24 dst_sel:DWORD dst_unused:UNUSED_PAD src0_sel:WORD_1 src1_sel:DWORD
	v_mul_u32_u24_sdwa v57, v45, v24 dst_sel:DWORD dst_unused:UNUSED_PAD src0_sel:WORD_0 src1_sel:DWORD
	v_mul_u32_u24_sdwa v45, v45, v24 dst_sel:DWORD dst_unused:UNUSED_PAD src0_sel:WORD_1 src1_sel:DWORD
	v_mul_u32_u24_sdwa v58, v46, v24 dst_sel:DWORD dst_unused:UNUSED_PAD src0_sel:WORD_0 src1_sel:DWORD
	v_mul_u32_u24_sdwa v46, v46, v24 dst_sel:DWORD dst_unused:UNUSED_PAD src0_sel:WORD_1 src1_sel:DWORD
	v_mul_u32_u24_sdwa v67, v47, v24 dst_sel:DWORD dst_unused:UNUSED_PAD src0_sel:WORD_0 src1_sel:DWORD
	v_mul_u32_u24_sdwa v47, v47, v24 dst_sel:DWORD dst_unused:UNUSED_PAD src0_sel:WORD_1 src1_sel:DWORD
	v_pk_fma_f16 v59, v1, v56, v59
	v_pk_fma_f16 v60, v1, v44, v60
	v_pk_fma_f16 v61, v1, v57, v61
	v_pk_fma_f16 v62, v1, v45, v62
	v_pk_fma_f16 v63, v1, v58, v63
	v_pk_fma_f16 v64, v1, v46, v64
	v_pk_fma_f16 v65, v1, v67, v65
	v_pk_fma_f16 v1, v1, v47, v66
	v_pk_fma_f16 v48, v2, v56, v48
	v_pk_fma_f16 v52, v2, v44, v52
	v_pk_fma_f16 v49, v2, v57, v49
	v_pk_fma_f16 v53, v2, v45, v53
	v_pk_fma_f16 v50, v2, v58, v50
	v_pk_fma_f16 v54, v2, v46, v54
	v_pk_fma_f16 v51, v2, v67, v51
	v_pk_fma_f16 v2, v2, v47, v55
	ds_read_b128 v[44:47], v19 offset:26256
	s_waitcnt lgkmcnt(0)
	v_mul_u32_u24_sdwa v55, v44, v24 dst_sel:DWORD dst_unused:UNUSED_PAD src0_sel:WORD_0 src1_sel:DWORD
	v_mul_u32_u24_sdwa v44, v44, v24 dst_sel:DWORD dst_unused:UNUSED_PAD src0_sel:WORD_1 src1_sel:DWORD
	v_mul_u32_u24_sdwa v56, v45, v24 dst_sel:DWORD dst_unused:UNUSED_PAD src0_sel:WORD_0 src1_sel:DWORD
	v_mul_u32_u24_sdwa v45, v45, v24 dst_sel:DWORD dst_unused:UNUSED_PAD src0_sel:WORD_1 src1_sel:DWORD
	v_mul_u32_u24_sdwa v57, v46, v24 dst_sel:DWORD dst_unused:UNUSED_PAD src0_sel:WORD_0 src1_sel:DWORD
	v_mul_u32_u24_sdwa v46, v46, v24 dst_sel:DWORD dst_unused:UNUSED_PAD src0_sel:WORD_1 src1_sel:DWORD
	v_mul_u32_u24_sdwa v58, v47, v24 dst_sel:DWORD dst_unused:UNUSED_PAD src0_sel:WORD_0 src1_sel:DWORD
	v_mul_u32_u24_sdwa v47, v47, v24 dst_sel:DWORD dst_unused:UNUSED_PAD src0_sel:WORD_1 src1_sel:DWORD
	v_pk_fma_f16 v59, v3, v55, v59
	v_pk_fma_f16 v60, v3, v44, v60
	v_pk_fma_f16 v61, v3, v56, v61
	v_pk_fma_f16 v62, v3, v45, v62
	v_pk_fma_f16 v63, v3, v57, v63
	v_pk_fma_f16 v64, v3, v46, v64
	v_pk_fma_f16 v65, v3, v58, v65
	v_pk_fma_f16 v66, v3, v47, v1
	v_pk_fma_f16 v48, v4, v55, v48
	v_pk_fma_f16 v52, v4, v44, v52
	v_pk_fma_f16 v49, v4, v56, v49
	v_pk_fma_f16 v53, v4, v45, v53
	v_pk_fma_f16 v50, v4, v57, v50
	v_pk_fma_f16 v54, v4, v46, v54
	v_pk_fma_f16 v51, v4, v58, v51
	v_pk_fma_f16 v55, v4, v47, v2
	ds_read2_b64 v[1:4], v22 offset0:64 offset1:96
	ds_read_b128 v[44:47], v19 offset:26272
	s_waitcnt lgkmcnt(0)
	v_mul_u32_u24_sdwa v56, v44, v24 dst_sel:DWORD dst_unused:UNUSED_PAD src0_sel:WORD_0 src1_sel:DWORD
	v_mul_u32_u24_sdwa v44, v44, v24 dst_sel:DWORD dst_unused:UNUSED_PAD src0_sel:WORD_1 src1_sel:DWORD
	v_mul_u32_u24_sdwa v57, v45, v24 dst_sel:DWORD dst_unused:UNUSED_PAD src0_sel:WORD_0 src1_sel:DWORD
	v_mul_u32_u24_sdwa v45, v45, v24 dst_sel:DWORD dst_unused:UNUSED_PAD src0_sel:WORD_1 src1_sel:DWORD
	v_mul_u32_u24_sdwa v58, v46, v24 dst_sel:DWORD dst_unused:UNUSED_PAD src0_sel:WORD_0 src1_sel:DWORD
	v_mul_u32_u24_sdwa v46, v46, v24 dst_sel:DWORD dst_unused:UNUSED_PAD src0_sel:WORD_1 src1_sel:DWORD
	v_mul_u32_u24_sdwa v67, v47, v24 dst_sel:DWORD dst_unused:UNUSED_PAD src0_sel:WORD_0 src1_sel:DWORD
	v_mul_u32_u24_sdwa v47, v47, v24 dst_sel:DWORD dst_unused:UNUSED_PAD src0_sel:WORD_1 src1_sel:DWORD
	v_pk_fma_f16 v59, v1, v56, v59
	v_pk_fma_f16 v60, v1, v44, v60
	v_pk_fma_f16 v61, v1, v57, v61
	v_pk_fma_f16 v62, v1, v45, v62
	v_pk_fma_f16 v63, v1, v58, v63
	v_pk_fma_f16 v64, v1, v46, v64
	v_pk_fma_f16 v65, v1, v67, v65
	v_pk_fma_f16 v1, v1, v47, v66
	v_pk_fma_f16 v48, v2, v56, v48
	v_pk_fma_f16 v52, v2, v44, v52
	v_pk_fma_f16 v49, v2, v57, v49
	v_pk_fma_f16 v53, v2, v45, v53
	v_pk_fma_f16 v50, v2, v58, v50
	v_pk_fma_f16 v54, v2, v46, v54
	v_pk_fma_f16 v51, v2, v67, v51
	v_pk_fma_f16 v2, v2, v47, v55
	ds_read_b128 v[44:47], v19 offset:26288
	s_waitcnt lgkmcnt(0)
	v_mul_u32_u24_sdwa v55, v44, v24 dst_sel:DWORD dst_unused:UNUSED_PAD src0_sel:WORD_0 src1_sel:DWORD
	v_mul_u32_u24_sdwa v44, v44, v24 dst_sel:DWORD dst_unused:UNUSED_PAD src0_sel:WORD_1 src1_sel:DWORD
	v_mul_u32_u24_sdwa v56, v45, v24 dst_sel:DWORD dst_unused:UNUSED_PAD src0_sel:WORD_0 src1_sel:DWORD
	v_mul_u32_u24_sdwa v45, v45, v24 dst_sel:DWORD dst_unused:UNUSED_PAD src0_sel:WORD_1 src1_sel:DWORD
	v_mul_u32_u24_sdwa v57, v46, v24 dst_sel:DWORD dst_unused:UNUSED_PAD src0_sel:WORD_0 src1_sel:DWORD
	v_mul_u32_u24_sdwa v46, v46, v24 dst_sel:DWORD dst_unused:UNUSED_PAD src0_sel:WORD_1 src1_sel:DWORD
	v_mul_u32_u24_sdwa v58, v47, v24 dst_sel:DWORD dst_unused:UNUSED_PAD src0_sel:WORD_0 src1_sel:DWORD
	v_mul_u32_u24_sdwa v47, v47, v24 dst_sel:DWORD dst_unused:UNUSED_PAD src0_sel:WORD_1 src1_sel:DWORD
	v_pk_fma_f16 v59, v3, v55, v59
	v_pk_fma_f16 v60, v3, v44, v60
	v_pk_fma_f16 v61, v3, v56, v61
	v_pk_fma_f16 v62, v3, v45, v62
	v_pk_fma_f16 v63, v3, v57, v63
	v_pk_fma_f16 v64, v3, v46, v64
	v_pk_fma_f16 v65, v3, v58, v65
	v_pk_fma_f16 v66, v3, v47, v1
	v_pk_fma_f16 v48, v4, v55, v48
	v_pk_fma_f16 v52, v4, v44, v52
	v_pk_fma_f16 v49, v4, v56, v49
	v_pk_fma_f16 v53, v4, v45, v53
	v_pk_fma_f16 v50, v4, v57, v50
	v_pk_fma_f16 v54, v4, v46, v54
	v_pk_fma_f16 v51, v4, v58, v51
	v_pk_fma_f16 v55, v4, v47, v2
	ds_read2_b64 v[1:4], v22 offset0:128 offset1:160
	;; [unrolled: 53-line block ×3, first 2 shown]
	ds_read_b128 v[44:47], v19 offset:26336
	s_waitcnt lgkmcnt(0)
	v_mul_u32_u24_sdwa v22, v44, v24 dst_sel:DWORD dst_unused:UNUSED_PAD src0_sel:WORD_0 src1_sel:DWORD
	v_mul_u32_u24_sdwa v44, v44, v24 dst_sel:DWORD dst_unused:UNUSED_PAD src0_sel:WORD_1 src1_sel:DWORD
	v_mul_u32_u24_sdwa v56, v45, v24 dst_sel:DWORD dst_unused:UNUSED_PAD src0_sel:WORD_0 src1_sel:DWORD
	v_mul_u32_u24_sdwa v45, v45, v24 dst_sel:DWORD dst_unused:UNUSED_PAD src0_sel:WORD_1 src1_sel:DWORD
	;; [unrolled: 2-line block ×4, first 2 shown]
	v_pk_fma_f16 v59, v1, v22, v59
	v_pk_fma_f16 v60, v1, v44, v60
	;; [unrolled: 1-line block ×16, first 2 shown]
	ds_read_b128 v[44:47], v19 offset:26352
	s_waitcnt lgkmcnt(0)
	v_mul_u32_u24_sdwa v54, v44, v24 dst_sel:DWORD dst_unused:UNUSED_PAD src0_sel:WORD_0 src1_sel:DWORD
	v_mul_u32_u24_sdwa v44, v44, v24 dst_sel:DWORD dst_unused:UNUSED_PAD src0_sel:WORD_1 src1_sel:DWORD
	v_mul_u32_u24_sdwa v55, v45, v24 dst_sel:DWORD dst_unused:UNUSED_PAD src0_sel:WORD_0 src1_sel:DWORD
	v_mul_u32_u24_sdwa v45, v45, v24 dst_sel:DWORD dst_unused:UNUSED_PAD src0_sel:WORD_1 src1_sel:DWORD
	;; [unrolled: 2-line block ×4, first 2 shown]
	v_pk_fma_f16 v58, v3, v54, v59
	v_pk_fma_f16 v59, v3, v44, v60
	;; [unrolled: 1-line block ×16, first 2 shown]
	ds_read2_b64 v[1:4], v23 offset1:32
	ds_read_b128 v[44:47], v19 offset:26368
	s_waitcnt lgkmcnt(0)
	v_mul_u32_u24_sdwa v55, v44, v24 dst_sel:DWORD dst_unused:UNUSED_PAD src0_sel:WORD_0 src1_sel:DWORD
	v_mul_u32_u24_sdwa v44, v44, v24 dst_sel:DWORD dst_unused:UNUSED_PAD src0_sel:WORD_1 src1_sel:DWORD
	v_mul_u32_u24_sdwa v56, v45, v24 dst_sel:DWORD dst_unused:UNUSED_PAD src0_sel:WORD_0 src1_sel:DWORD
	v_mul_u32_u24_sdwa v45, v45, v24 dst_sel:DWORD dst_unused:UNUSED_PAD src0_sel:WORD_1 src1_sel:DWORD
	v_mul_u32_u24_sdwa v57, v46, v24 dst_sel:DWORD dst_unused:UNUSED_PAD src0_sel:WORD_0 src1_sel:DWORD
	v_mul_u32_u24_sdwa v46, v46, v24 dst_sel:DWORD dst_unused:UNUSED_PAD src0_sel:WORD_1 src1_sel:DWORD
	v_mul_u32_u24_sdwa v66, v47, v24 dst_sel:DWORD dst_unused:UNUSED_PAD src0_sel:WORD_0 src1_sel:DWORD
	v_mul_u32_u24_sdwa v47, v47, v24 dst_sel:DWORD dst_unused:UNUSED_PAD src0_sel:WORD_1 src1_sel:DWORD
	v_pk_fma_f16 v58, v1, v55, v58
	v_pk_fma_f16 v59, v1, v44, v59
	v_pk_fma_f16 v60, v1, v56, v60
	v_pk_fma_f16 v61, v1, v45, v61
	v_pk_fma_f16 v62, v1, v57, v62
	v_pk_fma_f16 v63, v1, v46, v63
	v_pk_fma_f16 v64, v1, v66, v64
	v_pk_fma_f16 v1, v1, v47, v65
	v_pk_fma_f16 v22, v2, v55, v22
	v_pk_fma_f16 v48, v2, v44, v48
	v_pk_fma_f16 v49, v2, v56, v49
	v_pk_fma_f16 v52, v2, v45, v52
	v_pk_fma_f16 v50, v2, v57, v50
	v_pk_fma_f16 v53, v2, v46, v53
	v_pk_fma_f16 v51, v2, v66, v51
	v_pk_fma_f16 v2, v2, v47, v54
	ds_read_b128 v[44:47], v19 offset:26384
	s_waitcnt lgkmcnt(0)
	v_mul_u32_u24_sdwa v54, v44, v24 dst_sel:DWORD dst_unused:UNUSED_PAD src0_sel:WORD_0 src1_sel:DWORD
	v_mul_u32_u24_sdwa v44, v44, v24 dst_sel:DWORD dst_unused:UNUSED_PAD src0_sel:WORD_1 src1_sel:DWORD
	v_mul_u32_u24_sdwa v55, v45, v24 dst_sel:DWORD dst_unused:UNUSED_PAD src0_sel:WORD_0 src1_sel:DWORD
	v_mul_u32_u24_sdwa v45, v45, v24 dst_sel:DWORD dst_unused:UNUSED_PAD src0_sel:WORD_1 src1_sel:DWORD
	v_mul_u32_u24_sdwa v56, v46, v24 dst_sel:DWORD dst_unused:UNUSED_PAD src0_sel:WORD_0 src1_sel:DWORD
	v_mul_u32_u24_sdwa v46, v46, v24 dst_sel:DWORD dst_unused:UNUSED_PAD src0_sel:WORD_1 src1_sel:DWORD
	v_mul_u32_u24_sdwa v57, v47, v24 dst_sel:DWORD dst_unused:UNUSED_PAD src0_sel:WORD_0 src1_sel:DWORD
	v_mul_u32_u24_sdwa v47, v47, v24 dst_sel:DWORD dst_unused:UNUSED_PAD src0_sel:WORD_1 src1_sel:DWORD
	v_pk_fma_f16 v58, v3, v54, v58
	v_pk_fma_f16 v59, v3, v44, v59
	v_pk_fma_f16 v60, v3, v55, v60
	v_pk_fma_f16 v61, v3, v45, v61
	v_pk_fma_f16 v62, v3, v56, v62
	v_pk_fma_f16 v63, v3, v46, v63
	v_pk_fma_f16 v64, v3, v57, v64
	v_pk_fma_f16 v65, v3, v47, v1
	v_pk_fma_f16 v22, v4, v54, v22
	v_pk_fma_f16 v48, v4, v44, v48
	v_pk_fma_f16 v49, v4, v55, v49
	v_pk_fma_f16 v52, v4, v45, v52
	v_pk_fma_f16 v50, v4, v56, v50
	v_pk_fma_f16 v53, v4, v46, v53
	v_pk_fma_f16 v51, v4, v57, v51
	v_pk_fma_f16 v54, v4, v47, v2
	ds_read2_b64 v[1:4], v23 offset0:64 offset1:96
	ds_read_b128 v[44:47], v19 offset:26400
	s_waitcnt lgkmcnt(0)
	v_mul_u32_u24_sdwa v55, v44, v24 dst_sel:DWORD dst_unused:UNUSED_PAD src0_sel:WORD_0 src1_sel:DWORD
	v_mul_u32_u24_sdwa v44, v44, v24 dst_sel:DWORD dst_unused:UNUSED_PAD src0_sel:WORD_1 src1_sel:DWORD
	v_mul_u32_u24_sdwa v56, v45, v24 dst_sel:DWORD dst_unused:UNUSED_PAD src0_sel:WORD_0 src1_sel:DWORD
	v_mul_u32_u24_sdwa v45, v45, v24 dst_sel:DWORD dst_unused:UNUSED_PAD src0_sel:WORD_1 src1_sel:DWORD
	v_mul_u32_u24_sdwa v57, v46, v24 dst_sel:DWORD dst_unused:UNUSED_PAD src0_sel:WORD_0 src1_sel:DWORD
	v_mul_u32_u24_sdwa v46, v46, v24 dst_sel:DWORD dst_unused:UNUSED_PAD src0_sel:WORD_1 src1_sel:DWORD
	v_mul_u32_u24_sdwa v66, v47, v24 dst_sel:DWORD dst_unused:UNUSED_PAD src0_sel:WORD_0 src1_sel:DWORD
	v_mul_u32_u24_sdwa v47, v47, v24 dst_sel:DWORD dst_unused:UNUSED_PAD src0_sel:WORD_1 src1_sel:DWORD
	v_pk_fma_f16 v58, v1, v55, v58
	v_pk_fma_f16 v59, v1, v44, v59
	v_pk_fma_f16 v60, v1, v56, v60
	v_pk_fma_f16 v61, v1, v45, v61
	v_pk_fma_f16 v62, v1, v57, v62
	v_pk_fma_f16 v63, v1, v46, v63
	v_pk_fma_f16 v64, v1, v66, v64
	v_pk_fma_f16 v1, v1, v47, v65
	v_pk_fma_f16 v22, v2, v55, v22
	v_pk_fma_f16 v48, v2, v44, v48
	v_pk_fma_f16 v49, v2, v56, v49
	v_pk_fma_f16 v52, v2, v45, v52
	v_pk_fma_f16 v50, v2, v57, v50
	v_pk_fma_f16 v53, v2, v46, v53
	v_pk_fma_f16 v51, v2, v66, v51
	v_pk_fma_f16 v2, v2, v47, v54
	ds_read_b128 v[44:47], v19 offset:26416
	s_waitcnt lgkmcnt(0)
	v_mul_u32_u24_sdwa v54, v44, v24 dst_sel:DWORD dst_unused:UNUSED_PAD src0_sel:WORD_0 src1_sel:DWORD
	v_mul_u32_u24_sdwa v44, v44, v24 dst_sel:DWORD dst_unused:UNUSED_PAD src0_sel:WORD_1 src1_sel:DWORD
	v_mul_u32_u24_sdwa v55, v45, v24 dst_sel:DWORD dst_unused:UNUSED_PAD src0_sel:WORD_0 src1_sel:DWORD
	v_mul_u32_u24_sdwa v45, v45, v24 dst_sel:DWORD dst_unused:UNUSED_PAD src0_sel:WORD_1 src1_sel:DWORD
	v_mul_u32_u24_sdwa v56, v46, v24 dst_sel:DWORD dst_unused:UNUSED_PAD src0_sel:WORD_0 src1_sel:DWORD
	v_mul_u32_u24_sdwa v46, v46, v24 dst_sel:DWORD dst_unused:UNUSED_PAD src0_sel:WORD_1 src1_sel:DWORD
	v_mul_u32_u24_sdwa v57, v47, v24 dst_sel:DWORD dst_unused:UNUSED_PAD src0_sel:WORD_0 src1_sel:DWORD
	v_mul_u32_u24_sdwa v47, v47, v24 dst_sel:DWORD dst_unused:UNUSED_PAD src0_sel:WORD_1 src1_sel:DWORD
	v_pk_fma_f16 v58, v3, v54, v58
	v_pk_fma_f16 v59, v3, v44, v59
	v_pk_fma_f16 v60, v3, v55, v60
	v_pk_fma_f16 v61, v3, v45, v61
	v_pk_fma_f16 v62, v3, v56, v62
	v_pk_fma_f16 v63, v3, v46, v63
	v_pk_fma_f16 v64, v3, v57, v64
	v_pk_fma_f16 v65, v3, v47, v1
	v_pk_fma_f16 v22, v4, v54, v22
	v_pk_fma_f16 v48, v4, v44, v48
	v_pk_fma_f16 v49, v4, v55, v49
	v_pk_fma_f16 v52, v4, v45, v52
	v_pk_fma_f16 v50, v4, v56, v50
	v_pk_fma_f16 v53, v4, v46, v53
	v_pk_fma_f16 v51, v4, v57, v51
	v_pk_fma_f16 v54, v4, v47, v2
	ds_read2_b64 v[1:4], v23 offset0:128 offset1:160
	;; [unrolled: 53-line block ×3, first 2 shown]
	ds_read_b128 v[44:47], v19 offset:26464
	s_waitcnt lgkmcnt(0)
	v_mul_u32_u24_sdwa v23, v44, v24 dst_sel:DWORD dst_unused:UNUSED_PAD src0_sel:WORD_0 src1_sel:DWORD
	v_mul_u32_u24_sdwa v44, v44, v24 dst_sel:DWORD dst_unused:UNUSED_PAD src0_sel:WORD_1 src1_sel:DWORD
	v_mul_u32_u24_sdwa v55, v45, v24 dst_sel:DWORD dst_unused:UNUSED_PAD src0_sel:WORD_0 src1_sel:DWORD
	v_mul_u32_u24_sdwa v45, v45, v24 dst_sel:DWORD dst_unused:UNUSED_PAD src0_sel:WORD_1 src1_sel:DWORD
	;; [unrolled: 2-line block ×4, first 2 shown]
	v_pk_fma_f16 v58, v1, v23, v58
	v_pk_fma_f16 v59, v1, v44, v59
	v_pk_fma_f16 v60, v1, v55, v60
	v_pk_fma_f16 v61, v1, v45, v61
	v_pk_fma_f16 v62, v1, v56, v62
	v_pk_fma_f16 v63, v1, v46, v63
	v_pk_fma_f16 v64, v1, v57, v64
	v_pk_fma_f16 v1, v1, v47, v65
	v_pk_fma_f16 v22, v2, v23, v22
	v_pk_fma_f16 v23, v2, v44, v48
	v_pk_fma_f16 v48, v2, v55, v49
	v_pk_fma_f16 v49, v2, v45, v52
	v_pk_fma_f16 v50, v2, v56, v50
	v_pk_fma_f16 v52, v2, v46, v53
	v_pk_fma_f16 v51, v2, v57, v51
	v_pk_fma_f16 v2, v2, v47, v54
	ds_read_b128 v[44:47], v19 offset:26480
	s_waitcnt lgkmcnt(0)
	v_mul_u32_u24_sdwa v53, v44, v24 dst_sel:DWORD dst_unused:UNUSED_PAD src0_sel:WORD_0 src1_sel:DWORD
	v_mul_u32_u24_sdwa v44, v44, v24 dst_sel:DWORD dst_unused:UNUSED_PAD src0_sel:WORD_1 src1_sel:DWORD
	v_mul_u32_u24_sdwa v54, v45, v24 dst_sel:DWORD dst_unused:UNUSED_PAD src0_sel:WORD_0 src1_sel:DWORD
	v_mul_u32_u24_sdwa v45, v45, v24 dst_sel:DWORD dst_unused:UNUSED_PAD src0_sel:WORD_1 src1_sel:DWORD
	;; [unrolled: 2-line block ×4, first 2 shown]
	v_pk_fma_f16 v57, v3, v53, v58
	v_pk_fma_f16 v58, v3, v44, v59
	;; [unrolled: 1-line block ×16, first 2 shown]
	ds_read2_b64 v[1:4], v21 offset1:32
	ds_read_b128 v[44:47], v19 offset:26496
	s_waitcnt lgkmcnt(0)
	v_mul_u32_u24_sdwa v54, v44, v24 dst_sel:DWORD dst_unused:UNUSED_PAD src0_sel:WORD_0 src1_sel:DWORD
	v_mul_u32_u24_sdwa v44, v44, v24 dst_sel:DWORD dst_unused:UNUSED_PAD src0_sel:WORD_1 src1_sel:DWORD
	v_mul_u32_u24_sdwa v55, v45, v24 dst_sel:DWORD dst_unused:UNUSED_PAD src0_sel:WORD_0 src1_sel:DWORD
	v_mul_u32_u24_sdwa v45, v45, v24 dst_sel:DWORD dst_unused:UNUSED_PAD src0_sel:WORD_1 src1_sel:DWORD
	v_mul_u32_u24_sdwa v56, v46, v24 dst_sel:DWORD dst_unused:UNUSED_PAD src0_sel:WORD_0 src1_sel:DWORD
	v_mul_u32_u24_sdwa v46, v46, v24 dst_sel:DWORD dst_unused:UNUSED_PAD src0_sel:WORD_1 src1_sel:DWORD
	v_mul_u32_u24_sdwa v65, v47, v24 dst_sel:DWORD dst_unused:UNUSED_PAD src0_sel:WORD_0 src1_sel:DWORD
	v_mul_u32_u24_sdwa v47, v47, v24 dst_sel:DWORD dst_unused:UNUSED_PAD src0_sel:WORD_1 src1_sel:DWORD
	v_pk_fma_f16 v57, v1, v54, v57
	v_pk_fma_f16 v58, v1, v44, v58
	v_pk_fma_f16 v59, v1, v55, v59
	v_pk_fma_f16 v60, v1, v45, v60
	v_pk_fma_f16 v61, v1, v56, v61
	v_pk_fma_f16 v62, v1, v46, v62
	v_pk_fma_f16 v63, v1, v65, v63
	v_pk_fma_f16 v1, v1, v47, v64
	v_pk_fma_f16 v22, v2, v54, v22
	v_pk_fma_f16 v23, v2, v44, v23
	v_pk_fma_f16 v48, v2, v55, v48
	v_pk_fma_f16 v49, v2, v45, v49
	v_pk_fma_f16 v50, v2, v56, v50
	v_pk_fma_f16 v52, v2, v46, v52
	v_pk_fma_f16 v51, v2, v65, v51
	v_pk_fma_f16 v2, v2, v47, v53
	ds_read_b128 v[44:47], v19 offset:26512
	s_waitcnt lgkmcnt(0)
	v_mul_u32_u24_sdwa v53, v44, v24 dst_sel:DWORD dst_unused:UNUSED_PAD src0_sel:WORD_0 src1_sel:DWORD
	v_mul_u32_u24_sdwa v44, v44, v24 dst_sel:DWORD dst_unused:UNUSED_PAD src0_sel:WORD_1 src1_sel:DWORD
	v_mul_u32_u24_sdwa v54, v45, v24 dst_sel:DWORD dst_unused:UNUSED_PAD src0_sel:WORD_0 src1_sel:DWORD
	v_mul_u32_u24_sdwa v45, v45, v24 dst_sel:DWORD dst_unused:UNUSED_PAD src0_sel:WORD_1 src1_sel:DWORD
	v_mul_u32_u24_sdwa v55, v46, v24 dst_sel:DWORD dst_unused:UNUSED_PAD src0_sel:WORD_0 src1_sel:DWORD
	v_mul_u32_u24_sdwa v46, v46, v24 dst_sel:DWORD dst_unused:UNUSED_PAD src0_sel:WORD_1 src1_sel:DWORD
	v_mul_u32_u24_sdwa v56, v47, v24 dst_sel:DWORD dst_unused:UNUSED_PAD src0_sel:WORD_0 src1_sel:DWORD
	v_mul_u32_u24_sdwa v47, v47, v24 dst_sel:DWORD dst_unused:UNUSED_PAD src0_sel:WORD_1 src1_sel:DWORD
	v_pk_fma_f16 v57, v3, v53, v57
	v_pk_fma_f16 v58, v3, v44, v58
	v_pk_fma_f16 v59, v3, v54, v59
	v_pk_fma_f16 v60, v3, v45, v60
	v_pk_fma_f16 v61, v3, v55, v61
	v_pk_fma_f16 v62, v3, v46, v62
	v_pk_fma_f16 v63, v3, v56, v63
	v_pk_fma_f16 v64, v3, v47, v1
	v_pk_fma_f16 v22, v4, v53, v22
	v_pk_fma_f16 v23, v4, v44, v23
	v_pk_fma_f16 v48, v4, v54, v48
	v_pk_fma_f16 v49, v4, v45, v49
	v_pk_fma_f16 v50, v4, v55, v50
	v_pk_fma_f16 v52, v4, v46, v52
	v_pk_fma_f16 v51, v4, v56, v51
	v_pk_fma_f16 v53, v4, v47, v2
	ds_read2_b64 v[1:4], v21 offset0:64 offset1:96
	ds_read_b128 v[44:47], v19 offset:26528
	s_waitcnt lgkmcnt(0)
	v_mul_u32_u24_sdwa v54, v44, v24 dst_sel:DWORD dst_unused:UNUSED_PAD src0_sel:WORD_0 src1_sel:DWORD
	v_mul_u32_u24_sdwa v44, v44, v24 dst_sel:DWORD dst_unused:UNUSED_PAD src0_sel:WORD_1 src1_sel:DWORD
	v_mul_u32_u24_sdwa v55, v45, v24 dst_sel:DWORD dst_unused:UNUSED_PAD src0_sel:WORD_0 src1_sel:DWORD
	v_mul_u32_u24_sdwa v45, v45, v24 dst_sel:DWORD dst_unused:UNUSED_PAD src0_sel:WORD_1 src1_sel:DWORD
	v_mul_u32_u24_sdwa v56, v46, v24 dst_sel:DWORD dst_unused:UNUSED_PAD src0_sel:WORD_0 src1_sel:DWORD
	v_mul_u32_u24_sdwa v46, v46, v24 dst_sel:DWORD dst_unused:UNUSED_PAD src0_sel:WORD_1 src1_sel:DWORD
	v_mul_u32_u24_sdwa v65, v47, v24 dst_sel:DWORD dst_unused:UNUSED_PAD src0_sel:WORD_0 src1_sel:DWORD
	v_mul_u32_u24_sdwa v47, v47, v24 dst_sel:DWORD dst_unused:UNUSED_PAD src0_sel:WORD_1 src1_sel:DWORD
	v_pk_fma_f16 v57, v1, v54, v57
	v_pk_fma_f16 v58, v1, v44, v58
	v_pk_fma_f16 v59, v1, v55, v59
	v_pk_fma_f16 v60, v1, v45, v60
	v_pk_fma_f16 v61, v1, v56, v61
	v_pk_fma_f16 v62, v1, v46, v62
	v_pk_fma_f16 v63, v1, v65, v63
	v_pk_fma_f16 v1, v1, v47, v64
	v_pk_fma_f16 v22, v2, v54, v22
	v_pk_fma_f16 v23, v2, v44, v23
	v_pk_fma_f16 v48, v2, v55, v48
	v_pk_fma_f16 v49, v2, v45, v49
	v_pk_fma_f16 v50, v2, v56, v50
	v_pk_fma_f16 v52, v2, v46, v52
	v_pk_fma_f16 v51, v2, v65, v51
	v_pk_fma_f16 v2, v2, v47, v53
	ds_read_b128 v[44:47], v19 offset:26544
	s_waitcnt lgkmcnt(0)
	v_mul_u32_u24_sdwa v53, v44, v24 dst_sel:DWORD dst_unused:UNUSED_PAD src0_sel:WORD_0 src1_sel:DWORD
	v_mul_u32_u24_sdwa v44, v44, v24 dst_sel:DWORD dst_unused:UNUSED_PAD src0_sel:WORD_1 src1_sel:DWORD
	v_mul_u32_u24_sdwa v54, v45, v24 dst_sel:DWORD dst_unused:UNUSED_PAD src0_sel:WORD_0 src1_sel:DWORD
	v_mul_u32_u24_sdwa v45, v45, v24 dst_sel:DWORD dst_unused:UNUSED_PAD src0_sel:WORD_1 src1_sel:DWORD
	v_mul_u32_u24_sdwa v55, v46, v24 dst_sel:DWORD dst_unused:UNUSED_PAD src0_sel:WORD_0 src1_sel:DWORD
	v_mul_u32_u24_sdwa v46, v46, v24 dst_sel:DWORD dst_unused:UNUSED_PAD src0_sel:WORD_1 src1_sel:DWORD
	v_mul_u32_u24_sdwa v56, v47, v24 dst_sel:DWORD dst_unused:UNUSED_PAD src0_sel:WORD_0 src1_sel:DWORD
	v_mul_u32_u24_sdwa v47, v47, v24 dst_sel:DWORD dst_unused:UNUSED_PAD src0_sel:WORD_1 src1_sel:DWORD
	v_pk_fma_f16 v57, v3, v53, v57
	v_pk_fma_f16 v58, v3, v44, v58
	v_pk_fma_f16 v59, v3, v54, v59
	v_pk_fma_f16 v60, v3, v45, v60
	v_pk_fma_f16 v61, v3, v55, v61
	v_pk_fma_f16 v62, v3, v46, v62
	v_pk_fma_f16 v63, v3, v56, v63
	v_pk_fma_f16 v64, v3, v47, v1
	v_pk_fma_f16 v22, v4, v53, v22
	v_pk_fma_f16 v23, v4, v44, v23
	v_pk_fma_f16 v48, v4, v54, v48
	v_pk_fma_f16 v49, v4, v45, v49
	v_pk_fma_f16 v50, v4, v55, v50
	v_pk_fma_f16 v52, v4, v46, v52
	v_pk_fma_f16 v51, v4, v56, v51
	v_pk_fma_f16 v53, v4, v47, v2
	ds_read2_b64 v[1:4], v21 offset0:128 offset1:160
	;; [unrolled: 53-line block ×3, first 2 shown]
	ds_read_b128 v[44:47], v19 offset:26592
	s_waitcnt lgkmcnt(0)
	v_mul_u32_u24_sdwa v21, v44, v24 dst_sel:DWORD dst_unused:UNUSED_PAD src0_sel:WORD_0 src1_sel:DWORD
	v_mul_u32_u24_sdwa v44, v44, v24 dst_sel:DWORD dst_unused:UNUSED_PAD src0_sel:WORD_1 src1_sel:DWORD
	v_mul_u32_u24_sdwa v54, v45, v24 dst_sel:DWORD dst_unused:UNUSED_PAD src0_sel:WORD_0 src1_sel:DWORD
	v_mul_u32_u24_sdwa v45, v45, v24 dst_sel:DWORD dst_unused:UNUSED_PAD src0_sel:WORD_1 src1_sel:DWORD
	;; [unrolled: 2-line block ×4, first 2 shown]
	v_pk_fma_f16 v57, v1, v21, v57
	v_pk_fma_f16 v58, v1, v44, v58
	;; [unrolled: 1-line block ×16, first 2 shown]
	ds_read_b128 v[44:47], v19 offset:26608
	s_waitcnt lgkmcnt(0)
	s_barrier
	buffer_gl0_inv
	v_mul_u32_u24_sdwa v19, v44, v24 dst_sel:DWORD dst_unused:UNUSED_PAD src0_sel:WORD_0 src1_sel:DWORD
	v_mul_u32_u24_sdwa v44, v44, v24 dst_sel:DWORD dst_unused:UNUSED_PAD src0_sel:WORD_1 src1_sel:DWORD
	v_mul_u32_u24_sdwa v54, v45, v24 dst_sel:DWORD dst_unused:UNUSED_PAD src0_sel:WORD_0 src1_sel:DWORD
	v_mul_u32_u24_sdwa v45, v45, v24 dst_sel:DWORD dst_unused:UNUSED_PAD src0_sel:WORD_1 src1_sel:DWORD
	;; [unrolled: 2-line block ×4, first 2 shown]
	v_pk_fma_f16 v63, v3, v19, v57
	v_pk_fma_f16 v61, v3, v44, v58
	;; [unrolled: 1-line block ×16, first 2 shown]
	v_mov_b32_e32 v65, v9
	v_mov_b32_e32 v66, v8
	;; [unrolled: 1-line block ×12, first 2 shown]
.LBB86_264:
	v_cmp_lt_i32_e32 vcc_lo, v80, v75
	s_cmp_eq_u64 s[20:21], 0
	s_cselect_b32 s6, -1, 0
	s_cmp_lg_u32 s34, 0
	v_cndmask_b32_e32 v1, v20, v80, vcc_lo
	v_cmp_lt_i32_e32 vcc_lo, v79, v75
	s_cselect_b32 s7, -1, 0
	s_or_b32 s6, s7, s6
	v_lshlrev_b32_e32 v1, 2, v1
	v_cndmask_b32_e32 v17, v20, v79, vcc_lo
	v_cmp_lt_i32_e32 vcc_lo, v78, v75
	ds_bpermute_b32 v10, v1, v72
	ds_bpermute_b32 v11, v1, v71
	;; [unrolled: 1-line block ×8, first 2 shown]
	v_lshlrev_b32_e32 v17, 2, v17
	v_cndmask_b32_e32 v43, v20, v78, vcc_lo
	v_cmp_lt_i32_e32 vcc_lo, v77, v75
	v_lshlrev_b32_e32 v43, 2, v43
	s_waitcnt lgkmcnt(7)
	v_add_f32_e32 v10, v72, v10
	s_waitcnt lgkmcnt(6)
	v_add_f32_e32 v11, v71, v11
	;; [unrolled: 2-line block ×8, first 2 shown]
	ds_bpermute_b32 v18, v17, v10
	ds_bpermute_b32 v19, v17, v11
	;; [unrolled: 1-line block ×8, first 2 shown]
	s_waitcnt lgkmcnt(7)
	v_add_f32_e32 v10, v10, v18
	s_waitcnt lgkmcnt(6)
	v_add_f32_e32 v11, v11, v19
	;; [unrolled: 2-line block ×8, first 2 shown]
	ds_bpermute_b32 v17, v43, v10
	ds_bpermute_b32 v18, v43, v11
	;; [unrolled: 1-line block ×8, first 2 shown]
	v_cndmask_b32_e32 v43, v20, v77, vcc_lo
	v_cmp_lt_i32_e32 vcc_lo, v76, v75
	v_lshlrev_b32_e32 v43, 2, v43
	v_cndmask_b32_e32 v20, v20, v76, vcc_lo
	s_and_b32 vcc_lo, exec_lo, s6
	v_lshlrev_b32_e32 v20, 2, v20
	s_waitcnt lgkmcnt(7)
	v_add_f32_e32 v10, v10, v17
	s_waitcnt lgkmcnt(6)
	v_add_f32_e32 v11, v11, v18
	;; [unrolled: 2-line block ×8, first 2 shown]
	ds_bpermute_b32 v17, v43, v10
	ds_bpermute_b32 v18, v43, v11
	;; [unrolled: 1-line block ×8, first 2 shown]
	s_waitcnt lgkmcnt(7)
	v_add_f32_e32 v10, v10, v17
	s_waitcnt lgkmcnt(6)
	v_add_f32_e32 v11, v11, v18
	;; [unrolled: 2-line block ×8, first 2 shown]
	ds_bpermute_b32 v17, v20, v10
	ds_bpermute_b32 v18, v20, v11
	;; [unrolled: 1-line block ×8, first 2 shown]
	s_waitcnt lgkmcnt(7)
	v_add_f32_e32 v10, v10, v17
	s_waitcnt lgkmcnt(6)
	v_add_f32_e32 v11, v11, v18
	;; [unrolled: 2-line block ×8, first 2 shown]
	s_cbranch_vccnz .LBB86_266
; %bb.265:
	s_lshl_b64 s[6:7], s[44:45], 2
	v_mov_b32_e32 v1, 0
	s_add_u32 s6, s20, s6
	s_addc_u32 s7, s21, s7
	v_max_f32_e32 v18, v2, v2
	v_max_f32_e32 v19, v3, v3
	global_load_dword v1, v1, s[6:7]
	v_max_f32_e32 v25, v8, v8
	v_max_f32_e32 v44, v9, v9
	;; [unrolled: 1-line block ×6, first 2 shown]
	v_mov_b32_e32 v43, 0x10001
	s_waitcnt vmcnt(0)
	v_max_f32_e32 v22, v1, v1
	v_max_f32_e32 v65, v18, v22
	;; [unrolled: 1-line block ×6, first 2 shown]
	v_sub_f32_e32 v2, v2, v65
	v_sub_f32_e32 v18, v1, v65
	;; [unrolled: 1-line block ×5, first 2 shown]
	v_mul_f32_e32 v25, 0x3fb8aa3b, v2
	v_mul_f32_e32 v44, 0x3fb8aa3b, v18
	v_mul_f32_e32 v45, 0x3fb8aa3b, v3
	v_mul_f32_e32 v46, 0x3fb8aa3b, v19
	v_max_f32_e32 v68, v21, v22
	v_fma_f32 v83, 0x3fb8aa3b, v2, -v25
	v_rndne_f32_e32 v84, v25
	v_fma_f32 v85, 0x3fb8aa3b, v18, -v44
	v_rndne_f32_e32 v86, v44
	v_fma_f32 v87, 0x3fb8aa3b, v3, -v45
	v_fmac_f32_e32 v83, 0x32a5705f, v2
	v_sub_f32_e32 v25, v25, v84
	v_rndne_f32_e32 v88, v45
	v_fmac_f32_e32 v85, 0x32a5705f, v18
	v_sub_f32_e32 v44, v44, v86
	v_sub_f32_e32 v20, v1, v67
	v_add_f32_e32 v25, v25, v83
	v_mul_f32_e32 v47, 0x3fb8aa3b, v4
	v_fma_f32 v89, 0x3fb8aa3b, v19, -v46
	v_rndne_f32_e32 v90, v46
	v_fmac_f32_e32 v87, 0x32a5705f, v3
	v_sub_f32_e32 v45, v45, v88
	v_add_f32_e32 v44, v44, v85
	v_exp_f32_e32 v25, v25
	v_sub_f32_e32 v5, v5, v68
	v_mul_f32_e32 v48, 0x3fb8aa3b, v20
	v_fma_f32 v91, 0x3fb8aa3b, v4, -v47
	v_rndne_f32_e32 v92, v47
	v_cvt_i32_f32_e32 v84, v84
	v_fmac_f32_e32 v89, 0x32a5705f, v19
	v_sub_f32_e32 v46, v46, v90
	v_add_f32_e32 v45, v45, v87
	v_exp_f32_e32 v44, v44
	v_max_f32_e32 v69, v23, v22
	v_sub_f32_e32 v21, v1, v68
	v_mul_f32_e32 v73, 0x3fb8aa3b, v5
	v_fma_f32 v93, 0x3fb8aa3b, v20, -v48
	v_rndne_f32_e32 v94, v48
	v_cvt_i32_f32_e32 v86, v86
	v_fmac_f32_e32 v91, 0x32a5705f, v4
	v_sub_f32_e32 v47, v47, v92
	v_add_f32_e32 v46, v46, v89
	v_exp_f32_e32 v45, v45
	v_ldexp_f32 v25, v25, v84
	v_cmp_ngt_f32_e32 vcc_lo, 0xc2ce8ed0, v2
	v_sub_f32_e32 v6, v6, v69
	v_mul_f32_e32 v74, 0x3fb8aa3b, v21
	v_fma_f32 v95, 0x3fb8aa3b, v5, -v73
	v_rndne_f32_e32 v96, v73
	v_cvt_i32_f32_e32 v88, v88
	v_fmac_f32_e32 v93, 0x32a5705f, v20
	v_sub_f32_e32 v48, v48, v94
	v_add_f32_e32 v47, v47, v91
	v_exp_f32_e32 v46, v46
	v_ldexp_f32 v44, v44, v86
	v_cndmask_b32_e32 v25, 0, v25, vcc_lo
	v_cmp_ngt_f32_e32 vcc_lo, 0xc2ce8ed0, v18
	v_max_f32_e32 v70, v24, v22
	v_sub_f32_e32 v22, v1, v69
	v_mul_f32_e32 v75, 0x3fb8aa3b, v6
	v_fma_f32 v97, 0x3fb8aa3b, v21, -v74
	v_rndne_f32_e32 v98, v74
	v_cvt_i32_f32_e32 v90, v90
	v_fmac_f32_e32 v95, 0x32a5705f, v5
	v_sub_f32_e32 v73, v73, v96
	v_add_f32_e32 v48, v48, v93
	v_exp_f32_e32 v47, v47
	v_ldexp_f32 v45, v45, v88
	v_cndmask_b32_e32 v44, 0, v44, vcc_lo
	v_cmp_ngt_f32_e32 vcc_lo, 0xc2ce8ed0, v3
	v_sub_f32_e32 v7, v7, v70
	v_mul_f32_e32 v76, 0x3fb8aa3b, v22
	v_fma_f32 v99, 0x3fb8aa3b, v6, -v75
	v_rndne_f32_e32 v100, v75
	v_cvt_i32_f32_e32 v92, v92
	v_fmac_f32_e32 v97, 0x32a5705f, v21
	v_sub_f32_e32 v74, v74, v98
	v_add_f32_e32 v73, v73, v95
	v_exp_f32_e32 v48, v48
	v_ldexp_f32 v46, v46, v90
	v_cndmask_b32_e32 v45, 0, v45, vcc_lo
	v_cmp_ngt_f32_e32 vcc_lo, 0xc2ce8ed0, v19
	;; [unrolled: 12-line block ×7, first 2 shown]
	v_mul_f32_e32 v82, 0x3fb8aa3b, v1
	v_fma_f32 v111, 0x3fb8aa3b, v9, -v81
	v_rndne_f32_e32 v112, v81
	v_cvt_i32_f32_e32 v104, v104
	v_fmac_f32_e32 v109, 0x32a5705f, v24
	v_sub_f32_e32 v80, v80, v110
	v_add_f32_e32 v79, v79, v107
	v_exp_f32_e32 v78, v78
	v_ldexp_f32 v76, v76, v102
	v_cndmask_b32_e32 v75, 0, v75, vcc_lo
	v_cmp_ngt_f32_e32 vcc_lo, 0xc2ce8ed0, v22
	v_fma_f32 v113, 0x3fb8aa3b, v1, -v82
	v_rndne_f32_e32 v114, v82
	v_cvt_i32_f32_e32 v106, v106
	v_fmac_f32_e32 v111, 0x32a5705f, v9
	v_sub_f32_e32 v81, v81, v112
	v_add_f32_e32 v80, v80, v109
	v_exp_f32_e32 v79, v79
	v_ldexp_f32 v77, v77, v104
	v_cndmask_b32_e32 v76, 0, v76, vcc_lo
	v_cmp_ngt_f32_e32 vcc_lo, 0xc2ce8ed0, v7
	v_cvt_i32_f32_e32 v108, v108
	v_fmac_f32_e32 v113, 0x32a5705f, v1
	v_sub_f32_e32 v82, v82, v114
	v_add_f32_e32 v81, v81, v111
	v_exp_f32_e32 v80, v80
	v_ldexp_f32 v78, v78, v106
	v_cndmask_b32_e32 v77, 0, v77, vcc_lo
	v_cmp_ngt_f32_e32 vcc_lo, 0xc2ce8ed0, v23
	v_cvt_i32_f32_e32 v110, v110
	v_add_f32_e32 v82, v82, v113
	v_exp_f32_e32 v81, v81
	v_ldexp_f32 v79, v79, v108
	v_cndmask_b32_e32 v78, 0, v78, vcc_lo
	v_cmp_ngt_f32_e32 vcc_lo, 0xc2ce8ed0, v8
	v_cvt_i32_f32_e32 v112, v112
	v_exp_f32_e32 v82, v82
	v_ldexp_f32 v80, v80, v110
	v_cvt_i32_f32_e32 v114, v114
	v_cndmask_b32_e32 v79, 0, v79, vcc_lo
	v_cmp_ngt_f32_e32 vcc_lo, 0xc2ce8ed0, v24
	v_ldexp_f32 v81, v81, v112
	v_cndmask_b32_e32 v80, 0, v80, vcc_lo
	v_cmp_ngt_f32_e32 vcc_lo, 0xc2ce8ed0, v9
	v_ldexp_f32 v82, v82, v114
	v_cndmask_b32_e32 v81, 0, v81, vcc_lo
	v_cmp_ngt_f32_e32 vcc_lo, 0xc2ce8ed0, v1
	v_cndmask_b32_e32 v82, 0, v82, vcc_lo
	v_cmp_nlt_f32_e32 vcc_lo, 0x42b17218, v2
	v_cndmask_b32_e32 v2, 0x7f800000, v25, vcc_lo
	v_cmp_nlt_f32_e32 vcc_lo, 0x42b17218, v18
	;; [unrolled: 2-line block ×3, first 2 shown]
	v_fmac_f32_e32 v18, v10, v2
	v_cndmask_b32_e32 v3, 0x7f800000, v45, vcc_lo
	v_cmp_nlt_f32_e32 vcc_lo, 0x42b17218, v19
	v_cndmask_b32_e32 v19, 0x7f800000, v46, vcc_lo
	v_cmp_nlt_f32_e32 vcc_lo, 0x42b17218, v4
	v_fmac_f32_e32 v19, v11, v3
	v_cndmask_b32_e32 v4, 0x7f800000, v47, vcc_lo
	v_cmp_nlt_f32_e32 vcc_lo, 0x42b17218, v20
	v_cndmask_b32_e32 v20, 0x7f800000, v48, vcc_lo
	v_cmp_nlt_f32_e32 vcc_lo, 0x42b17218, v5
	;; [unrolled: 5-line block ×6, first 2 shown]
	v_fmac_f32_e32 v24, v16, v8
	v_cndmask_b32_e32 v9, 0x7f800000, v81, vcc_lo
	v_cmp_nlt_f32_e32 vcc_lo, 0x42b17218, v1
	v_cvt_f16_f32_e32 v1, v2
	v_cvt_f16_f32_e32 v2, v3
	;; [unrolled: 1-line block ×8, first 2 shown]
	v_cndmask_b32_e32 v25, 0x7f800000, v82, vcc_lo
	v_mul_u32_u24_sdwa v2, v2, v43 dst_sel:DWORD dst_unused:UNUSED_PAD src0_sel:WORD_0 src1_sel:DWORD
	v_mul_u32_u24_sdwa v3, v3, v43 dst_sel:DWORD dst_unused:UNUSED_PAD src0_sel:WORD_0 src1_sel:DWORD
	;; [unrolled: 1-line block ×7, first 2 shown]
	v_fmac_f32_e32 v25, v17, v9
	v_mul_u32_u24_sdwa v1, v1, v43 dst_sel:DWORD dst_unused:UNUSED_PAD src0_sel:WORD_0 src1_sel:DWORD
	v_mov_b32_e32 v10, v18
	v_pk_mul_f16 v61, v61, v2
	v_pk_mul_f16 v62, v62, v2
	v_pk_mul_f16 v59, v59, v3
	v_pk_mul_f16 v60, v60, v3
	v_pk_mul_f16 v57, v57, v4
	v_pk_mul_f16 v58, v58, v4
	v_pk_mul_f16 v55, v55, v5
	v_pk_mul_f16 v56, v56, v5
	v_pk_mul_f16 v53, v53, v6
	v_pk_mul_f16 v54, v54, v6
	v_pk_mul_f16 v51, v51, v7
	v_pk_mul_f16 v52, v52, v7
	v_pk_mul_f16 v50, v50, v8
	v_pk_mul_f16 v49, v49, v8
	v_mov_b32_e32 v2, v65
	v_mov_b32_e32 v11, v19
	;; [unrolled: 1-line block ×8, first 2 shown]
	v_pk_mul_f16 v63, v63, v1
	v_pk_mul_f16 v64, v64, v1
	v_mov_b32_e32 v3, v66
	v_mov_b32_e32 v4, v67
	;; [unrolled: 1-line block ×7, first 2 shown]
	s_mov_b32 s6, exec_lo
	v_cmpx_gt_i32_e64 s30, v27
	s_cbranch_execnz .LBB86_267
	s_branch .LBB86_306
.LBB86_266:
	v_mov_b32_e32 v18, v10
	v_mov_b32_e32 v19, v11
	;; [unrolled: 1-line block ×8, first 2 shown]
	s_mov_b32 s6, exec_lo
	v_cmpx_gt_i32_e64 s30, v27
	s_cbranch_execz .LBB86_306
.LBB86_267:
	s_load_dword s5, s[4:5], 0xd4
	v_mov_b32_e32 v1, 1.0
	s_waitcnt lgkmcnt(0)
	s_cmp_lg_u32 s5, 1
	s_cselect_b32 s8, -1, 0
	s_cmp_eq_u32 s5, 1
	s_cselect_b32 s7, -1, 0
	s_and_b32 vcc_lo, exec_lo, s8
	s_cbranch_vccnz .LBB86_269
; %bb.268:
	v_div_scale_f32 v1, null, v18, v18, 1.0
	v_rcp_f32_e32 v27, v1
	v_fma_f32 v43, -v1, v27, 1.0
	v_fmac_f32_e32 v27, v43, v27
	v_div_scale_f32 v43, vcc_lo, 1.0, v18, 1.0
	v_mul_f32_e32 v44, v43, v27
	v_fma_f32 v45, -v1, v44, v43
	v_fmac_f32_e32 v44, v45, v27
	v_fma_f32 v1, -v1, v44, v43
	v_div_fmas_f32 v1, v1, v27, v44
	v_div_fixup_f32 v1, v1, v18, 1.0
.LBB86_269:
	s_mul_i32 s6, s33, s30
	v_mov_b32_e32 v44, 0
	s_add_i32 s6, s6, s18
	v_cmp_eq_u32_e32 vcc_lo, 0, v0
	v_add_nc_u32_e32 v18, s6, v26
	v_cvt_f32_f16_e32 v0, v63
	v_cvt_f32_f16_sdwa v46, v64 dst_sel:DWORD dst_unused:UNUSED_PAD src0_sel:WORD_1
	v_mad_u64_u32 v[26:27], null, v18, s31, s[44:45]
	v_cvt_f32_f16_sdwa v18, v63 dst_sel:DWORD dst_unused:UNUSED_PAD src0_sel:WORD_1
	v_mul_f32_e32 v46, v1, v46
	v_mad_u64_u32 v[26:27], null, s5, v26, s[34:35]
	v_cvt_f32_f16_e32 v27, v64
	v_mul_f32_e32 v45, v1, v27
	v_lshl_add_u32 v43, v26, 7, v38
	v_lshlrev_b64 v[47:48], 2, v[43:44]
	v_mul_f32_e32 v43, v1, v0
	v_mul_f32_e32 v44, v1, v18
	v_add_co_u32 v0, s4, s24, v47
	v_add_co_ci_u32_e64 v1, null, s25, v48, s4
	s_and_b32 s4, vcc_lo, s8
	global_store_dwordx4 v[0:1], v[43:46], off
	s_and_saveexec_b32 s8, s4
	s_cbranch_execz .LBB86_271
; %bb.270:
	v_ashrrev_i32_e32 v27, 31, v26
	v_lshlrev_b64 v[0:1], 3, v[26:27]
	v_mov_b32_e32 v26, v2
	v_mov_b32_e32 v27, v10
	v_add_co_u32 v0, vcc_lo, s26, v0
	v_add_co_ci_u32_e64 v1, null, s27, v1, vcc_lo
	global_store_dwordx2 v[0:1], v[26:27], off
.LBB86_271:
	s_or_b32 exec_lo, exec_lo, s8
	v_cmp_gt_i32_e32 vcc_lo, s30, v42
	s_and_b32 exec_lo, exec_lo, vcc_lo
	s_cbranch_execz .LBB86_306
; %bb.272:
	v_cndmask_b32_e64 v2, 0, 1, s7
	v_mov_b32_e32 v10, 1.0
	s_andn2_b32 vcc_lo, exec_lo, s7
	s_cbranch_vccnz .LBB86_274
; %bb.273:
	v_div_scale_f32 v0, null, v19, v19, 1.0
	v_rcp_f32_e32 v1, v0
	v_fma_f32 v10, -v0, v1, 1.0
	v_fmac_f32_e32 v1, v10, v1
	v_div_scale_f32 v10, vcc_lo, 1.0, v19, 1.0
	v_mul_f32_e32 v18, v10, v1
	v_fma_f32 v26, -v0, v18, v10
	v_fmac_f32_e32 v18, v26, v1
	v_fma_f32 v0, -v0, v18, v10
	v_div_fmas_f32 v0, v0, v1, v18
	v_div_fixup_f32 v10, v0, v19, 1.0
.LBB86_274:
	v_add_nc_u32_e32 v0, s6, v40
	v_mov_b32_e32 v19, 0
	v_cvt_f32_f16_sdwa v26, v61 dst_sel:DWORD dst_unused:UNUSED_PAD src0_sel:WORD_1
	v_cvt_f32_f16_e32 v27, v62
	v_cvt_f32_f16_sdwa v40, v62 dst_sel:DWORD dst_unused:UNUSED_PAD src0_sel:WORD_1
	v_mad_u64_u32 v[0:1], null, v0, s31, s[44:45]
	v_mul_f32_e32 v43, v10, v26
	v_mul_f32_e32 v44, v10, v27
	v_mul_f32_e32 v45, v10, v40
	v_mad_u64_u32 v[0:1], null, s5, v0, s[34:35]
	v_cvt_f32_f16_e32 v1, v61
	v_mul_f32_e32 v42, v10, v1
	v_lshl_add_u32 v18, v0, 7, v38
	v_lshlrev_b64 v[18:19], 2, v[18:19]
	v_add_co_u32 v18, vcc_lo, s24, v18
	v_add_co_ci_u32_e64 v19, null, s25, v19, vcc_lo
	global_store_dwordx4 v[18:19], v[42:45], off
	s_and_saveexec_b32 s7, s4
	s_cbranch_execz .LBB86_276
; %bb.275:
	v_ashrrev_i32_e32 v1, 31, v0
	v_mov_b32_e32 v10, v3
	v_lshlrev_b64 v[0:1], 3, v[0:1]
	v_add_co_u32 v0, vcc_lo, s26, v0
	v_add_co_ci_u32_e64 v1, null, s27, v1, vcc_lo
	global_store_dwordx2 v[0:1], v[10:11], off
.LBB86_276:
	s_or_b32 exec_lo, exec_lo, s7
	v_cmp_gt_i32_e32 vcc_lo, s30, v41
	s_and_b32 exec_lo, exec_lo, vcc_lo
	s_cbranch_execz .LBB86_306
; %bb.277:
	v_cmp_ne_u32_e32 vcc_lo, 1, v2
	v_mov_b32_e32 v3, 1.0
	s_cbranch_vccnz .LBB86_279
; %bb.278:
	v_div_scale_f32 v0, null, v20, v20, 1.0
	v_rcp_f32_e32 v1, v0
	v_fma_f32 v3, -v0, v1, 1.0
	v_fmac_f32_e32 v1, v3, v1
	v_div_scale_f32 v3, vcc_lo, 1.0, v20, 1.0
	v_mul_f32_e32 v10, v3, v1
	v_fma_f32 v11, -v0, v10, v3
	v_fmac_f32_e32 v10, v11, v1
	v_fma_f32 v0, -v0, v10, v3
	v_div_fmas_f32 v0, v0, v1, v10
	v_div_fixup_f32 v3, v0, v20, 1.0
.LBB86_279:
	v_add_nc_u32_e32 v0, s6, v37
	v_mov_b32_e32 v11, 0
	v_cvt_f32_f16_sdwa v18, v59 dst_sel:DWORD dst_unused:UNUSED_PAD src0_sel:WORD_1
	v_cvt_f32_f16_e32 v19, v60
	v_cvt_f32_f16_sdwa v20, v60 dst_sel:DWORD dst_unused:UNUSED_PAD src0_sel:WORD_1
	v_mad_u64_u32 v[0:1], null, v0, s31, s[44:45]
	v_mul_f32_e32 v41, v3, v18
	v_mul_f32_e32 v42, v3, v19
	v_mul_f32_e32 v43, v3, v20
	v_mad_u64_u32 v[0:1], null, s5, v0, s[34:35]
	v_cvt_f32_f16_e32 v1, v59
	v_mul_f32_e32 v40, v3, v1
	v_lshl_add_u32 v10, v0, 7, v38
	v_lshlrev_b64 v[10:11], 2, v[10:11]
	v_add_co_u32 v10, vcc_lo, s24, v10
	v_add_co_ci_u32_e64 v11, null, s25, v11, vcc_lo
	global_store_dwordx4 v[10:11], v[40:43], off
	s_and_saveexec_b32 s7, s4
	s_cbranch_execz .LBB86_281
; %bb.280:
	v_ashrrev_i32_e32 v1, 31, v0
	v_mov_b32_e32 v11, v4
	v_lshlrev_b64 v[0:1], 3, v[0:1]
	v_add_co_u32 v0, vcc_lo, s26, v0
	v_add_co_ci_u32_e64 v1, null, s27, v1, vcc_lo
	global_store_dwordx2 v[0:1], v[11:12], off
.LBB86_281:
	s_or_b32 exec_lo, exec_lo, s7
	v_cmp_gt_i32_e32 vcc_lo, s30, v39
	s_and_b32 exec_lo, exec_lo, vcc_lo
	s_cbranch_execz .LBB86_306
; %bb.282:
	v_cmp_ne_u32_e32 vcc_lo, 1, v2
	v_mov_b32_e32 v3, 1.0
	;; [unrolled: 48-line block ×5, first 2 shown]
	s_cbranch_vccnz .LBB86_299
; %bb.298:
	v_div_scale_f32 v0, null, v24, v24, 1.0
	v_rcp_f32_e32 v1, v0
	v_fma_f32 v3, -v0, v1, 1.0
	v_fmac_f32_e32 v1, v3, v1
	v_div_scale_f32 v3, vcc_lo, 1.0, v24, 1.0
	v_mul_f32_e32 v4, v3, v1
	v_fma_f32 v5, -v0, v4, v3
	v_fmac_f32_e32 v4, v5, v1
	v_fma_f32 v0, -v0, v4, v3
	v_div_fmas_f32 v0, v0, v1, v4
	v_div_fixup_f32 v3, v0, v24, 1.0
.LBB86_299:
	v_add_nc_u32_e32 v0, s6, v30
	v_mov_b32_e32 v5, 0
	v_cvt_f32_f16_sdwa v6, v51 dst_sel:DWORD dst_unused:UNUSED_PAD src0_sel:WORD_1
	v_cvt_f32_f16_e32 v7, v52
	v_cvt_f32_f16_sdwa v12, v52 dst_sel:DWORD dst_unused:UNUSED_PAD src0_sel:WORD_1
	v_mad_u64_u32 v[0:1], null, v0, s31, s[44:45]
	v_mad_u64_u32 v[0:1], null, s5, v0, s[34:35]
	v_cvt_f32_f16_e32 v1, v51
	v_lshl_add_u32 v4, v0, 7, v38
	v_lshlrev_b64 v[10:11], 2, v[4:5]
	v_mul_f32_e32 v4, v3, v1
	v_mul_f32_e32 v5, v3, v6
	;; [unrolled: 1-line block ×4, first 2 shown]
	v_add_co_u32 v10, vcc_lo, s24, v10
	v_add_co_ci_u32_e64 v11, null, s25, v11, vcc_lo
	global_store_dwordx4 v[10:11], v[4:7], off
	s_and_saveexec_b32 s7, s4
	s_cbranch_execz .LBB86_301
; %bb.300:
	v_ashrrev_i32_e32 v1, 31, v0
	v_mov_b32_e32 v15, v8
	v_lshlrev_b64 v[0:1], 3, v[0:1]
	v_add_co_u32 v0, vcc_lo, s26, v0
	v_add_co_ci_u32_e64 v1, null, s27, v1, vcc_lo
	global_store_dwordx2 v[0:1], v[15:16], off
.LBB86_301:
	s_or_b32 exec_lo, exec_lo, s7
	v_cmp_gt_i32_e32 vcc_lo, s30, v29
	s_and_b32 exec_lo, exec_lo, vcc_lo
	s_cbranch_execz .LBB86_306
; %bb.302:
	v_cmp_ne_u32_e32 vcc_lo, 1, v2
	v_mov_b32_e32 v2, 1.0
	s_cbranch_vccnz .LBB86_304
; %bb.303:
	v_div_scale_f32 v0, null, v25, v25, 1.0
	v_rcp_f32_e32 v1, v0
	v_fma_f32 v2, -v0, v1, 1.0
	v_fmac_f32_e32 v1, v2, v1
	v_div_scale_f32 v2, vcc_lo, 1.0, v25, 1.0
	v_mul_f32_e32 v3, v2, v1
	v_fma_f32 v4, -v0, v3, v2
	v_fmac_f32_e32 v3, v4, v1
	v_fma_f32 v0, -v0, v3, v2
	v_div_fmas_f32 v0, v0, v1, v3
	v_div_fixup_f32 v2, v0, v25, 1.0
.LBB86_304:
	v_add_nc_u32_e32 v0, s6, v28
	v_mov_b32_e32 v4, 0
	v_cvt_f32_f16_sdwa v5, v50 dst_sel:DWORD dst_unused:UNUSED_PAD src0_sel:WORD_1
	v_cvt_f32_f16_e32 v6, v49
	v_cvt_f32_f16_sdwa v10, v49 dst_sel:DWORD dst_unused:UNUSED_PAD src0_sel:WORD_1
	v_mad_u64_u32 v[0:1], null, v0, s31, s[44:45]
	v_mad_u64_u32 v[0:1], null, s5, v0, s[34:35]
	v_cvt_f32_f16_e32 v1, v50
	v_lshl_add_u32 v3, v0, 7, v38
	v_lshlrev_b64 v[7:8], 2, v[3:4]
	v_mul_f32_e32 v3, v2, v1
	v_mul_f32_e32 v4, v2, v5
	;; [unrolled: 1-line block ×4, first 2 shown]
	v_add_co_u32 v1, vcc_lo, s24, v7
	v_add_co_ci_u32_e64 v2, null, s25, v8, vcc_lo
	global_store_dwordx4 v[1:2], v[3:6], off
	s_and_b32 exec_lo, exec_lo, s4
	s_cbranch_execz .LBB86_306
; %bb.305:
	v_ashrrev_i32_e32 v1, 31, v0
	v_mov_b32_e32 v16, v9
	v_lshlrev_b64 v[0:1], 3, v[0:1]
	v_add_co_u32 v0, vcc_lo, s26, v0
	v_add_co_ci_u32_e64 v1, null, s27, v1, vcc_lo
	global_store_dwordx2 v[0:1], v[16:17], off
	s_endpgm
.LBB86_306:
	s_endpgm
	.section	.rodata,"a",@progbits
	.p2align	6, 0x0
	.amdhsa_kernel _ZL15flash_attn_tileILi128ELi128ELi64ELi1ELb1EEvPKcS1_S1_S1_S1_PKiPfP15HIP_vector_typeIfLj2EEffffjfiS5_IjLj3EEiiiiiiiiiiiliiliiiiil
		.amdhsa_group_segment_fixed_size 33792
		.amdhsa_private_segment_fixed_size 32
		.amdhsa_kernarg_size 464
		.amdhsa_user_sgpr_count 8
		.amdhsa_user_sgpr_private_segment_buffer 1
		.amdhsa_user_sgpr_dispatch_ptr 0
		.amdhsa_user_sgpr_queue_ptr 0
		.amdhsa_user_sgpr_kernarg_segment_ptr 1
		.amdhsa_user_sgpr_dispatch_id 0
		.amdhsa_user_sgpr_flat_scratch_init 1
		.amdhsa_user_sgpr_private_segment_size 0
		.amdhsa_wavefront_size32 1
		.amdhsa_uses_dynamic_stack 0
		.amdhsa_system_sgpr_private_segment_wavefront_offset 1
		.amdhsa_system_sgpr_workgroup_id_x 1
		.amdhsa_system_sgpr_workgroup_id_y 1
		.amdhsa_system_sgpr_workgroup_id_z 1
		.amdhsa_system_sgpr_workgroup_info 0
		.amdhsa_system_vgpr_workitem_id 1
		.amdhsa_next_free_vgpr 155
		.amdhsa_next_free_sgpr 52
		.amdhsa_reserve_vcc 1
		.amdhsa_reserve_flat_scratch 1
		.amdhsa_float_round_mode_32 0
		.amdhsa_float_round_mode_16_64 0
		.amdhsa_float_denorm_mode_32 3
		.amdhsa_float_denorm_mode_16_64 3
		.amdhsa_dx10_clamp 1
		.amdhsa_ieee_mode 1
		.amdhsa_fp16_overflow 0
		.amdhsa_workgroup_processor_mode 1
		.amdhsa_memory_ordered 1
		.amdhsa_forward_progress 1
		.amdhsa_shared_vgpr_count 0
		.amdhsa_exception_fp_ieee_invalid_op 0
		.amdhsa_exception_fp_denorm_src 0
		.amdhsa_exception_fp_ieee_div_zero 0
		.amdhsa_exception_fp_ieee_overflow 0
		.amdhsa_exception_fp_ieee_underflow 0
		.amdhsa_exception_fp_ieee_inexact 0
		.amdhsa_exception_int_div_zero 0
	.end_amdhsa_kernel
	.section	.text._ZL15flash_attn_tileILi128ELi128ELi64ELi1ELb1EEvPKcS1_S1_S1_S1_PKiPfP15HIP_vector_typeIfLj2EEffffjfiS5_IjLj3EEiiiiiiiiiiiliiliiiiil,"axG",@progbits,_ZL15flash_attn_tileILi128ELi128ELi64ELi1ELb1EEvPKcS1_S1_S1_S1_PKiPfP15HIP_vector_typeIfLj2EEffffjfiS5_IjLj3EEiiiiiiiiiiiliiliiiiil,comdat
.Lfunc_end86:
	.size	_ZL15flash_attn_tileILi128ELi128ELi64ELi1ELb1EEvPKcS1_S1_S1_S1_PKiPfP15HIP_vector_typeIfLj2EEffffjfiS5_IjLj3EEiiiiiiiiiiiliiliiiiil, .Lfunc_end86-_ZL15flash_attn_tileILi128ELi128ELi64ELi1ELb1EEvPKcS1_S1_S1_S1_PKiPfP15HIP_vector_typeIfLj2EEffffjfiS5_IjLj3EEiiiiiiiiiiiliiliiiiil
                                        ; -- End function
	.set _ZL15flash_attn_tileILi128ELi128ELi64ELi1ELb1EEvPKcS1_S1_S1_S1_PKiPfP15HIP_vector_typeIfLj2EEffffjfiS5_IjLj3EEiiiiiiiiiiiliiliiiiil.num_vgpr, 155
	.set _ZL15flash_attn_tileILi128ELi128ELi64ELi1ELb1EEvPKcS1_S1_S1_S1_PKiPfP15HIP_vector_typeIfLj2EEffffjfiS5_IjLj3EEiiiiiiiiiiiliiliiiiil.num_agpr, 0
	.set _ZL15flash_attn_tileILi128ELi128ELi64ELi1ELb1EEvPKcS1_S1_S1_S1_PKiPfP15HIP_vector_typeIfLj2EEffffjfiS5_IjLj3EEiiiiiiiiiiiliiliiiiil.numbered_sgpr, 52
	.set _ZL15flash_attn_tileILi128ELi128ELi64ELi1ELb1EEvPKcS1_S1_S1_S1_PKiPfP15HIP_vector_typeIfLj2EEffffjfiS5_IjLj3EEiiiiiiiiiiiliiliiiiil.num_named_barrier, 0
	.set _ZL15flash_attn_tileILi128ELi128ELi64ELi1ELb1EEvPKcS1_S1_S1_S1_PKiPfP15HIP_vector_typeIfLj2EEffffjfiS5_IjLj3EEiiiiiiiiiiiliiliiiiil.private_seg_size, 32
	.set _ZL15flash_attn_tileILi128ELi128ELi64ELi1ELb1EEvPKcS1_S1_S1_S1_PKiPfP15HIP_vector_typeIfLj2EEffffjfiS5_IjLj3EEiiiiiiiiiiiliiliiiiil.uses_vcc, 1
	.set _ZL15flash_attn_tileILi128ELi128ELi64ELi1ELb1EEvPKcS1_S1_S1_S1_PKiPfP15HIP_vector_typeIfLj2EEffffjfiS5_IjLj3EEiiiiiiiiiiiliiliiiiil.uses_flat_scratch, 1
	.set _ZL15flash_attn_tileILi128ELi128ELi64ELi1ELb1EEvPKcS1_S1_S1_S1_PKiPfP15HIP_vector_typeIfLj2EEffffjfiS5_IjLj3EEiiiiiiiiiiiliiliiiiil.has_dyn_sized_stack, 0
	.set _ZL15flash_attn_tileILi128ELi128ELi64ELi1ELb1EEvPKcS1_S1_S1_S1_PKiPfP15HIP_vector_typeIfLj2EEffffjfiS5_IjLj3EEiiiiiiiiiiiliiliiiiil.has_recursion, 0
	.set _ZL15flash_attn_tileILi128ELi128ELi64ELi1ELb1EEvPKcS1_S1_S1_S1_PKiPfP15HIP_vector_typeIfLj2EEffffjfiS5_IjLj3EEiiiiiiiiiiiliiliiiiil.has_indirect_call, 0
	.section	.AMDGPU.csdata,"",@progbits
; Kernel info:
; codeLenInByte = 99956
; TotalNumSgprs: 54
; NumVgprs: 155
; ScratchSize: 32
; MemoryBound: 0
; FloatMode: 240
; IeeeMode: 1
; LDSByteSize: 33792 bytes/workgroup (compile time only)
; SGPRBlocks: 0
; VGPRBlocks: 19
; NumSGPRsForWavesPerEU: 54
; NumVGPRsForWavesPerEU: 155
; Occupancy: 6
; WaveLimiterHint : 0
; COMPUTE_PGM_RSRC2:SCRATCH_EN: 1
; COMPUTE_PGM_RSRC2:USER_SGPR: 8
; COMPUTE_PGM_RSRC2:TRAP_HANDLER: 0
; COMPUTE_PGM_RSRC2:TGID_X_EN: 1
; COMPUTE_PGM_RSRC2:TGID_Y_EN: 1
; COMPUTE_PGM_RSRC2:TGID_Z_EN: 1
; COMPUTE_PGM_RSRC2:TIDIG_COMP_CNT: 1
	.section	.text._ZL15flash_attn_tileILi128ELi128ELi32ELi1ELb1EEvPKcS1_S1_S1_S1_PKiPfP15HIP_vector_typeIfLj2EEffffjfiS5_IjLj3EEiiiiiiiiiiiliiliiiiil,"axG",@progbits,_ZL15flash_attn_tileILi128ELi128ELi32ELi1ELb1EEvPKcS1_S1_S1_S1_PKiPfP15HIP_vector_typeIfLj2EEffffjfiS5_IjLj3EEiiiiiiiiiiiliiliiiiil,comdat
	.globl	_ZL15flash_attn_tileILi128ELi128ELi32ELi1ELb1EEvPKcS1_S1_S1_S1_PKiPfP15HIP_vector_typeIfLj2EEffffjfiS5_IjLj3EEiiiiiiiiiiiliiliiiiil ; -- Begin function _ZL15flash_attn_tileILi128ELi128ELi32ELi1ELb1EEvPKcS1_S1_S1_S1_PKiPfP15HIP_vector_typeIfLj2EEffffjfiS5_IjLj3EEiiiiiiiiiiiliiliiiiil
	.p2align	8
	.type	_ZL15flash_attn_tileILi128ELi128ELi32ELi1ELb1EEvPKcS1_S1_S1_S1_PKiPfP15HIP_vector_typeIfLj2EEffffjfiS5_IjLj3EEiiiiiiiiiiiliiliiiiil,@function
_ZL15flash_attn_tileILi128ELi128ELi32ELi1ELb1EEvPKcS1_S1_S1_S1_PKiPfP15HIP_vector_typeIfLj2EEffffjfiS5_IjLj3EEiiiiiiiiiiiliiliiiiil: ; @_ZL15flash_attn_tileILi128ELi128ELi32ELi1ELb1EEvPKcS1_S1_S1_S1_PKiPfP15HIP_vector_typeIfLj2EEffffjfiS5_IjLj3EEiiiiiiiiiiiliiliiiiil
; %bb.0:
	s_add_u32 s6, s6, s11
	s_addc_u32 s7, s7, 0
	s_setreg_b32 hwreg(HW_REG_FLAT_SCR_LO), s6
	s_setreg_b32 hwreg(HW_REG_FLAT_SCR_HI), s7
	s_clause 0x1
	s_load_dwordx4 s[28:31], s[4:5], 0x5c
	s_load_dwordx2 s[48:49], s[4:5], 0x80
	s_add_u32 s0, s0, s11
	s_addc_u32 s1, s1, 0
	s_mov_b32 s34, s9
	s_load_dwordx2 s[50:51], s[4:5], 0xb8
	s_mov_b64 s[46:47], 0
	s_waitcnt lgkmcnt(0)
	v_cvt_f32_u32_e32 v2, s31
	s_sub_i32 s7, 0, s31
	v_rcp_iflag_f32_e32 v2, v2
	v_mul_f32_e32 v2, 0x4f7ffffe, v2
	v_cvt_u32_f32_e32 v2, v2
	v_readfirstlane_b32 s6, v2
	s_mul_i32 s7, s7, s6
	s_mul_hi_u32 s7, s6, s7
	s_add_i32 s6, s6, s7
	s_mul_hi_u32 s6, s10, s6
	s_mul_i32 s7, s6, s31
	s_add_i32 s9, s6, 1
	s_sub_i32 s7, s10, s7
	s_sub_i32 s11, s7, s31
	s_cmp_ge_u32 s7, s31
	s_cselect_b32 s6, s9, s6
	s_cselect_b32 s7, s11, s7
	s_add_i32 s9, s6, 1
	s_cmp_ge_u32 s7, s31
	s_cselect_b32 s33, s9, s6
	s_abs_i32 s6, s49
	s_abs_i32 s12, s31
	v_cvt_f32_u32_e32 v2, s6
	s_sub_i32 s9, 0, s6
	s_mul_i32 s11, s33, s31
	s_sub_i32 s44, s10, s11
	v_rcp_iflag_f32_e32 v2, v2
	v_mul_f32_e32 v2, 0x4f7ffffe, v2
	v_cvt_u32_f32_e32 v2, v2
	v_readfirstlane_b32 s7, v2
	s_mul_i32 s9, s9, s7
	s_mul_hi_u32 s9, s7, s9
	s_add_i32 s7, s7, s9
	s_xor_b32 s9, s31, s49
	s_mul_hi_u32 s7, s12, s7
	s_ashr_i32 s9, s9, 31
	s_mul_i32 s10, s7, s6
	s_add_i32 s11, s7, 1
	s_sub_i32 s10, s12, s10
	s_sub_i32 s12, s10, s6
	s_cmp_ge_u32 s10, s6
	s_cselect_b32 s7, s11, s7
	s_cselect_b32 s10, s12, s10
	s_add_i32 s11, s7, 1
	s_cmp_ge_u32 s10, s6
	s_load_dwordx16 s[12:27], s[4:5], 0x0
	s_cselect_b32 s6, s11, s7
	s_abs_i32 s52, s44
	s_xor_b32 s6, s6, s9
	s_sub_i32 s10, s6, s9
	s_abs_i32 s49, s10
	v_cvt_f32_u32_e32 v2, s49
	s_sub_i32 s7, 0, s49
	v_rcp_iflag_f32_e32 v2, v2
	v_mul_f32_e32 v2, 0x4f7ffffe, v2
	v_cvt_u32_f32_e32 v2, v2
	v_readfirstlane_b32 s6, v2
	s_mul_i32 s7, s7, s6
	s_mul_hi_u32 s7, s6, s7
	s_add_i32 s6, s6, s7
	s_waitcnt lgkmcnt(0)
	s_cmp_eq_u64 s[18:19], 0
	s_cbranch_scc1 .LBB87_2
; %bb.1:
	s_abs_i32 s7, s50
	s_abs_i32 s35, s33
	v_cvt_f32_u32_e32 v2, s7
	s_sub_i32 s11, 0, s7
	s_load_dwordx2 s[36:37], s[4:5], 0xc8
	v_rcp_iflag_f32_e32 v2, v2
	v_mul_f32_e32 v2, 0x4f7ffffe, v2
	v_cvt_u32_f32_e32 v2, v2
	v_readfirstlane_b32 s9, v2
	s_mul_i32 s11, s11, s9
	s_mul_hi_u32 s11, s9, s11
	s_add_i32 s9, s9, s11
	s_ashr_i32 s11, s33, 31
	s_mul_hi_u32 s9, s35, s9
	s_mul_i32 s9, s9, s7
	s_sub_i32 s9, s35, s9
	s_sub_i32 s35, s9, s7
	s_cmp_ge_u32 s9, s7
	s_cselect_b32 s9, s35, s9
	s_sub_i32 s35, s9, s7
	s_cmp_ge_u32 s9, s7
	s_cselect_b32 s7, s35, s9
	s_xor_b32 s7, s7, s11
	s_sub_i32 s7, s7, s11
	s_ashr_i32 s9, s7, 31
	s_waitcnt lgkmcnt(0)
	s_mul_hi_u32 s11, s36, s7
	s_mul_i32 s9, s36, s9
	s_add_i32 s9, s11, s9
	s_mul_i32 s11, s37, s7
	s_mul_i32 s7, s36, s7
	s_add_i32 s9, s9, s11
	s_add_u32 s46, s18, s7
	s_addc_u32 s47, s19, s9
.LBB87_2:
	s_clause 0x1
	s_load_dwordx4 s[36:39], s[4:5], 0x40
	s_load_dwordx2 s[18:19], s[4:5], 0x50
	v_mov_b32_e32 v40, 1.0
	s_waitcnt lgkmcnt(0)
	v_cmp_le_f32_e64 s7, s37, 0
	s_mul_hi_u32 s37, s52, s6
	s_and_b32 vcc_lo, exec_lo, s7
	s_cbranch_vccnz .LBB87_4
; %bb.3:
	v_sub_co_u32 v3, vcc_lo, s44, s18
	v_mov_b32_e32 v2, s38
	s_add_i32 s6, s44, 1
	v_lshlrev_b32_e32 v3, 1, v3
	v_cndmask_b32_e32 v2, s39, v2, vcc_lo
	v_or_b32_e32 v3, 1, v3
	v_cndmask_b32_e64 v3, v3, s6, vcc_lo
	v_cmp_neq_f32_e32 vcc_lo, 1.0, v2
	s_mov_b32 s6, 0x3e76c4e1
	v_cvt_f32_i32_e32 v3, v3
	v_cndmask_b32_e32 v4, 1.0, v3, vcc_lo
	v_cmp_neq_f32_e32 vcc_lo, 0, v4
	v_cndmask_b32_e32 v5, 1.0, v2, vcc_lo
	v_frexp_mant_f32_e64 v2, |v5|
	v_cmp_eq_f32_e64 s9, 0, v5
	v_cmp_gt_f32_e32 vcc_lo, 0x3f2aaaab, v2
	v_cndmask_b32_e64 v3, 1.0, 2.0, vcc_lo
	v_mul_f32_e32 v2, v2, v3
	v_add_f32_e32 v3, 1.0, v2
	v_add_f32_e32 v7, -1.0, v2
	v_rcp_f32_e32 v6, v3
	v_add_f32_e32 v9, -1.0, v3
	v_sub_f32_e32 v2, v2, v9
	v_mul_f32_e32 v8, v7, v6
	v_mul_f32_e32 v10, v3, v8
	v_fma_f32 v3, v8, v3, -v10
	v_fmac_f32_e32 v3, v8, v2
	v_add_f32_e32 v2, v10, v3
	v_sub_f32_e32 v9, v7, v2
	v_sub_f32_e32 v10, v2, v10
	;; [unrolled: 1-line block ×5, first 2 shown]
	v_add_f32_e32 v2, v3, v2
	v_add_f32_e32 v2, v9, v2
	v_mul_f32_e32 v2, v6, v2
	v_add_f32_e32 v6, v8, v2
	v_sub_f32_e32 v3, v6, v8
	v_mul_f32_e32 v7, v6, v6
	v_sub_f32_e32 v8, v2, v3
	v_fma_f32 v2, v6, v6, -v7
	v_add_f32_e32 v3, v8, v8
	v_fmac_f32_e32 v2, v6, v3
	v_add_f32_e32 v9, v7, v2
	v_fmaak_f32 v3, s6, v9, 0x3e91f4c4
	v_sub_f32_e32 v7, v9, v7
	v_mul_f32_e32 v14, v6, v9
	v_fmaak_f32 v3, v9, v3, 0x3ecccdef
	v_sub_f32_e32 v7, v2, v7
	v_fma_f32 v15, v9, v6, -v14
	v_mul_f32_e32 v10, v9, v3
	v_fmac_f32_e32 v15, v9, v8
	v_ldexp_f32 v8, v8, 1
	v_fma_f32 v11, v9, v3, -v10
	v_fmac_f32_e32 v15, v7, v6
	v_fmac_f32_e32 v11, v7, v3
	v_cvt_f64_f32_e64 v[2:3], |v5|
	v_add_f32_e32 v12, v10, v11
	v_sub_f32_e32 v10, v12, v10
	v_add_f32_e32 v13, 0x3f2aaaaa, v12
	v_sub_f32_e32 v10, v11, v10
	v_add_f32_e32 v11, 0xbf2aaaaa, v13
	v_add_f32_e32 v10, 0x31739010, v10
	v_sub_f32_e32 v11, v12, v11
	v_frexp_exp_i32_f64_e32 v2, v[2:3]
	v_add_f32_e32 v9, v10, v11
	v_add_f32_e32 v10, v14, v15
	;; [unrolled: 1-line block ×3, first 2 shown]
	v_sub_f32_e32 v12, v10, v14
	v_sub_f32_e32 v3, v13, v7
	v_mul_f32_e32 v11, v10, v7
	v_sub_f32_e32 v12, v15, v12
	v_add_f32_e32 v3, v9, v3
	v_fma_f32 v9, v10, v7, -v11
	v_subrev_co_ci_u32_e64 v2, null, 0, v2, vcc_lo
	v_fmac_f32_e32 v9, v10, v3
	v_ldexp_f32 v3, v6, 1
	v_cvt_f32_i32_e32 v2, v2
	v_fmac_f32_e32 v9, v12, v7
	v_add_f32_e32 v6, v11, v9
	v_add_f32_e32 v7, v3, v6
	v_sub_f32_e32 v10, v6, v11
	v_mul_f32_e32 v11, 0x3f317218, v2
	v_sub_f32_e32 v3, v7, v3
	v_sub_f32_e32 v9, v9, v10
	v_fma_f32 v10, 0x3f317218, v2, -v11
	v_sub_f32_e32 v3, v6, v3
	v_add_f32_e32 v6, v8, v9
	v_fmamk_f32 v2, v2, 0xb102e308, v10
	v_add_f32_e32 v3, v6, v3
	v_add_f32_e32 v6, v11, v2
	;; [unrolled: 1-line block ×3, first 2 shown]
	v_sub_f32_e32 v11, v6, v11
	v_add_f32_e32 v9, v6, v8
	v_sub_f32_e32 v7, v8, v7
	v_sub_f32_e32 v2, v2, v11
	;; [unrolled: 1-line block ×6, first 2 shown]
	v_add_f32_e32 v8, v2, v3
	v_sub_f32_e32 v6, v6, v12
	v_add_f32_e32 v6, v7, v6
	v_sub_f32_e32 v7, v8, v2
	;; [unrolled: 2-line block ×3, first 2 shown]
	v_sub_f32_e32 v3, v3, v7
	v_add_f32_e32 v10, v9, v6
	v_sub_f32_e32 v2, v2, v8
	v_sub_f32_e32 v7, v10, v9
	v_add_f32_e32 v2, v3, v2
	v_sub_f32_e32 v3, v6, v7
	v_add_f32_e32 v2, v2, v3
	v_add_f32_e32 v3, v10, v2
	v_sub_f32_e32 v6, v3, v10
	v_mul_f32_e32 v7, v4, v3
	v_sub_f32_e32 v2, v2, v6
	v_fma_f32 v3, v4, v3, -v7
	v_cmp_class_f32_e64 vcc_lo, v7, 0x204
	v_fmac_f32_e32 v3, v4, v2
	v_add_f32_e32 v2, v7, v3
	v_cndmask_b32_e32 v6, v2, v7, vcc_lo
	v_sub_f32_e32 v2, v2, v7
	v_cmp_eq_f32_e32 vcc_lo, 0x42b17218, v6
	v_sub_f32_e32 v2, v3, v2
	v_cndmask_b32_e64 v8, 0, 0x37000000, vcc_lo
	v_cmp_neq_f32_e64 vcc_lo, 0x7f800000, |v6|
	v_sub_f32_e32 v9, v6, v8
	v_cndmask_b32_e32 v2, 0, v2, vcc_lo
	v_trunc_f32_e32 v6, v4
	v_mul_f32_e32 v10, 0x3fb8aa3b, v9
	v_cmp_ngt_f32_e32 vcc_lo, 0xc2ce8ed0, v9
	v_add_f32_e32 v2, v8, v2
	v_fma_f32 v11, 0x3fb8aa3b, v9, -v10
	v_rndne_f32_e32 v12, v10
	v_fmamk_f32 v11, v9, 0x32a5705f, v11
	v_sub_f32_e32 v10, v10, v12
	v_cvt_i32_f32_e32 v7, v12
	v_add_f32_e32 v10, v10, v11
	v_exp_f32_e32 v10, v10
	v_ldexp_f32 v3, v10, v7
	v_mul_f32_e32 v7, 0.5, v4
	v_cndmask_b32_e32 v3, 0, v3, vcc_lo
	v_cmp_nlt_f32_e32 vcc_lo, 0x42b17218, v9
	v_trunc_f32_e32 v10, v7
	v_cndmask_b32_e32 v3, 0x7f800000, v3, vcc_lo
	v_cmp_eq_f32_e32 vcc_lo, v6, v4
	v_cmp_neq_f32_e64 s6, v10, v7
	v_fma_f32 v2, v3, v2, v3
	v_cmp_class_f32_e64 s7, v3, 0x204
	s_and_b32 s6, vcc_lo, s6
	v_cndmask_b32_e64 v6, 1.0, v5, s6
	v_cndmask_b32_e64 v2, v2, v3, s7
	v_cmp_gt_f32_e64 s7, 0, v4
	v_bfi_b32 v2, 0x7fffffff, v2, v6
	s_xor_b32 s7, s7, s9
	v_cndmask_b32_e64 v6, 0, v5, s6
	v_cndmask_b32_e64 v3, 0x7f800000, 0, s7
	v_cmp_class_f32_e64 s6, v5, 0x204
	v_cndmask_b32_e32 v4, 0x7fc00000, v2, vcc_lo
	v_cmp_gt_f32_e32 vcc_lo, 0, v5
	v_bfi_b32 v3, 0x7fffffff, v3, v6
	v_cndmask_b32_e32 v2, v2, v4, vcc_lo
	s_or_b32 vcc_lo, s9, s6
	v_cndmask_b32_e32 v2, v2, v3, vcc_lo
	v_cmp_o_f32_e32 vcc_lo, v5, v5
	v_cndmask_b32_e32 v40, 0x7fc00000, v2, vcc_lo
.LBB87_4:
	v_lshlrev_b32_e32 v31, 2, v1
	s_lshl_b32 s18, s8, 5
	s_load_dwordx4 s[40:43], s[4:5], 0x70
	s_ashr_i32 s45, s44, 31
	s_ashr_i32 s38, s10, 31
	v_or_b32_e32 v29, 1, v31
	v_add_nc_u32_e32 v33, s18, v31
	v_or_b32_e32 v28, 2, v31
	v_or_b32_e32 v26, 3, v31
	v_lshlrev_b32_e32 v37, 3, v0
	v_add_nc_u32_e32 v34, s18, v29
	v_mul_hi_u32 v2, v33, s28
	v_add_nc_u32_e32 v30, s18, v28
	v_add_nc_u32_e32 v27, s18, v26
	v_lshlrev_b32_e32 v36, 10, v1
	v_mul_hi_u32 v3, v34, s28
	v_or_b32_e32 v18, 0x6800, v37
	v_mul_hi_u32 v4, v30, s28
	v_mul_hi_u32 v5, v27, s28
	v_add_nc_u32_e32 v2, v33, v2
	v_mov_b32_e32 v22, 0
	v_add_nc_u32_e32 v19, v18, v36
	s_waitcnt lgkmcnt(0)
	s_mul_i32 s6, s33, s42
	v_add_nc_u32_e32 v3, v34, v3
	v_lshrrev_b32_e32 v2, s29, v2
	v_add_nc_u32_e32 v4, v30, v4
	v_add_nc_u32_e32 v5, v27, v5
	s_mul_i32 s7, s44, s41
	v_lshrrev_b32_e32 v3, s29, v3
	v_mul_lo_u32 v2, v2, s30
	v_lshrrev_b32_e32 v4, s29, v4
	v_lshrrev_b32_e32 v5, s29, v5
	s_ashr_i32 s9, s6, 31
	v_mul_lo_u32 v6, v3, s30
	s_add_u32 s6, s12, s6
	v_mul_lo_u32 v4, v4, s30
	v_mul_lo_u32 v5, v5, s30
	s_addc_u32 s9, s13, s9
	s_ashr_i32 s10, s7, 31
	s_add_u32 s11, s6, s7
	v_sub_nc_u32_e32 v45, v33, v2
	v_sub_nc_u32_e32 v12, v34, v6
	s_addc_u32 s9, s9, s10
	s_ashr_i32 s41, s40, 31
	v_sub_nc_u32_e32 v13, v30, v4
	s_lshr_b64 s[6:7], s[40:41], 2
	v_sub_nc_u32_e32 v14, v27, v5
	v_mad_u64_u32 v[2:3], null, s6, v45, 0
	v_mad_u64_u32 v[4:5], null, s6, v12, 0
	;; [unrolled: 1-line block ×4, first 2 shown]
	s_lshr_b32 s6, s41, 2
	v_lshl_add_u32 v20, v29, 8, v18
	v_mad_u64_u32 v[8:9], null, s6, v45, v[3:4]
	v_mov_b32_e32 v3, v5
	v_mov_b32_e32 v5, v7
	;; [unrolled: 1-line block ×3, first 2 shown]
	v_lshlrev_b32_e32 v9, 4, v0
	v_lshl_add_u32 v21, v28, 8, v18
	v_mad_u64_u32 v[11:12], null, s6, v12, v[3:4]
	v_mad_u64_u32 v[12:13], null, s6, v13, v[5:6]
	v_mov_b32_e32 v3, v8
	v_add_co_u32 v16, s7, s11, v9
	v_mad_u64_u32 v[8:9], null, s6, v14, v[7:8]
	v_mov_b32_e32 v5, v11
	v_lshlrev_b64 v[2:3], 2, v[2:3]
	v_add_co_ci_u32_e64 v17, null, s9, 0, s7
	v_mov_b32_e32 v7, v12
	v_lshlrev_b64 v[4:5], 2, v[4:5]
	v_mov_b32_e32 v11, v8
	v_add_co_u32 v2, vcc_lo, v16, v2
	v_add_co_ci_u32_e64 v3, null, v17, v3, vcc_lo
	v_add_co_u32 v12, vcc_lo, v16, v4
	v_lshlrev_b64 v[14:15], 2, v[6:7]
	v_add_co_ci_u32_e64 v13, null, v17, v5, vcc_lo
	v_lshlrev_b64 v[10:11], 2, v[10:11]
	s_clause 0x1
	global_load_dwordx4 v[2:5], v[2:3], off
	global_load_dwordx4 v[6:9], v[12:13], off
	v_add_co_u32 v12, vcc_lo, v16, v14
	v_add_co_ci_u32_e64 v13, null, v17, v15, vcc_lo
	v_add_co_u32 v14, vcc_lo, v16, v10
	v_add_co_ci_u32_e64 v15, null, v17, v11, vcc_lo
	s_clause 0x1
	global_load_dwordx4 v[10:13], v[12:13], off
	global_load_dwordx4 v[14:17], v[14:15], off
	s_mov_b32 s7, 0
	v_lshl_add_u32 v18, v26, 8, v18
	s_cmp_eq_u64 s[22:23], 0
	s_waitcnt vmcnt(3)
	v_fma_mixlo_f16 v3, s36, v3, 0
	v_fma_mixlo_f16 v2, s36, v2, 0
	v_fma_mixlo_f16 v5, s36, v5, 0
	v_fma_mixlo_f16 v4, s36, v4, 0
	s_waitcnt vmcnt(2)
	v_fma_mixlo_f16 v6, s36, v6, 0
	v_lshlrev_b32_e32 v3, 16, v3
	v_and_b32_e32 v2, 0xffff, v2
	v_lshlrev_b32_e32 v5, 16, v5
	v_and_b32_e32 v4, 0xffff, v4
	v_fma_mixlo_f16 v7, s36, v7, 0
	v_fma_mixlo_f16 v8, s36, v8, 0
	;; [unrolled: 1-line block ×3, first 2 shown]
	s_waitcnt vmcnt(1)
	v_fma_mixlo_f16 v10, s36, v10, 0
	v_fma_mixlo_f16 v11, s36, v11, 0
	;; [unrolled: 1-line block ×4, first 2 shown]
	s_waitcnt vmcnt(0)
	v_fma_mixlo_f16 v14, s36, v14, 0
	v_fma_mixlo_f16 v15, s36, v15, 0
	v_or_b32_e32 v2, v3, v2
	v_or3_b32 v3, v5, v4, 0
	v_lshlrev_b32_e32 v4, 16, v7
	v_and_b32_e32 v5, 0xffff, v6
	v_lshlrev_b32_e32 v6, 16, v9
	v_and_b32_e32 v7, 0xffff, v8
	;; [unrolled: 2-line block ×3, first 2 shown]
	v_fma_mixlo_f16 v16, s36, v16, 0
	v_fma_mixlo_f16 v17, s36, v17, 0
	v_lshlrev_b32_e32 v10, 16, v13
	v_and_b32_e32 v11, 0xffff, v12
	v_lshlrev_b32_e32 v12, 16, v15
	v_and_b32_e32 v13, 0xffff, v14
	v_or_b32_e32 v4, v4, v5
	v_or3_b32 v5, v6, v7, 0
	v_or_b32_e32 v6, v8, v9
	v_lshlrev_b32_e32 v14, 16, v17
	v_and_b32_e32 v15, 0xffff, v16
	v_or_b32_e32 v8, v12, v13
	v_or3_b32 v2, 0, 0, v2
	v_or3_b32 v4, 0, 0, v4
	;; [unrolled: 1-line block ×6, first 2 shown]
	ds_write_b64 v19, v[2:3]
	ds_write_b64 v20, v[4:5]
	;; [unrolled: 1-line block ×4, first 2 shown]
	s_waitcnt lgkmcnt(0)
	s_barrier
	buffer_gl0_inv
	s_cbranch_scc1 .LBB87_6
; %bb.5:
	s_load_dword s6, s[4:5], 0xd0
	s_waitcnt lgkmcnt(0)
	s_mul_i32 s6, s6, s33
	s_add_i32 s6, s6, s8
	s_lshl_b64 s[6:7], s[6:7], 2
	s_add_u32 s6, s22, s6
	s_addc_u32 s7, s23, s7
	s_load_dword s48, s[6:7], 0x0
.LBB87_6:
	s_clause 0x1
	s_load_dwordx2 s[6:7], s[4:5], 0x8c
	s_load_dwordx4 s[8:11], s[4:5], 0x98
	s_ashr_i32 s36, s33, 31
	s_load_dwordx2 s[12:13], s[4:5], 0xa8
	s_ashr_i32 s23, s51, 1
	s_mul_i32 s39, s37, s49
	v_lshlrev_b32_e32 v32, 2, v0
	v_lshrrev_b32_e32 v56, 3, v0
	v_mul_u32_u24_e32 v46, 0x90, v0
	v_or_b32_e32 v44, 1, v33
	v_or_b32_e32 v43, 2, v33
	;; [unrolled: 1-line block ×3, first 2 shown]
	v_and_b32_e32 v55, 28, v32
	v_add_nc_u32_e32 v41, 0x4800, v36
	v_lshrrev_b32_e32 v38, 4, v0
	v_and_b32_e32 v39, 60, v32
	v_mbcnt_lo_u32_b32 v35, -1, 0
	s_waitcnt lgkmcnt(0)
	s_ashr_i32 s35, s6, 2
	s_ashr_i32 s22, s10, 2
	s_mul_hi_u32 s6, s8, s33
	s_mul_i32 s10, s8, s36
	s_mul_i32 s9, s9, s33
	s_add_i32 s6, s6, s10
	s_mul_i32 s8, s8, s33
	s_add_i32 s6, s6, s9
	s_add_u32 s8, s14, s8
	s_addc_u32 s6, s15, s6
	s_sub_i32 s10, s52, s39
	s_xor_b32 s9, s45, s38
	s_add_i32 s14, s37, 1
	s_sub_i32 s15, s10, s49
	s_cmp_ge_u32 s10, s49
	s_mul_i32 s13, s13, s33
	s_cselect_b32 s14, s14, s37
	s_cselect_b32 s10, s15, s10
	s_add_i32 s15, s14, 1
	s_cmp_ge_u32 s10, s49
	s_cselect_b32 s10, s15, s14
	s_mul_hi_u32 s14, s12, s33
	s_xor_b32 s10, s10, s9
	s_mul_i32 s15, s12, s36
	s_sub_i32 s10, s10, s9
	s_mul_i32 s12, s12, s33
	s_mul_i32 s7, s10, s7
	;; [unrolled: 1-line block ×3, first 2 shown]
	s_ashr_i32 s9, s7, 31
	s_add_u32 s8, s8, s7
	s_addc_u32 s9, s6, s9
	s_add_i32 s6, s14, s15
	s_add_i32 s6, s6, s13
	s_add_u32 s7, s16, s12
	s_addc_u32 s6, s17, s6
	s_ashr_i32 s12, s10, 31
	s_add_u32 s11, s7, s10
	s_addc_u32 s14, s6, s12
	s_lshl_b32 s10, s34, 7
	s_add_i32 s12, s48, 0xffffff80
	s_cmp_ge_i32 s10, s12
	s_cbranch_scc1 .LBB87_110
; %bb.7:
	v_add_nc_u32_e32 v3, v56, v31
	v_lshlrev_b32_e32 v4, 2, v55
	s_lshl_b32 s6, s35, 5
	v_mul_hi_u32 v5, s28, v44
	v_mul_hi_u32 v6, s28, v43
	v_mul_lo_u32 v2, s35, v3
	v_mul_hi_u32 v7, s28, v42
	v_lshl_add_u32 v8, v1, 1, v38
	v_mad_u32_u24 v58, 0x90, v3, v4
	s_cmp_lg_u64 s[46:47], 0
	v_lshlrev_b32_e32 v15, 2, v39
	v_add_nc_u32_e32 v5, v44, v5
	v_mul_lo_u32 v14, s22, v8
	v_add_nc_u32_e32 v4, s6, v2
	v_add_nc_u32_e32 v6, v43, v6
	;; [unrolled: 1-line block ×3, first 2 shown]
	s_cselect_b32 s13, -1, 0
	v_lshrrev_b32_e32 v9, s29, v5
	v_add_nc_u32_e32 v10, s6, v4
	v_lshrrev_b32_e32 v6, s29, v6
	v_lshrrev_b32_e32 v7, s29, v7
	v_ashrrev_i32_e32 v3, 31, v2
	v_mul_lo_u32 v9, v9, s30
	v_add_nc_u32_e32 v12, s6, v10
	s_lshl_b32 s6, s22, 4
	v_mul_lo_u32 v6, v6, s30
	v_add_nc_u32_e32 v16, s6, v14
	v_mul_lo_u32 v7, v7, s30
	v_ashrrev_i32_e32 v5, 31, v4
	v_ashrrev_i32_e32 v11, 31, v10
	v_sub_nc_u32_e32 v9, v44, v9
	v_add_nc_u32_e32 v18, s6, v16
	v_ashrrev_i32_e32 v13, 31, v12
	v_sub_nc_u32_e32 v6, v43, v6
	v_lshl_or_b32 v64, v8, 8, v15
	v_sub_nc_u32_e32 v7, v42, v7
	v_add_nc_u32_e32 v20, s6, v18
	v_ashrrev_i32_e32 v15, 31, v14
	v_ashrrev_i32_e32 v17, 31, v16
	;; [unrolled: 1-line block ×3, first 2 shown]
	v_mul_lo_u32 v62, v45, s23
	v_ashrrev_i32_e32 v21, 31, v20
	v_mul_lo_u32 v63, v9, s23
	v_mul_lo_u32 v65, v6, s23
	;; [unrolled: 1-line block ×3, first 2 shown]
	v_lshlrev_b64 v[6:7], 2, v[2:3]
	v_lshlrev_b64 v[8:9], 2, v[4:5]
	;; [unrolled: 1-line block ×8, first 2 shown]
	v_mov_b32_e32 v50, 0
	v_add_nc_u32_e32 v57, 0x6800, v36
	v_add_nc_u32_e32 v59, 0x1200, v58
	v_add_nc_u32_e32 v60, 0x2400, v58
	v_add_nc_u32_e32 v61, 0x3600, v58
	v_add_nc_u32_e32 v67, 0x1000, v64
	v_add_nc_u32_e32 v68, 0x2000, v64
	v_add_nc_u32_e32 v69, 0x3000, v64
	v_mov_b32_e32 v81, 0xfeffffff
	v_lshlrev_b32_e32 v70, 2, v55
	v_lshlrev_b32_e32 v71, 2, v39
	v_mbcnt_lo_u32_b32 v72, -1, 0
	v_mov_b32_e32 v73, 0x10001
	v_mov_b32_e32 v51, 0
	;; [unrolled: 1-line block ×15, first 2 shown]
	s_add_u32 s6, s4, 0xd0
	s_addc_u32 s7, s5, 0
	s_mov_b32 s15, 0xbbbac73d
.LBB87_8:                               ; =>This Inner Loop Header: Depth=1
	s_mul_hi_i32 s17, s10, s35
	s_mul_i32 s16, s10, s35
	v_mov_b32_e32 v94, 0
	s_lshl_b64 s[16:17], s[16:17], 2
	v_mov_b32_e32 v90, 0
	s_add_u32 s16, s8, s16
	s_addc_u32 s17, s9, s17
	v_add_co_u32 v2, vcc_lo, s16, v6
	v_add_co_ci_u32_e64 v3, null, s17, v7, vcc_lo
	v_add_co_u32 v4, vcc_lo, s16, v8
	v_add_co_ci_u32_e64 v5, null, s17, v9, vcc_lo
	;; [unrolled: 2-line block ×8, first 2 shown]
	s_clause 0x3
	global_load_dwordx4 v[82:85], v[2:3], off
	global_load_dwordx4 v[95:98], v[4:5], off
	;; [unrolled: 1-line block ×4, first 2 shown]
	v_mov_b32_e32 v86, 0
	v_mov_b32_e32 v91, 0
	v_mov_b32_e32 v87, 0
	v_mov_b32_e32 v92, 0
	v_mov_b32_e32 v88, 0
	v_mov_b32_e32 v93, 0
	v_mov_b32_e32 v89, 0
	s_waitcnt vmcnt(3)
	ds_write_b128 v58, v[82:85]
	s_waitcnt vmcnt(2)
	ds_write_b128 v59, v[95:98]
	;; [unrolled: 2-line block ×4, first 2 shown]
	s_waitcnt lgkmcnt(0)
	s_barrier
	buffer_gl0_inv
	ds_read_b128 v[98:101], v46
	ds_read_b128 v[102:105], v57
	ds_read_b128 v[106:109], v57 offset:256
	ds_read_b128 v[118:121], v46 offset:4608
	ds_read_b128 v[110:113], v57 offset:512
	ds_read_b128 v[114:117], v57 offset:768
	ds_read_b128 v[122:125], v46 offset:9216
	ds_read_b128 v[126:129], v46 offset:13824
	s_waitcnt lgkmcnt(6)
	;;#ASMSTART
	v_dot2_f32_f16 v94, v98, v102, v94
	;;#ASMEND
	;;#ASMSTART
	v_dot2_f32_f16 v94, v99, v103, v94
	;;#ASMEND
	;; [unrolled: 3-line block ×4, first 2 shown]
	s_waitcnt lgkmcnt(5)
	;;#ASMSTART
	v_dot2_f32_f16 v90, v98, v106, v90
	;;#ASMEND
	;;#ASMSTART
	v_dot2_f32_f16 v90, v99, v107, v90
	;;#ASMEND
	;;#ASMSTART
	v_dot2_f32_f16 v90, v100, v108, v90
	;;#ASMEND
	;;#ASMSTART
	v_dot2_f32_f16 v90, v101, v109, v90
	;;#ASMEND
	s_waitcnt lgkmcnt(3)
	;;#ASMSTART
	v_dot2_f32_f16 v86, v98, v110, v86
	;;#ASMEND
	;;#ASMSTART
	v_dot2_f32_f16 v86, v99, v111, v86
	;;#ASMEND
	v_mov_b32_e32 v82, 0
	;;#ASMSTART
	v_dot2_f32_f16 v86, v100, v112, v86
	;;#ASMEND
	;;#ASMSTART
	v_dot2_f32_f16 v86, v101, v113, v86
	;;#ASMEND
	s_waitcnt lgkmcnt(2)
	;;#ASMSTART
	v_dot2_f32_f16 v82, v98, v114, v82
	;;#ASMEND
	;;#ASMSTART
	v_dot2_f32_f16 v82, v99, v115, v82
	;;#ASMEND
	v_mov_b32_e32 v95, 0
	;;#ASMSTART
	v_dot2_f32_f16 v82, v100, v116, v82
	;;#ASMEND
	;;#ASMSTART
	v_dot2_f32_f16 v82, v101, v117, v82
	;;#ASMEND
	;; [unrolled: 3-line block ×12, first 2 shown]
	v_mov_b32_e32 v83, 0
	;;#ASMSTART
	v_dot2_f32_f16 v87, v120, v112, v87
	;;#ASMEND
	;;#ASMSTART
	v_dot2_f32_f16 v87, v121, v113, v87
	;;#ASMEND
	;; [unrolled: 3-line block ×4, first 2 shown]
	v_mov_b32_e32 v96, 0
	;;#ASMSTART
	v_dot2_f32_f16 v83, v120, v116, v83
	;;#ASMEND
	;;#ASMSTART
	v_dot2_f32_f16 v83, v121, v117, v83
	;;#ASMEND
	s_waitcnt lgkmcnt(1)
	;;#ASMSTART
	v_dot2_f32_f16 v96, v122, v102, v96
	;;#ASMEND
	;;#ASMSTART
	v_dot2_f32_f16 v96, v123, v103, v96
	;;#ASMEND
	;;#ASMSTART
	v_dot2_f32_f16 v96, v124, v104, v96
	;;#ASMEND
	;;#ASMSTART
	v_dot2_f32_f16 v96, v125, v105, v96
	;;#ASMEND
	;;#ASMSTART
	v_dot2_f32_f16 v92, v122, v106, v92
	;;#ASMEND
	;;#ASMSTART
	v_dot2_f32_f16 v92, v123, v107, v92
	;;#ASMEND
	;;#ASMSTART
	v_dot2_f32_f16 v92, v124, v108, v92
	;;#ASMEND
	;;#ASMSTART
	v_dot2_f32_f16 v92, v125, v109, v92
	;;#ASMEND
	;;#ASMSTART
	v_dot2_f32_f16 v88, v122, v110, v88
	;;#ASMEND
	;;#ASMSTART
	v_dot2_f32_f16 v88, v123, v111, v88
	;;#ASMEND
	v_mov_b32_e32 v84, 0
	;;#ASMSTART
	v_dot2_f32_f16 v88, v124, v112, v88
	;;#ASMEND
	;;#ASMSTART
	v_dot2_f32_f16 v88, v125, v113, v88
	;;#ASMEND
	;; [unrolled: 3-line block ×4, first 2 shown]
	v_mov_b32_e32 v97, 0
	;;#ASMSTART
	v_dot2_f32_f16 v84, v124, v116, v84
	;;#ASMEND
	;;#ASMSTART
	v_dot2_f32_f16 v84, v125, v117, v84
	;;#ASMEND
	s_waitcnt lgkmcnt(0)
	;;#ASMSTART
	v_dot2_f32_f16 v97, v126, v102, v97
	;;#ASMEND
	;;#ASMSTART
	v_dot2_f32_f16 v97, v127, v103, v97
	;;#ASMEND
	;; [unrolled: 3-line block ×10, first 2 shown]
	v_mov_b32_e32 v85, 0
	;;#ASMSTART
	v_dot2_f32_f16 v89, v128, v112, v89
	;;#ASMEND
	;;#ASMSTART
	v_dot2_f32_f16 v89, v129, v113, v89
	;;#ASMEND
	;; [unrolled: 3-line block ×6, first 2 shown]
	ds_read_b128 v[98:101], v46 offset:16
	ds_read_b128 v[102:105], v57 offset:16
	;; [unrolled: 1-line block ×8, first 2 shown]
	s_waitcnt lgkmcnt(6)
	;;#ASMSTART
	v_dot2_f32_f16 v94, v98, v102, v94
	;;#ASMEND
	;;#ASMSTART
	v_dot2_f32_f16 v94, v99, v103, v94
	;;#ASMEND
	;;#ASMSTART
	v_dot2_f32_f16 v94, v100, v104, v94
	;;#ASMEND
	;;#ASMSTART
	v_dot2_f32_f16 v94, v101, v105, v94
	;;#ASMEND
	s_waitcnt lgkmcnt(5)
	;;#ASMSTART
	v_dot2_f32_f16 v90, v98, v106, v90
	;;#ASMEND
	;;#ASMSTART
	v_dot2_f32_f16 v90, v99, v107, v90
	;;#ASMEND
	;;#ASMSTART
	v_dot2_f32_f16 v90, v100, v108, v90
	;;#ASMEND
	;;#ASMSTART
	v_dot2_f32_f16 v90, v101, v109, v90
	;;#ASMEND
	;; [unrolled: 13-line block ×5, first 2 shown]
	;;#ASMSTART
	v_dot2_f32_f16 v91, v118, v106, v91
	;;#ASMEND
	;;#ASMSTART
	v_dot2_f32_f16 v91, v119, v107, v91
	;;#ASMEND
	;; [unrolled: 3-line block ×12, first 2 shown]
	s_waitcnt lgkmcnt(1)
	;;#ASMSTART
	v_dot2_f32_f16 v96, v122, v102, v96
	;;#ASMEND
	;;#ASMSTART
	v_dot2_f32_f16 v96, v123, v103, v96
	;;#ASMEND
	;; [unrolled: 3-line block ×16, first 2 shown]
	s_waitcnt lgkmcnt(0)
	;;#ASMSTART
	v_dot2_f32_f16 v97, v126, v102, v97
	;;#ASMEND
	;;#ASMSTART
	v_dot2_f32_f16 v97, v127, v103, v97
	;;#ASMEND
	;; [unrolled: 3-line block ×16, first 2 shown]
	ds_read_b128 v[98:101], v46 offset:32
	ds_read_b128 v[102:105], v57 offset:32
	;; [unrolled: 1-line block ×8, first 2 shown]
	s_waitcnt lgkmcnt(6)
	;;#ASMSTART
	v_dot2_f32_f16 v94, v98, v102, v94
	;;#ASMEND
	;;#ASMSTART
	v_dot2_f32_f16 v94, v99, v103, v94
	;;#ASMEND
	;;#ASMSTART
	v_dot2_f32_f16 v94, v100, v104, v94
	;;#ASMEND
	;;#ASMSTART
	v_dot2_f32_f16 v94, v101, v105, v94
	;;#ASMEND
	s_waitcnt lgkmcnt(5)
	;;#ASMSTART
	v_dot2_f32_f16 v90, v98, v106, v90
	;;#ASMEND
	;;#ASMSTART
	v_dot2_f32_f16 v90, v99, v107, v90
	;;#ASMEND
	;;#ASMSTART
	v_dot2_f32_f16 v90, v100, v108, v90
	;;#ASMEND
	;;#ASMSTART
	v_dot2_f32_f16 v90, v101, v109, v90
	;;#ASMEND
	;; [unrolled: 13-line block ×5, first 2 shown]
	;;#ASMSTART
	v_dot2_f32_f16 v91, v118, v106, v91
	;;#ASMEND
	;;#ASMSTART
	v_dot2_f32_f16 v91, v119, v107, v91
	;;#ASMEND
	;; [unrolled: 3-line block ×12, first 2 shown]
	s_waitcnt lgkmcnt(1)
	;;#ASMSTART
	v_dot2_f32_f16 v96, v122, v102, v96
	;;#ASMEND
	;;#ASMSTART
	v_dot2_f32_f16 v96, v123, v103, v96
	;;#ASMEND
	;; [unrolled: 3-line block ×16, first 2 shown]
	s_waitcnt lgkmcnt(0)
	;;#ASMSTART
	v_dot2_f32_f16 v97, v126, v102, v97
	;;#ASMEND
	;;#ASMSTART
	v_dot2_f32_f16 v97, v127, v103, v97
	;;#ASMEND
	;; [unrolled: 3-line block ×16, first 2 shown]
	ds_read_b128 v[98:101], v46 offset:48
	ds_read_b128 v[102:105], v57 offset:48
	;; [unrolled: 1-line block ×8, first 2 shown]
	s_waitcnt lgkmcnt(6)
	;;#ASMSTART
	v_dot2_f32_f16 v94, v98, v102, v94
	;;#ASMEND
	;;#ASMSTART
	v_dot2_f32_f16 v94, v99, v103, v94
	;;#ASMEND
	;;#ASMSTART
	v_dot2_f32_f16 v94, v100, v104, v94
	;;#ASMEND
	;;#ASMSTART
	v_dot2_f32_f16 v94, v101, v105, v94
	;;#ASMEND
	s_waitcnt lgkmcnt(5)
	;;#ASMSTART
	v_dot2_f32_f16 v90, v98, v106, v90
	;;#ASMEND
	;;#ASMSTART
	v_dot2_f32_f16 v90, v99, v107, v90
	;;#ASMEND
	;;#ASMSTART
	v_dot2_f32_f16 v90, v100, v108, v90
	;;#ASMEND
	;;#ASMSTART
	v_dot2_f32_f16 v90, v101, v109, v90
	;;#ASMEND
	;; [unrolled: 13-line block ×5, first 2 shown]
	;;#ASMSTART
	v_dot2_f32_f16 v91, v118, v106, v91
	;;#ASMEND
	;;#ASMSTART
	v_dot2_f32_f16 v91, v119, v107, v91
	;;#ASMEND
	;; [unrolled: 3-line block ×12, first 2 shown]
	s_waitcnt lgkmcnt(1)
	;;#ASMSTART
	v_dot2_f32_f16 v96, v122, v102, v96
	;;#ASMEND
	;;#ASMSTART
	v_dot2_f32_f16 v96, v123, v103, v96
	;;#ASMEND
	;; [unrolled: 3-line block ×16, first 2 shown]
	s_waitcnt lgkmcnt(0)
	;;#ASMSTART
	v_dot2_f32_f16 v97, v126, v102, v97
	;;#ASMEND
	;;#ASMSTART
	v_dot2_f32_f16 v97, v127, v103, v97
	;;#ASMEND
	;; [unrolled: 3-line block ×16, first 2 shown]
	ds_read_b128 v[98:101], v46 offset:64
	ds_read_b128 v[102:105], v57 offset:64
	;; [unrolled: 1-line block ×8, first 2 shown]
	s_waitcnt lgkmcnt(6)
	;;#ASMSTART
	v_dot2_f32_f16 v94, v98, v102, v94
	;;#ASMEND
	;;#ASMSTART
	v_dot2_f32_f16 v94, v99, v103, v94
	;;#ASMEND
	;;#ASMSTART
	v_dot2_f32_f16 v94, v100, v104, v94
	;;#ASMEND
	;;#ASMSTART
	v_dot2_f32_f16 v94, v101, v105, v94
	;;#ASMEND
	s_waitcnt lgkmcnt(5)
	;;#ASMSTART
	v_dot2_f32_f16 v90, v98, v106, v90
	;;#ASMEND
	;;#ASMSTART
	v_dot2_f32_f16 v90, v99, v107, v90
	;;#ASMEND
	;;#ASMSTART
	v_dot2_f32_f16 v90, v100, v108, v90
	;;#ASMEND
	;;#ASMSTART
	v_dot2_f32_f16 v90, v101, v109, v90
	;;#ASMEND
	;; [unrolled: 13-line block ×5, first 2 shown]
	;;#ASMSTART
	v_dot2_f32_f16 v91, v118, v106, v91
	;;#ASMEND
	;;#ASMSTART
	v_dot2_f32_f16 v91, v119, v107, v91
	;;#ASMEND
	;; [unrolled: 3-line block ×12, first 2 shown]
	s_waitcnt lgkmcnt(1)
	;;#ASMSTART
	v_dot2_f32_f16 v96, v122, v102, v96
	;;#ASMEND
	;;#ASMSTART
	v_dot2_f32_f16 v96, v123, v103, v96
	;;#ASMEND
	;; [unrolled: 3-line block ×16, first 2 shown]
	s_waitcnt lgkmcnt(0)
	;;#ASMSTART
	v_dot2_f32_f16 v97, v126, v102, v97
	;;#ASMEND
	;;#ASMSTART
	v_dot2_f32_f16 v97, v127, v103, v97
	;;#ASMEND
	;; [unrolled: 3-line block ×16, first 2 shown]
	ds_read_b128 v[98:101], v46 offset:80
	ds_read_b128 v[102:105], v57 offset:80
	;; [unrolled: 1-line block ×8, first 2 shown]
	s_waitcnt lgkmcnt(6)
	;;#ASMSTART
	v_dot2_f32_f16 v94, v98, v102, v94
	;;#ASMEND
	;;#ASMSTART
	v_dot2_f32_f16 v94, v99, v103, v94
	;;#ASMEND
	;;#ASMSTART
	v_dot2_f32_f16 v94, v100, v104, v94
	;;#ASMEND
	;;#ASMSTART
	v_dot2_f32_f16 v94, v101, v105, v94
	;;#ASMEND
	s_waitcnt lgkmcnt(5)
	;;#ASMSTART
	v_dot2_f32_f16 v90, v98, v106, v90
	;;#ASMEND
	;;#ASMSTART
	v_dot2_f32_f16 v90, v99, v107, v90
	;;#ASMEND
	;;#ASMSTART
	v_dot2_f32_f16 v90, v100, v108, v90
	;;#ASMEND
	;;#ASMSTART
	v_dot2_f32_f16 v90, v101, v109, v90
	;;#ASMEND
	;; [unrolled: 13-line block ×5, first 2 shown]
	;;#ASMSTART
	v_dot2_f32_f16 v91, v118, v106, v91
	;;#ASMEND
	;;#ASMSTART
	v_dot2_f32_f16 v91, v119, v107, v91
	;;#ASMEND
	;;#ASMSTART
	v_dot2_f32_f16 v91, v120, v108, v91
	;;#ASMEND
	;;#ASMSTART
	v_dot2_f32_f16 v91, v121, v109, v91
	;;#ASMEND
	;;#ASMSTART
	v_dot2_f32_f16 v87, v118, v110, v87
	;;#ASMEND
	;;#ASMSTART
	v_dot2_f32_f16 v87, v119, v111, v87
	;;#ASMEND
	;;#ASMSTART
	v_dot2_f32_f16 v87, v120, v112, v87
	;;#ASMEND
	;;#ASMSTART
	v_dot2_f32_f16 v87, v121, v113, v87
	;;#ASMEND
	;;#ASMSTART
	v_dot2_f32_f16 v83, v118, v114, v83
	;;#ASMEND
	;;#ASMSTART
	v_dot2_f32_f16 v83, v119, v115, v83
	;;#ASMEND
	;;#ASMSTART
	v_dot2_f32_f16 v83, v120, v116, v83
	;;#ASMEND
	;;#ASMSTART
	v_dot2_f32_f16 v83, v121, v117, v83
	;;#ASMEND
	s_waitcnt lgkmcnt(1)
	;;#ASMSTART
	v_dot2_f32_f16 v96, v122, v102, v96
	;;#ASMEND
	;;#ASMSTART
	v_dot2_f32_f16 v96, v123, v103, v96
	;;#ASMEND
	;; [unrolled: 3-line block ×16, first 2 shown]
	s_waitcnt lgkmcnt(0)
	;;#ASMSTART
	v_dot2_f32_f16 v97, v126, v102, v97
	;;#ASMEND
	;;#ASMSTART
	v_dot2_f32_f16 v97, v127, v103, v97
	;;#ASMEND
	;; [unrolled: 3-line block ×16, first 2 shown]
	ds_read_b128 v[98:101], v46 offset:96
	ds_read_b128 v[102:105], v57 offset:96
	;; [unrolled: 1-line block ×8, first 2 shown]
	s_waitcnt lgkmcnt(6)
	;;#ASMSTART
	v_dot2_f32_f16 v94, v98, v102, v94
	;;#ASMEND
	;;#ASMSTART
	v_dot2_f32_f16 v94, v99, v103, v94
	;;#ASMEND
	;;#ASMSTART
	v_dot2_f32_f16 v94, v100, v104, v94
	;;#ASMEND
	;;#ASMSTART
	v_dot2_f32_f16 v94, v101, v105, v94
	;;#ASMEND
	s_waitcnt lgkmcnt(5)
	;;#ASMSTART
	v_dot2_f32_f16 v90, v98, v106, v90
	;;#ASMEND
	;;#ASMSTART
	v_dot2_f32_f16 v90, v99, v107, v90
	;;#ASMEND
	;;#ASMSTART
	v_dot2_f32_f16 v90, v100, v108, v90
	;;#ASMEND
	;;#ASMSTART
	v_dot2_f32_f16 v90, v101, v109, v90
	;;#ASMEND
	s_waitcnt lgkmcnt(4)
	;;#ASMSTART
	v_dot2_f32_f16 v86, v98, v110, v86
	;;#ASMEND
	;;#ASMSTART
	v_dot2_f32_f16 v86, v99, v111, v86
	;;#ASMEND
	;;#ASMSTART
	v_dot2_f32_f16 v86, v100, v112, v86
	;;#ASMEND
	;;#ASMSTART
	v_dot2_f32_f16 v86, v101, v113, v86
	;;#ASMEND
	s_waitcnt lgkmcnt(3)
	;;#ASMSTART
	v_dot2_f32_f16 v82, v98, v114, v82
	;;#ASMEND
	;;#ASMSTART
	v_dot2_f32_f16 v82, v99, v115, v82
	;;#ASMEND
	;;#ASMSTART
	v_dot2_f32_f16 v82, v100, v116, v82
	;;#ASMEND
	;;#ASMSTART
	v_dot2_f32_f16 v82, v101, v117, v82
	;;#ASMEND
	s_waitcnt lgkmcnt(2)
	;;#ASMSTART
	v_dot2_f32_f16 v95, v118, v102, v95
	;;#ASMEND
	;;#ASMSTART
	v_dot2_f32_f16 v95, v119, v103, v95
	;;#ASMEND
	;;#ASMSTART
	v_dot2_f32_f16 v95, v120, v104, v95
	;;#ASMEND
	;;#ASMSTART
	v_dot2_f32_f16 v95, v121, v105, v95
	;;#ASMEND
	;;#ASMSTART
	v_dot2_f32_f16 v91, v118, v106, v91
	;;#ASMEND
	;;#ASMSTART
	v_dot2_f32_f16 v91, v119, v107, v91
	;;#ASMEND
	;;#ASMSTART
	v_dot2_f32_f16 v91, v120, v108, v91
	;;#ASMEND
	;;#ASMSTART
	v_dot2_f32_f16 v91, v121, v109, v91
	;;#ASMEND
	;;#ASMSTART
	v_dot2_f32_f16 v87, v118, v110, v87
	;;#ASMEND
	;;#ASMSTART
	v_dot2_f32_f16 v87, v119, v111, v87
	;;#ASMEND
	;;#ASMSTART
	v_dot2_f32_f16 v87, v120, v112, v87
	;;#ASMEND
	;;#ASMSTART
	v_dot2_f32_f16 v87, v121, v113, v87
	;;#ASMEND
	;;#ASMSTART
	v_dot2_f32_f16 v83, v118, v114, v83
	;;#ASMEND
	;;#ASMSTART
	v_dot2_f32_f16 v83, v119, v115, v83
	;;#ASMEND
	;;#ASMSTART
	v_dot2_f32_f16 v83, v120, v116, v83
	;;#ASMEND
	;;#ASMSTART
	v_dot2_f32_f16 v83, v121, v117, v83
	;;#ASMEND
	s_waitcnt lgkmcnt(1)
	;;#ASMSTART
	v_dot2_f32_f16 v96, v122, v102, v96
	;;#ASMEND
	;;#ASMSTART
	v_dot2_f32_f16 v96, v123, v103, v96
	;;#ASMEND
	;; [unrolled: 3-line block ×16, first 2 shown]
	s_waitcnt lgkmcnt(0)
	;;#ASMSTART
	v_dot2_f32_f16 v97, v126, v102, v97
	;;#ASMEND
	;;#ASMSTART
	v_dot2_f32_f16 v97, v127, v103, v97
	;;#ASMEND
	;; [unrolled: 3-line block ×16, first 2 shown]
	ds_read_b128 v[98:101], v46 offset:112
	ds_read_b128 v[102:105], v57 offset:112
	;; [unrolled: 1-line block ×8, first 2 shown]
	s_waitcnt lgkmcnt(6)
	;;#ASMSTART
	v_dot2_f32_f16 v94, v98, v102, v94
	;;#ASMEND
	;;#ASMSTART
	v_dot2_f32_f16 v94, v99, v103, v94
	;;#ASMEND
	;;#ASMSTART
	v_dot2_f32_f16 v94, v100, v104, v94
	;;#ASMEND
	;;#ASMSTART
	v_dot2_f32_f16 v94, v101, v105, v94
	;;#ASMEND
	s_waitcnt lgkmcnt(5)
	;;#ASMSTART
	v_dot2_f32_f16 v90, v98, v106, v90
	;;#ASMEND
	;;#ASMSTART
	v_dot2_f32_f16 v90, v99, v107, v90
	;;#ASMEND
	;;#ASMSTART
	v_dot2_f32_f16 v90, v100, v108, v90
	;;#ASMEND
	;;#ASMSTART
	v_dot2_f32_f16 v90, v101, v109, v90
	;;#ASMEND
	;; [unrolled: 13-line block ×5, first 2 shown]
	;;#ASMSTART
	v_dot2_f32_f16 v91, v118, v106, v91
	;;#ASMEND
	;;#ASMSTART
	v_dot2_f32_f16 v91, v119, v107, v91
	;;#ASMEND
	;; [unrolled: 3-line block ×12, first 2 shown]
	s_waitcnt lgkmcnt(1)
	;;#ASMSTART
	v_dot2_f32_f16 v96, v122, v102, v96
	;;#ASMEND
	;;#ASMSTART
	v_dot2_f32_f16 v96, v123, v103, v96
	;;#ASMEND
	;; [unrolled: 3-line block ×16, first 2 shown]
	s_waitcnt lgkmcnt(0)
	;;#ASMSTART
	v_dot2_f32_f16 v97, v126, v102, v97
	;;#ASMEND
	;;#ASMSTART
	v_dot2_f32_f16 v97, v127, v103, v97
	;;#ASMEND
	;; [unrolled: 3-line block ×16, first 2 shown]
	s_barrier
	buffer_gl0_inv
	s_clause 0x3
	global_load_dwordx4 v[98:101], v[2:3], off offset:128
	global_load_dwordx4 v[2:5], v[4:5], off offset:128
	;; [unrolled: 1-line block ×4, first 2 shown]
	s_waitcnt vmcnt(3)
	ds_write_b128 v58, v[98:101]
	s_waitcnt vmcnt(2)
	ds_write_b128 v59, v[2:5]
	;; [unrolled: 2-line block ×4, first 2 shown]
	s_waitcnt lgkmcnt(0)
	s_barrier
	buffer_gl0_inv
	ds_read_b128 v[2:5], v46
	ds_read_b128 v[22:25], v57 offset:128
	ds_read_b128 v[98:101], v57 offset:384
	;; [unrolled: 1-line block ×7, first 2 shown]
	s_waitcnt lgkmcnt(6)
	;;#ASMSTART
	v_dot2_f32_f16 v94, v2, v22, v94
	;;#ASMEND
	;;#ASMSTART
	v_dot2_f32_f16 v94, v3, v23, v94
	;;#ASMEND
	;;#ASMSTART
	v_dot2_f32_f16 v94, v4, v24, v94
	;;#ASMEND
	;;#ASMSTART
	v_dot2_f32_f16 v94, v5, v25, v94
	;;#ASMEND
	s_waitcnt lgkmcnt(5)
	;;#ASMSTART
	v_dot2_f32_f16 v90, v2, v98, v90
	;;#ASMEND
	;;#ASMSTART
	v_dot2_f32_f16 v90, v3, v99, v90
	;;#ASMEND
	;;#ASMSTART
	v_dot2_f32_f16 v90, v4, v100, v90
	;;#ASMEND
	;;#ASMSTART
	v_dot2_f32_f16 v90, v5, v101, v90
	;;#ASMEND
	;; [unrolled: 13-line block ×5, first 2 shown]
	;;#ASMSTART
	v_dot2_f32_f16 v91, v110, v98, v91
	;;#ASMEND
	;;#ASMSTART
	v_dot2_f32_f16 v91, v111, v99, v91
	;;#ASMEND
	;; [unrolled: 3-line block ×12, first 2 shown]
	s_waitcnt lgkmcnt(1)
	;;#ASMSTART
	v_dot2_f32_f16 v96, v114, v22, v96
	;;#ASMEND
	;;#ASMSTART
	v_dot2_f32_f16 v96, v115, v23, v96
	;;#ASMEND
	;; [unrolled: 3-line block ×16, first 2 shown]
	s_waitcnt lgkmcnt(0)
	;;#ASMSTART
	v_dot2_f32_f16 v97, v118, v22, v97
	;;#ASMEND
	;;#ASMSTART
	v_dot2_f32_f16 v97, v119, v23, v97
	;;#ASMEND
	;; [unrolled: 3-line block ×16, first 2 shown]
	ds_read_b128 v[2:5], v46 offset:16
	ds_read_b128 v[22:25], v57 offset:144
	;; [unrolled: 1-line block ×8, first 2 shown]
	s_waitcnt lgkmcnt(6)
	;;#ASMSTART
	v_dot2_f32_f16 v94, v2, v22, v94
	;;#ASMEND
	;;#ASMSTART
	v_dot2_f32_f16 v94, v3, v23, v94
	;;#ASMEND
	;;#ASMSTART
	v_dot2_f32_f16 v94, v4, v24, v94
	;;#ASMEND
	;;#ASMSTART
	v_dot2_f32_f16 v94, v5, v25, v94
	;;#ASMEND
	s_waitcnt lgkmcnt(5)
	;;#ASMSTART
	v_dot2_f32_f16 v90, v2, v98, v90
	;;#ASMEND
	;;#ASMSTART
	v_dot2_f32_f16 v90, v3, v99, v90
	;;#ASMEND
	;;#ASMSTART
	v_dot2_f32_f16 v90, v4, v100, v90
	;;#ASMEND
	;;#ASMSTART
	v_dot2_f32_f16 v90, v5, v101, v90
	;;#ASMEND
	;; [unrolled: 13-line block ×5, first 2 shown]
	;;#ASMSTART
	v_dot2_f32_f16 v91, v110, v98, v91
	;;#ASMEND
	;;#ASMSTART
	v_dot2_f32_f16 v91, v111, v99, v91
	;;#ASMEND
	;;#ASMSTART
	v_dot2_f32_f16 v91, v112, v100, v91
	;;#ASMEND
	;;#ASMSTART
	v_dot2_f32_f16 v91, v113, v101, v91
	;;#ASMEND
	;;#ASMSTART
	v_dot2_f32_f16 v87, v110, v102, v87
	;;#ASMEND
	;;#ASMSTART
	v_dot2_f32_f16 v87, v111, v103, v87
	;;#ASMEND
	;;#ASMSTART
	v_dot2_f32_f16 v87, v112, v104, v87
	;;#ASMEND
	;;#ASMSTART
	v_dot2_f32_f16 v87, v113, v105, v87
	;;#ASMEND
	;;#ASMSTART
	v_dot2_f32_f16 v83, v110, v106, v83
	;;#ASMEND
	;;#ASMSTART
	v_dot2_f32_f16 v83, v111, v107, v83
	;;#ASMEND
	;;#ASMSTART
	v_dot2_f32_f16 v83, v112, v108, v83
	;;#ASMEND
	;;#ASMSTART
	v_dot2_f32_f16 v83, v113, v109, v83
	;;#ASMEND
	s_waitcnt lgkmcnt(1)
	;;#ASMSTART
	v_dot2_f32_f16 v96, v114, v22, v96
	;;#ASMEND
	;;#ASMSTART
	v_dot2_f32_f16 v96, v115, v23, v96
	;;#ASMEND
	;; [unrolled: 3-line block ×16, first 2 shown]
	s_waitcnt lgkmcnt(0)
	;;#ASMSTART
	v_dot2_f32_f16 v97, v118, v22, v97
	;;#ASMEND
	;;#ASMSTART
	v_dot2_f32_f16 v97, v119, v23, v97
	;;#ASMEND
	;; [unrolled: 3-line block ×16, first 2 shown]
	ds_read_b128 v[2:5], v46 offset:32
	ds_read_b128 v[22:25], v57 offset:160
	;; [unrolled: 1-line block ×8, first 2 shown]
	s_waitcnt lgkmcnt(6)
	;;#ASMSTART
	v_dot2_f32_f16 v94, v2, v22, v94
	;;#ASMEND
	;;#ASMSTART
	v_dot2_f32_f16 v94, v3, v23, v94
	;;#ASMEND
	;;#ASMSTART
	v_dot2_f32_f16 v94, v4, v24, v94
	;;#ASMEND
	;;#ASMSTART
	v_dot2_f32_f16 v94, v5, v25, v94
	;;#ASMEND
	s_waitcnt lgkmcnt(5)
	;;#ASMSTART
	v_dot2_f32_f16 v90, v2, v98, v90
	;;#ASMEND
	;;#ASMSTART
	v_dot2_f32_f16 v90, v3, v99, v90
	;;#ASMEND
	;;#ASMSTART
	v_dot2_f32_f16 v90, v4, v100, v90
	;;#ASMEND
	;;#ASMSTART
	v_dot2_f32_f16 v90, v5, v101, v90
	;;#ASMEND
	;; [unrolled: 13-line block ×5, first 2 shown]
	;;#ASMSTART
	v_dot2_f32_f16 v91, v110, v98, v91
	;;#ASMEND
	;;#ASMSTART
	v_dot2_f32_f16 v91, v111, v99, v91
	;;#ASMEND
	;; [unrolled: 3-line block ×12, first 2 shown]
	s_waitcnt lgkmcnt(1)
	;;#ASMSTART
	v_dot2_f32_f16 v96, v114, v22, v96
	;;#ASMEND
	;;#ASMSTART
	v_dot2_f32_f16 v96, v115, v23, v96
	;;#ASMEND
	;; [unrolled: 3-line block ×16, first 2 shown]
	s_waitcnt lgkmcnt(0)
	;;#ASMSTART
	v_dot2_f32_f16 v97, v118, v22, v97
	;;#ASMEND
	;;#ASMSTART
	v_dot2_f32_f16 v97, v119, v23, v97
	;;#ASMEND
	;; [unrolled: 3-line block ×16, first 2 shown]
	ds_read_b128 v[2:5], v46 offset:48
	ds_read_b128 v[22:25], v57 offset:176
	;; [unrolled: 1-line block ×8, first 2 shown]
	s_waitcnt lgkmcnt(6)
	;;#ASMSTART
	v_dot2_f32_f16 v94, v2, v22, v94
	;;#ASMEND
	;;#ASMSTART
	v_dot2_f32_f16 v94, v3, v23, v94
	;;#ASMEND
	;;#ASMSTART
	v_dot2_f32_f16 v94, v4, v24, v94
	;;#ASMEND
	;;#ASMSTART
	v_dot2_f32_f16 v94, v5, v25, v94
	;;#ASMEND
	s_waitcnt lgkmcnt(5)
	;;#ASMSTART
	v_dot2_f32_f16 v90, v2, v98, v90
	;;#ASMEND
	;;#ASMSTART
	v_dot2_f32_f16 v90, v3, v99, v90
	;;#ASMEND
	;;#ASMSTART
	v_dot2_f32_f16 v90, v4, v100, v90
	;;#ASMEND
	;;#ASMSTART
	v_dot2_f32_f16 v90, v5, v101, v90
	;;#ASMEND
	;; [unrolled: 13-line block ×5, first 2 shown]
	;;#ASMSTART
	v_dot2_f32_f16 v91, v110, v98, v91
	;;#ASMEND
	;;#ASMSTART
	v_dot2_f32_f16 v91, v111, v99, v91
	;;#ASMEND
	;; [unrolled: 3-line block ×12, first 2 shown]
	s_waitcnt lgkmcnt(1)
	;;#ASMSTART
	v_dot2_f32_f16 v96, v114, v22, v96
	;;#ASMEND
	;;#ASMSTART
	v_dot2_f32_f16 v96, v115, v23, v96
	;;#ASMEND
	;; [unrolled: 3-line block ×16, first 2 shown]
	s_waitcnt lgkmcnt(0)
	;;#ASMSTART
	v_dot2_f32_f16 v97, v118, v22, v97
	;;#ASMEND
	;;#ASMSTART
	v_dot2_f32_f16 v97, v119, v23, v97
	;;#ASMEND
	;; [unrolled: 3-line block ×16, first 2 shown]
	ds_read_b128 v[2:5], v46 offset:64
	ds_read_b128 v[22:25], v57 offset:192
	ds_read_b128 v[98:101], v57 offset:448
	ds_read_b128 v[102:105], v57 offset:704
	ds_read_b128 v[106:109], v57 offset:960
	ds_read_b128 v[110:113], v46 offset:4672
	ds_read_b128 v[114:117], v46 offset:9280
	ds_read_b128 v[118:121], v46 offset:13888
	s_waitcnt lgkmcnt(6)
	;;#ASMSTART
	v_dot2_f32_f16 v94, v2, v22, v94
	;;#ASMEND
	;;#ASMSTART
	v_dot2_f32_f16 v94, v3, v23, v94
	;;#ASMEND
	;;#ASMSTART
	v_dot2_f32_f16 v94, v4, v24, v94
	;;#ASMEND
	;;#ASMSTART
	v_dot2_f32_f16 v94, v5, v25, v94
	;;#ASMEND
	s_waitcnt lgkmcnt(5)
	;;#ASMSTART
	v_dot2_f32_f16 v90, v2, v98, v90
	;;#ASMEND
	;;#ASMSTART
	v_dot2_f32_f16 v90, v3, v99, v90
	;;#ASMEND
	;;#ASMSTART
	v_dot2_f32_f16 v90, v4, v100, v90
	;;#ASMEND
	;;#ASMSTART
	v_dot2_f32_f16 v90, v5, v101, v90
	;;#ASMEND
	;; [unrolled: 13-line block ×5, first 2 shown]
	;;#ASMSTART
	v_dot2_f32_f16 v91, v110, v98, v91
	;;#ASMEND
	;;#ASMSTART
	v_dot2_f32_f16 v91, v111, v99, v91
	;;#ASMEND
	;; [unrolled: 3-line block ×12, first 2 shown]
	s_waitcnt lgkmcnt(1)
	;;#ASMSTART
	v_dot2_f32_f16 v96, v114, v22, v96
	;;#ASMEND
	;;#ASMSTART
	v_dot2_f32_f16 v96, v115, v23, v96
	;;#ASMEND
	;; [unrolled: 3-line block ×16, first 2 shown]
	s_waitcnt lgkmcnt(0)
	;;#ASMSTART
	v_dot2_f32_f16 v97, v118, v22, v97
	;;#ASMEND
	;;#ASMSTART
	v_dot2_f32_f16 v97, v119, v23, v97
	;;#ASMEND
	;; [unrolled: 3-line block ×16, first 2 shown]
	ds_read_b128 v[2:5], v46 offset:80
	ds_read_b128 v[22:25], v57 offset:208
	;; [unrolled: 1-line block ×8, first 2 shown]
	s_waitcnt lgkmcnt(6)
	;;#ASMSTART
	v_dot2_f32_f16 v94, v2, v22, v94
	;;#ASMEND
	;;#ASMSTART
	v_dot2_f32_f16 v94, v3, v23, v94
	;;#ASMEND
	;;#ASMSTART
	v_dot2_f32_f16 v94, v4, v24, v94
	;;#ASMEND
	;;#ASMSTART
	v_dot2_f32_f16 v94, v5, v25, v94
	;;#ASMEND
	s_waitcnt lgkmcnt(5)
	;;#ASMSTART
	v_dot2_f32_f16 v90, v2, v98, v90
	;;#ASMEND
	;;#ASMSTART
	v_dot2_f32_f16 v90, v3, v99, v90
	;;#ASMEND
	;;#ASMSTART
	v_dot2_f32_f16 v90, v4, v100, v90
	;;#ASMEND
	;;#ASMSTART
	v_dot2_f32_f16 v90, v5, v101, v90
	;;#ASMEND
	;; [unrolled: 13-line block ×5, first 2 shown]
	;;#ASMSTART
	v_dot2_f32_f16 v91, v110, v98, v91
	;;#ASMEND
	;;#ASMSTART
	v_dot2_f32_f16 v91, v111, v99, v91
	;;#ASMEND
	;; [unrolled: 3-line block ×12, first 2 shown]
	s_waitcnt lgkmcnt(1)
	;;#ASMSTART
	v_dot2_f32_f16 v96, v114, v22, v96
	;;#ASMEND
	;;#ASMSTART
	v_dot2_f32_f16 v96, v115, v23, v96
	;;#ASMEND
	;; [unrolled: 3-line block ×16, first 2 shown]
	s_waitcnt lgkmcnt(0)
	;;#ASMSTART
	v_dot2_f32_f16 v97, v118, v22, v97
	;;#ASMEND
	;;#ASMSTART
	v_dot2_f32_f16 v97, v119, v23, v97
	;;#ASMEND
	;;#ASMSTART
	v_dot2_f32_f16 v97, v120, v24, v97
	;;#ASMEND
	;;#ASMSTART
	v_dot2_f32_f16 v97, v121, v25, v97
	;;#ASMEND
	;;#ASMSTART
	v_dot2_f32_f16 v93, v118, v98, v93
	;;#ASMEND
	;;#ASMSTART
	v_dot2_f32_f16 v93, v119, v99, v93
	;;#ASMEND
	;;#ASMSTART
	v_dot2_f32_f16 v93, v120, v100, v93
	;;#ASMEND
	;;#ASMSTART
	v_dot2_f32_f16 v93, v121, v101, v93
	;;#ASMEND
	;;#ASMSTART
	v_dot2_f32_f16 v89, v118, v102, v89
	;;#ASMEND
	;;#ASMSTART
	v_dot2_f32_f16 v89, v119, v103, v89
	;;#ASMEND
	;;#ASMSTART
	v_dot2_f32_f16 v89, v120, v104, v89
	;;#ASMEND
	;;#ASMSTART
	v_dot2_f32_f16 v89, v121, v105, v89
	;;#ASMEND
	;;#ASMSTART
	v_dot2_f32_f16 v85, v118, v106, v85
	;;#ASMEND
	;;#ASMSTART
	v_dot2_f32_f16 v85, v119, v107, v85
	;;#ASMEND
	;;#ASMSTART
	v_dot2_f32_f16 v85, v120, v108, v85
	;;#ASMEND
	;;#ASMSTART
	v_dot2_f32_f16 v85, v121, v109, v85
	;;#ASMEND
	ds_read_b128 v[2:5], v46 offset:96
	ds_read_b128 v[22:25], v57 offset:224
	;; [unrolled: 1-line block ×8, first 2 shown]
	s_waitcnt lgkmcnt(6)
	;;#ASMSTART
	v_dot2_f32_f16 v94, v2, v22, v94
	;;#ASMEND
	;;#ASMSTART
	v_dot2_f32_f16 v94, v3, v23, v94
	;;#ASMEND
	;;#ASMSTART
	v_dot2_f32_f16 v94, v4, v24, v94
	;;#ASMEND
	;;#ASMSTART
	v_dot2_f32_f16 v94, v5, v25, v94
	;;#ASMEND
	s_waitcnt lgkmcnt(5)
	;;#ASMSTART
	v_dot2_f32_f16 v90, v2, v98, v90
	;;#ASMEND
	;;#ASMSTART
	v_dot2_f32_f16 v90, v3, v99, v90
	;;#ASMEND
	;;#ASMSTART
	v_dot2_f32_f16 v90, v4, v100, v90
	;;#ASMEND
	;;#ASMSTART
	v_dot2_f32_f16 v90, v5, v101, v90
	;;#ASMEND
	;; [unrolled: 13-line block ×5, first 2 shown]
	;;#ASMSTART
	v_dot2_f32_f16 v91, v110, v98, v91
	;;#ASMEND
	;;#ASMSTART
	v_dot2_f32_f16 v91, v111, v99, v91
	;;#ASMEND
	;; [unrolled: 3-line block ×12, first 2 shown]
	s_waitcnt lgkmcnt(1)
	;;#ASMSTART
	v_dot2_f32_f16 v96, v114, v22, v96
	;;#ASMEND
	;;#ASMSTART
	v_dot2_f32_f16 v96, v115, v23, v96
	;;#ASMEND
	;;#ASMSTART
	v_dot2_f32_f16 v96, v116, v24, v96
	;;#ASMEND
	;;#ASMSTART
	v_dot2_f32_f16 v96, v117, v25, v96
	;;#ASMEND
	;;#ASMSTART
	v_dot2_f32_f16 v92, v114, v98, v92
	;;#ASMEND
	;;#ASMSTART
	v_dot2_f32_f16 v92, v115, v99, v92
	;;#ASMEND
	;;#ASMSTART
	v_dot2_f32_f16 v92, v116, v100, v92
	;;#ASMEND
	;;#ASMSTART
	v_dot2_f32_f16 v92, v117, v101, v92
	;;#ASMEND
	;;#ASMSTART
	v_dot2_f32_f16 v88, v114, v102, v88
	;;#ASMEND
	;;#ASMSTART
	v_dot2_f32_f16 v88, v115, v103, v88
	;;#ASMEND
	;;#ASMSTART
	v_dot2_f32_f16 v88, v116, v104, v88
	;;#ASMEND
	;;#ASMSTART
	v_dot2_f32_f16 v88, v117, v105, v88
	;;#ASMEND
	;;#ASMSTART
	v_dot2_f32_f16 v84, v114, v106, v84
	;;#ASMEND
	;;#ASMSTART
	v_dot2_f32_f16 v84, v115, v107, v84
	;;#ASMEND
	;;#ASMSTART
	v_dot2_f32_f16 v84, v116, v108, v84
	;;#ASMEND
	;;#ASMSTART
	v_dot2_f32_f16 v84, v117, v109, v84
	;;#ASMEND
	s_waitcnt lgkmcnt(0)
	;;#ASMSTART
	v_dot2_f32_f16 v97, v118, v22, v97
	;;#ASMEND
	;;#ASMSTART
	v_dot2_f32_f16 v97, v119, v23, v97
	;;#ASMEND
	;; [unrolled: 3-line block ×16, first 2 shown]
	ds_read_b128 v[2:5], v46 offset:112
	ds_read_b128 v[22:25], v57 offset:240
	ds_read_b128 v[98:101], v57 offset:496
	ds_read_b128 v[102:105], v57 offset:752
	ds_read_b128 v[106:109], v57 offset:1008
	ds_read_b128 v[110:113], v46 offset:4720
	ds_read_b128 v[114:117], v46 offset:9328
	ds_read_b128 v[118:121], v46 offset:13936
	s_waitcnt lgkmcnt(6)
	;;#ASMSTART
	v_dot2_f32_f16 v94, v2, v22, v94
	;;#ASMEND
	;;#ASMSTART
	v_dot2_f32_f16 v94, v3, v23, v94
	;;#ASMEND
	;;#ASMSTART
	v_dot2_f32_f16 v94, v4, v24, v94
	;;#ASMEND
	;;#ASMSTART
	v_dot2_f32_f16 v94, v5, v25, v94
	;;#ASMEND
	s_waitcnt lgkmcnt(5)
	;;#ASMSTART
	v_dot2_f32_f16 v90, v2, v98, v90
	;;#ASMEND
	;;#ASMSTART
	v_dot2_f32_f16 v90, v3, v99, v90
	;;#ASMEND
	;;#ASMSTART
	v_dot2_f32_f16 v90, v4, v100, v90
	;;#ASMEND
	;;#ASMSTART
	v_dot2_f32_f16 v90, v5, v101, v90
	;;#ASMEND
	s_waitcnt lgkmcnt(4)
	;;#ASMSTART
	v_dot2_f32_f16 v86, v2, v102, v86
	;;#ASMEND
	;;#ASMSTART
	v_dot2_f32_f16 v86, v3, v103, v86
	;;#ASMEND
	;;#ASMSTART
	v_dot2_f32_f16 v86, v4, v104, v86
	;;#ASMEND
	;;#ASMSTART
	v_dot2_f32_f16 v86, v5, v105, v86
	;;#ASMEND
	s_waitcnt lgkmcnt(3)
	;;#ASMSTART
	v_dot2_f32_f16 v82, v2, v106, v82
	;;#ASMEND
	;;#ASMSTART
	v_dot2_f32_f16 v82, v3, v107, v82
	;;#ASMEND
	;;#ASMSTART
	v_dot2_f32_f16 v82, v4, v108, v82
	;;#ASMEND
	;;#ASMSTART
	v_dot2_f32_f16 v82, v5, v109, v82
	;;#ASMEND
	s_waitcnt lgkmcnt(2)
	;;#ASMSTART
	v_dot2_f32_f16 v95, v110, v22, v95
	;;#ASMEND
	;;#ASMSTART
	v_dot2_f32_f16 v95, v111, v23, v95
	;;#ASMEND
	;;#ASMSTART
	v_dot2_f32_f16 v95, v112, v24, v95
	;;#ASMEND
	;;#ASMSTART
	v_dot2_f32_f16 v95, v113, v25, v95
	;;#ASMEND
	;;#ASMSTART
	v_dot2_f32_f16 v91, v110, v98, v91
	;;#ASMEND
	;;#ASMSTART
	v_dot2_f32_f16 v91, v111, v99, v91
	;;#ASMEND
	;; [unrolled: 3-line block ×12, first 2 shown]
	s_waitcnt lgkmcnt(1)
	;;#ASMSTART
	v_dot2_f32_f16 v96, v114, v22, v96
	;;#ASMEND
	;;#ASMSTART
	v_dot2_f32_f16 v96, v115, v23, v96
	;;#ASMEND
	;;#ASMSTART
	v_dot2_f32_f16 v96, v116, v24, v96
	;;#ASMEND
	;;#ASMSTART
	v_dot2_f32_f16 v96, v117, v25, v96
	;;#ASMEND
	;;#ASMSTART
	v_dot2_f32_f16 v92, v114, v98, v92
	;;#ASMEND
	;;#ASMSTART
	v_dot2_f32_f16 v92, v115, v99, v92
	;;#ASMEND
	;;#ASMSTART
	v_dot2_f32_f16 v92, v116, v100, v92
	;;#ASMEND
	;;#ASMSTART
	v_dot2_f32_f16 v92, v117, v101, v92
	;;#ASMEND
	;;#ASMSTART
	v_dot2_f32_f16 v88, v114, v102, v88
	;;#ASMEND
	;;#ASMSTART
	v_dot2_f32_f16 v88, v115, v103, v88
	;;#ASMEND
	;;#ASMSTART
	v_dot2_f32_f16 v88, v116, v104, v88
	;;#ASMEND
	;;#ASMSTART
	v_dot2_f32_f16 v88, v117, v105, v88
	;;#ASMEND
	;;#ASMSTART
	v_dot2_f32_f16 v84, v114, v106, v84
	;;#ASMEND
	;;#ASMSTART
	v_dot2_f32_f16 v84, v115, v107, v84
	;;#ASMEND
	;;#ASMSTART
	v_dot2_f32_f16 v84, v116, v108, v84
	;;#ASMEND
	;;#ASMSTART
	v_dot2_f32_f16 v84, v117, v109, v84
	;;#ASMEND
	s_waitcnt lgkmcnt(0)
	;;#ASMSTART
	v_dot2_f32_f16 v97, v118, v22, v97
	;;#ASMEND
	;;#ASMSTART
	v_dot2_f32_f16 v97, v119, v23, v97
	;;#ASMEND
	;; [unrolled: 3-line block ×9, first 2 shown]
	v_cmp_ngt_f32_e64 s16, 0x3f200000, |v94|
	;;#ASMSTART
	v_dot2_f32_f16 v89, v119, v103, v89
	;;#ASMEND
	;;#ASMSTART
	v_dot2_f32_f16 v89, v120, v104, v89
	;;#ASMEND
	;; [unrolled: 3-line block ×7, first 2 shown]
                                        ; implicit-def: $vgpr5
	s_and_saveexec_b32 s17, s16
	s_xor_b32 s16, exec_lo, s17
	s_cbranch_execz .LBB87_10
; %bb.9:                                ;   in Loop: Header=BB87_8 Depth=1
	v_add_f32_e64 v2, |v94|, |v94|
	v_mul_f32_e32 v3, 0x3fb8aa3b, v2
	v_cmp_ngt_f32_e32 vcc_lo, 0xc2ce8ed0, v2
	v_rndne_f32_e32 v4, v3
	v_fma_f32 v5, 0x3fb8aa3b, v2, -v3
	v_sub_f32_e32 v3, v3, v4
	v_fmac_f32_e32 v5, 0x32a5705f, v2
	v_cvt_i32_f32_e32 v4, v4
	v_add_f32_e32 v3, v3, v5
	v_exp_f32_e32 v3, v3
	v_ldexp_f32 v3, v3, v4
	v_cndmask_b32_e32 v3, 0, v3, vcc_lo
	v_cmp_nlt_f32_e32 vcc_lo, 0x42b17218, v2
	v_cndmask_b32_e32 v2, 0x7f800000, v3, vcc_lo
	v_add_f32_e32 v2, 1.0, v2
	v_rcp_f32_e32 v2, v2
	v_fma_f32 v5, v2, -2.0, 1.0
.LBB87_10:                              ;   in Loop: Header=BB87_8 Depth=1
	s_andn2_saveexec_b32 s16, s16
	s_cbranch_execz .LBB87_12
; %bb.11:                               ;   in Loop: Header=BB87_8 Depth=1
	v_mul_f32_e32 v2, v94, v94
	v_fmaak_f32 v3, s15, v2, 0x3ca908c9
	v_fmaak_f32 v3, v2, v3, 0xbd5c1c4e
	;; [unrolled: 1-line block ×4, first 2 shown]
	v_mul_f32_e64 v3, |v94|, v3
	v_fma_f32 v5, v2, v3, |v94|
.LBB87_12:                              ;   in Loop: Header=BB87_8 Depth=1
	s_or_b32 exec_lo, exec_lo, s16
	v_add_nc_u32_e32 v4, s10, v0
	s_andn2_b32 vcc_lo, exec_lo, s13
	v_add_nc_u32_e32 v2, v4, v62
	v_ashrrev_i32_e32 v3, 31, v2
	s_cbranch_vccnz .LBB87_106
; %bb.13:                               ;   in Loop: Header=BB87_8 Depth=1
	v_lshlrev_b64 v[22:23], 1, v[2:3]
	v_add_co_u32 v22, vcc_lo, s46, v22
	v_add_co_ci_u32_e64 v23, null, s47, v23, vcc_lo
	global_load_ushort v22, v[22:23], off
	s_waitcnt vmcnt(0)
	v_cvt_f32_f16_e32 v22, v22
	v_mul_f32_e32 v22, v40, v22
	v_cmp_ngt_f32_e64 s16, 0x3f200000, |v95|
                                        ; implicit-def: $vgpr98
	s_and_saveexec_b32 s17, s16
	s_xor_b32 s16, exec_lo, s17
	s_cbranch_execz .LBB87_15
.LBB87_14:                              ;   in Loop: Header=BB87_8 Depth=1
	v_add_f32_e64 v23, |v95|, |v95|
	v_mul_f32_e32 v24, 0x3fb8aa3b, v23
	v_cmp_ngt_f32_e32 vcc_lo, 0xc2ce8ed0, v23
	v_rndne_f32_e32 v25, v24
	v_fma_f32 v98, 0x3fb8aa3b, v23, -v24
	v_sub_f32_e32 v24, v24, v25
	v_fmac_f32_e32 v98, 0x32a5705f, v23
	v_cvt_i32_f32_e32 v25, v25
	v_add_f32_e32 v24, v24, v98
	v_exp_f32_e32 v24, v24
	v_ldexp_f32 v24, v24, v25
	v_cndmask_b32_e32 v24, 0, v24, vcc_lo
	v_cmp_nlt_f32_e32 vcc_lo, 0x42b17218, v23
	v_cndmask_b32_e32 v23, 0x7f800000, v24, vcc_lo
	v_add_f32_e32 v23, 1.0, v23
	v_rcp_f32_e32 v23, v23
	v_fma_f32 v98, v23, -2.0, 1.0
.LBB87_15:                              ;   in Loop: Header=BB87_8 Depth=1
	s_andn2_saveexec_b32 s16, s16
	s_cbranch_execz .LBB87_18
; %bb.16:                               ;   in Loop: Header=BB87_8 Depth=1
	v_mul_f32_e32 v23, v95, v95
	v_fmaak_f32 v24, s15, v23, 0x3ca908c9
	v_fmaak_f32 v24, v23, v24, 0xbd5c1c4e
	;; [unrolled: 1-line block ×4, first 2 shown]
	v_mul_f32_e64 v24, |v95|, v24
	v_fma_f32 v98, v23, v24, |v95|
	s_or_b32 exec_lo, exec_lo, s16
	s_andn2_b32 vcc_lo, exec_lo, s13
	s_cbranch_vccz .LBB87_19
.LBB87_17:                              ;   in Loop: Header=BB87_8 Depth=1
	v_mov_b32_e32 v23, 0
	v_cmp_ngt_f32_e64 s16, 0x3f200000, |v96|
                                        ; implicit-def: $vgpr99
	s_and_saveexec_b32 s17, s16
	s_xor_b32 s16, exec_lo, s17
	s_cbranch_execz .LBB87_21
	s_branch .LBB87_20
.LBB87_18:                              ;   in Loop: Header=BB87_8 Depth=1
	s_or_b32 exec_lo, exec_lo, s16
	s_andn2_b32 vcc_lo, exec_lo, s13
	s_cbranch_vccnz .LBB87_17
.LBB87_19:                              ;   in Loop: Header=BB87_8 Depth=1
	v_lshlrev_b64 v[23:24], 1, v[2:3]
	v_add_co_u32 v23, vcc_lo, s46, v23
	v_add_co_ci_u32_e64 v24, null, s47, v24, vcc_lo
	global_load_ushort v23, v[23:24], off offset:64
	s_waitcnt vmcnt(0)
	v_cvt_f32_f16_e32 v23, v23
	v_mul_f32_e32 v23, v40, v23
	v_cmp_ngt_f32_e64 s16, 0x3f200000, |v96|
                                        ; implicit-def: $vgpr99
	s_and_saveexec_b32 s17, s16
	s_xor_b32 s16, exec_lo, s17
	s_cbranch_execz .LBB87_21
.LBB87_20:                              ;   in Loop: Header=BB87_8 Depth=1
	v_add_f32_e64 v24, |v96|, |v96|
	v_mul_f32_e32 v25, 0x3fb8aa3b, v24
	v_cmp_ngt_f32_e32 vcc_lo, 0xc2ce8ed0, v24
	v_rndne_f32_e32 v99, v25
	v_fma_f32 v100, 0x3fb8aa3b, v24, -v25
	v_sub_f32_e32 v25, v25, v99
	v_fmac_f32_e32 v100, 0x32a5705f, v24
	v_cvt_i32_f32_e32 v99, v99
	v_add_f32_e32 v25, v25, v100
	v_exp_f32_e32 v25, v25
	v_ldexp_f32 v25, v25, v99
	v_cndmask_b32_e32 v25, 0, v25, vcc_lo
	v_cmp_nlt_f32_e32 vcc_lo, 0x42b17218, v24
	v_cndmask_b32_e32 v24, 0x7f800000, v25, vcc_lo
	v_add_f32_e32 v24, 1.0, v24
	v_rcp_f32_e32 v24, v24
	v_fma_f32 v99, v24, -2.0, 1.0
.LBB87_21:                              ;   in Loop: Header=BB87_8 Depth=1
	s_andn2_saveexec_b32 s16, s16
	s_cbranch_execz .LBB87_24
; %bb.22:                               ;   in Loop: Header=BB87_8 Depth=1
	v_mul_f32_e32 v24, v96, v96
	v_fmaak_f32 v25, s15, v24, 0x3ca908c9
	v_fmaak_f32 v25, v24, v25, 0xbd5c1c4e
	v_fmaak_f32 v25, v24, v25, 0x3e088382
	v_fmaak_f32 v25, v24, v25, 0xbeaaaa99
	v_mul_f32_e64 v25, |v96|, v25
	v_fma_f32 v99, v24, v25, |v96|
	s_or_b32 exec_lo, exec_lo, s16
	s_andn2_b32 vcc_lo, exec_lo, s13
	s_cbranch_vccz .LBB87_25
.LBB87_23:                              ;   in Loop: Header=BB87_8 Depth=1
	v_mov_b32_e32 v24, 0
	v_cmp_ngt_f32_e64 s16, 0x3f200000, |v97|
                                        ; implicit-def: $vgpr100
	s_and_saveexec_b32 s17, s16
	s_xor_b32 s16, exec_lo, s17
	s_cbranch_execz .LBB87_27
	s_branch .LBB87_26
.LBB87_24:                              ;   in Loop: Header=BB87_8 Depth=1
	s_or_b32 exec_lo, exec_lo, s16
	s_andn2_b32 vcc_lo, exec_lo, s13
	s_cbranch_vccnz .LBB87_23
.LBB87_25:                              ;   in Loop: Header=BB87_8 Depth=1
	v_lshlrev_b64 v[24:25], 1, v[2:3]
	v_add_co_u32 v24, vcc_lo, s46, v24
	v_add_co_ci_u32_e64 v25, null, s47, v25, vcc_lo
	global_load_ushort v24, v[24:25], off offset:128
	s_waitcnt vmcnt(0)
	v_cvt_f32_f16_e32 v24, v24
	v_mul_f32_e32 v24, v40, v24
	v_cmp_ngt_f32_e64 s16, 0x3f200000, |v97|
                                        ; implicit-def: $vgpr100
	s_and_saveexec_b32 s17, s16
	s_xor_b32 s16, exec_lo, s17
	s_cbranch_execz .LBB87_27
.LBB87_26:                              ;   in Loop: Header=BB87_8 Depth=1
	v_add_f32_e64 v25, |v97|, |v97|
	v_mul_f32_e32 v100, 0x3fb8aa3b, v25
	v_cmp_ngt_f32_e32 vcc_lo, 0xc2ce8ed0, v25
	v_rndne_f32_e32 v101, v100
	v_fma_f32 v102, 0x3fb8aa3b, v25, -v100
	v_sub_f32_e32 v100, v100, v101
	v_fmac_f32_e32 v102, 0x32a5705f, v25
	v_cvt_i32_f32_e32 v101, v101
	v_add_f32_e32 v100, v100, v102
	v_exp_f32_e32 v100, v100
	v_ldexp_f32 v100, v100, v101
	v_cndmask_b32_e32 v100, 0, v100, vcc_lo
	v_cmp_nlt_f32_e32 vcc_lo, 0x42b17218, v25
	v_cndmask_b32_e32 v25, 0x7f800000, v100, vcc_lo
	v_add_f32_e32 v25, 1.0, v25
	v_rcp_f32_e32 v25, v25
	v_fma_f32 v100, v25, -2.0, 1.0
.LBB87_27:                              ;   in Loop: Header=BB87_8 Depth=1
	s_andn2_saveexec_b32 s16, s16
	s_cbranch_execz .LBB87_30
; %bb.28:                               ;   in Loop: Header=BB87_8 Depth=1
	v_mul_f32_e32 v25, v97, v97
	v_fmaak_f32 v100, s15, v25, 0x3ca908c9
	v_fmaak_f32 v100, v25, v100, 0xbd5c1c4e
	;; [unrolled: 1-line block ×4, first 2 shown]
	v_mul_f32_e64 v100, |v97|, v100
	v_fma_f32 v100, v25, v100, |v97|
	s_or_b32 exec_lo, exec_lo, s16
	s_andn2_b32 vcc_lo, exec_lo, s13
	s_cbranch_vccz .LBB87_31
.LBB87_29:                              ;   in Loop: Header=BB87_8 Depth=1
	v_mov_b32_e32 v25, 0
	s_branch .LBB87_32
.LBB87_30:                              ;   in Loop: Header=BB87_8 Depth=1
	s_or_b32 exec_lo, exec_lo, s16
	s_andn2_b32 vcc_lo, exec_lo, s13
	s_cbranch_vccnz .LBB87_29
.LBB87_31:                              ;   in Loop: Header=BB87_8 Depth=1
	v_lshlrev_b64 v[2:3], 1, v[2:3]
	v_add_co_u32 v2, vcc_lo, s46, v2
	v_add_co_ci_u32_e64 v3, null, s47, v3, vcc_lo
	global_load_ushort v2, v[2:3], off offset:192
	s_waitcnt vmcnt(0)
	v_cvt_f32_f16_e32 v2, v2
	v_mul_f32_e32 v25, v40, v2
.LBB87_32:                              ;   in Loop: Header=BB87_8 Depth=1
	v_bfi_b32 v2, 0x7fffffff, v5, v94
	v_bfi_b32 v3, 0x7fffffff, v98, v95
	v_bfi_b32 v5, 0x7fffffff, v99, v96
	v_cmp_ngt_f32_e64 s16, 0x3f200000, |v90|
                                        ; implicit-def: $vgpr104
	v_fmac_f32_e32 v22, s19, v2
	v_fmac_f32_e32 v23, s19, v3
	v_bfi_b32 v2, 0x7fffffff, v100, v97
	v_xor_b32_e32 v3, 16, v72
	v_fmac_f32_e32 v24, s19, v5
	v_add_f32_e32 v5, 0x40051340, v22
	v_add_f32_e32 v94, 0x40051340, v23
	v_fmac_f32_e32 v25, s19, v2
	v_cmp_gt_i32_e32 vcc_lo, 32, v3
	v_max3_f32 v94, v81, v5, v94
	v_add_f32_e32 v95, 0x40051340, v25
	v_cndmask_b32_e32 v2, v72, v3, vcc_lo
	v_add_f32_e32 v3, 0x40051340, v24
	v_lshlrev_b32_e32 v5, 2, v2
	v_max3_f32 v2, v94, v3, v95
	v_xor_b32_e32 v94, 8, v72
	ds_bpermute_b32 v3, v5, v2
	v_cmp_gt_i32_e32 vcc_lo, 32, v94
	v_cndmask_b32_e32 v94, v72, v94, vcc_lo
	v_lshlrev_b32_e32 v95, 2, v94
	v_xor_b32_e32 v94, 4, v72
	v_cmp_gt_i32_e32 vcc_lo, 32, v94
	s_waitcnt lgkmcnt(0)
	v_max_f32_e32 v3, v3, v3
	v_cndmask_b32_e32 v94, v72, v94, vcc_lo
	v_max_f32_e32 v2, v2, v3
	v_lshlrev_b32_e32 v96, 2, v94
	v_xor_b32_e32 v94, 2, v72
	ds_bpermute_b32 v3, v95, v2
	v_cmp_gt_i32_e32 vcc_lo, 32, v94
	v_cndmask_b32_e32 v94, v72, v94, vcc_lo
	v_lshlrev_b32_e32 v97, 2, v94
	v_xor_b32_e32 v94, 1, v72
	v_cmp_gt_i32_e32 vcc_lo, 32, v94
	s_waitcnt lgkmcnt(0)
	v_max_f32_e32 v3, v3, v3
	v_cndmask_b32_e32 v94, v72, v94, vcc_lo
	v_max_f32_e32 v2, v2, v3
	v_lshlrev_b32_e32 v98, 2, v94
	ds_bpermute_b32 v3, v96, v2
	s_waitcnt lgkmcnt(0)
	v_max_f32_e32 v3, v3, v3
	v_max_f32_e32 v2, v2, v3
	ds_bpermute_b32 v3, v97, v2
	s_waitcnt lgkmcnt(0)
	v_max_f32_e32 v3, v3, v3
	v_max_f32_e32 v100, v2, v3
	ds_bpermute_b32 v101, v98, v100
	s_and_saveexec_b32 s17, s16
	s_xor_b32 s16, exec_lo, s17
	s_cbranch_execz .LBB87_34
; %bb.33:                               ;   in Loop: Header=BB87_8 Depth=1
	v_add_f32_e64 v2, |v90|, |v90|
	v_mul_f32_e32 v3, 0x3fb8aa3b, v2
	v_cmp_ngt_f32_e32 vcc_lo, 0xc2ce8ed0, v2
	v_rndne_f32_e32 v94, v3
	v_fma_f32 v99, 0x3fb8aa3b, v2, -v3
	v_sub_f32_e32 v3, v3, v94
	v_fmac_f32_e32 v99, 0x32a5705f, v2
	v_cvt_i32_f32_e32 v94, v94
	v_add_f32_e32 v3, v3, v99
	v_exp_f32_e32 v3, v3
	v_ldexp_f32 v3, v3, v94
	v_cndmask_b32_e32 v3, 0, v3, vcc_lo
	v_cmp_nlt_f32_e32 vcc_lo, 0x42b17218, v2
	v_cndmask_b32_e32 v2, 0x7f800000, v3, vcc_lo
	v_add_f32_e32 v2, 1.0, v2
	v_rcp_f32_e32 v2, v2
	v_fma_f32 v104, v2, -2.0, 1.0
.LBB87_34:                              ;   in Loop: Header=BB87_8 Depth=1
	s_andn2_saveexec_b32 s16, s16
	s_cbranch_execz .LBB87_36
; %bb.35:                               ;   in Loop: Header=BB87_8 Depth=1
	v_mul_f32_e32 v2, v90, v90
	v_fmaak_f32 v3, s15, v2, 0x3ca908c9
	v_fmaak_f32 v3, v2, v3, 0xbd5c1c4e
	;; [unrolled: 1-line block ×4, first 2 shown]
	v_mul_f32_e64 v3, |v90|, v3
	v_fma_f32 v104, v2, v3, |v90|
.LBB87_36:                              ;   in Loop: Header=BB87_8 Depth=1
	s_or_b32 exec_lo, exec_lo, s16
	v_add_nc_u32_e32 v2, v4, v63
	s_andn2_b32 vcc_lo, exec_lo, s13
	v_ashrrev_i32_e32 v3, 31, v2
	s_cbranch_vccnz .LBB87_107
; %bb.37:                               ;   in Loop: Header=BB87_8 Depth=1
	v_lshlrev_b64 v[102:103], 1, v[2:3]
	v_add_co_u32 v102, vcc_lo, s46, v102
	v_add_co_ci_u32_e64 v103, null, s47, v103, vcc_lo
	global_load_ushort v94, v[102:103], off
	s_waitcnt vmcnt(0)
	v_cvt_f32_f16_e32 v94, v94
	v_mul_f32_e32 v94, v40, v94
	v_cmp_ngt_f32_e64 s16, 0x3f200000, |v91|
                                        ; implicit-def: $vgpr105
	s_and_saveexec_b32 s17, s16
	s_xor_b32 s16, exec_lo, s17
	s_cbranch_execz .LBB87_39
.LBB87_38:                              ;   in Loop: Header=BB87_8 Depth=1
	v_add_f32_e64 v99, |v91|, |v91|
	v_mul_f32_e32 v102, 0x3fb8aa3b, v99
	v_cmp_ngt_f32_e32 vcc_lo, 0xc2ce8ed0, v99
	v_rndne_f32_e32 v103, v102
	v_fma_f32 v105, 0x3fb8aa3b, v99, -v102
	v_sub_f32_e32 v102, v102, v103
	v_fmac_f32_e32 v105, 0x32a5705f, v99
	v_cvt_i32_f32_e32 v103, v103
	v_add_f32_e32 v102, v102, v105
	v_exp_f32_e32 v102, v102
	v_ldexp_f32 v102, v102, v103
	v_cndmask_b32_e32 v102, 0, v102, vcc_lo
	v_cmp_nlt_f32_e32 vcc_lo, 0x42b17218, v99
	v_cndmask_b32_e32 v99, 0x7f800000, v102, vcc_lo
	v_add_f32_e32 v99, 1.0, v99
	v_rcp_f32_e32 v99, v99
	v_fma_f32 v105, v99, -2.0, 1.0
.LBB87_39:                              ;   in Loop: Header=BB87_8 Depth=1
	s_andn2_saveexec_b32 s16, s16
	s_cbranch_execz .LBB87_42
; %bb.40:                               ;   in Loop: Header=BB87_8 Depth=1
	v_mul_f32_e32 v99, v91, v91
	v_fmaak_f32 v102, s15, v99, 0x3ca908c9
	v_fmaak_f32 v102, v99, v102, 0xbd5c1c4e
	;; [unrolled: 1-line block ×4, first 2 shown]
	v_mul_f32_e64 v102, |v91|, v102
	v_fma_f32 v105, v99, v102, |v91|
	s_or_b32 exec_lo, exec_lo, s16
	s_andn2_b32 vcc_lo, exec_lo, s13
	s_cbranch_vccz .LBB87_43
.LBB87_41:                              ;   in Loop: Header=BB87_8 Depth=1
	v_mov_b32_e32 v99, 0
	v_cmp_ngt_f32_e64 s16, 0x3f200000, |v92|
                                        ; implicit-def: $vgpr106
	s_and_saveexec_b32 s17, s16
	s_xor_b32 s16, exec_lo, s17
	s_cbranch_execz .LBB87_45
	s_branch .LBB87_44
.LBB87_42:                              ;   in Loop: Header=BB87_8 Depth=1
	s_or_b32 exec_lo, exec_lo, s16
	s_andn2_b32 vcc_lo, exec_lo, s13
	s_cbranch_vccnz .LBB87_41
.LBB87_43:                              ;   in Loop: Header=BB87_8 Depth=1
	v_lshlrev_b64 v[102:103], 1, v[2:3]
	v_add_co_u32 v102, vcc_lo, s46, v102
	v_add_co_ci_u32_e64 v103, null, s47, v103, vcc_lo
	global_load_ushort v99, v[102:103], off offset:64
	s_waitcnt vmcnt(0)
	v_cvt_f32_f16_e32 v99, v99
	v_mul_f32_e32 v99, v40, v99
	v_cmp_ngt_f32_e64 s16, 0x3f200000, |v92|
                                        ; implicit-def: $vgpr106
	s_and_saveexec_b32 s17, s16
	s_xor_b32 s16, exec_lo, s17
	s_cbranch_execz .LBB87_45
.LBB87_44:                              ;   in Loop: Header=BB87_8 Depth=1
	v_add_f32_e64 v102, |v92|, |v92|
	v_mul_f32_e32 v103, 0x3fb8aa3b, v102
	v_cmp_ngt_f32_e32 vcc_lo, 0xc2ce8ed0, v102
	v_rndne_f32_e32 v106, v103
	v_fma_f32 v107, 0x3fb8aa3b, v102, -v103
	v_sub_f32_e32 v103, v103, v106
	v_fmac_f32_e32 v107, 0x32a5705f, v102
	v_cvt_i32_f32_e32 v106, v106
	v_add_f32_e32 v103, v103, v107
	v_exp_f32_e32 v103, v103
	v_ldexp_f32 v103, v103, v106
	v_cndmask_b32_e32 v103, 0, v103, vcc_lo
	v_cmp_nlt_f32_e32 vcc_lo, 0x42b17218, v102
	v_cndmask_b32_e32 v102, 0x7f800000, v103, vcc_lo
	v_add_f32_e32 v102, 1.0, v102
	v_rcp_f32_e32 v102, v102
	v_fma_f32 v106, v102, -2.0, 1.0
.LBB87_45:                              ;   in Loop: Header=BB87_8 Depth=1
	s_andn2_saveexec_b32 s16, s16
	s_cbranch_execz .LBB87_48
; %bb.46:                               ;   in Loop: Header=BB87_8 Depth=1
	v_mul_f32_e32 v102, v92, v92
	v_fmaak_f32 v103, s15, v102, 0x3ca908c9
	v_fmaak_f32 v103, v102, v103, 0xbd5c1c4e
	;; [unrolled: 1-line block ×4, first 2 shown]
	v_mul_f32_e64 v103, |v92|, v103
	v_fma_f32 v106, v102, v103, |v92|
	s_or_b32 exec_lo, exec_lo, s16
	s_andn2_b32 vcc_lo, exec_lo, s13
	s_cbranch_vccz .LBB87_49
.LBB87_47:                              ;   in Loop: Header=BB87_8 Depth=1
	v_mov_b32_e32 v102, 0
	v_cmp_ngt_f32_e64 s16, 0x3f200000, |v93|
                                        ; implicit-def: $vgpr107
	s_and_saveexec_b32 s17, s16
	s_xor_b32 s16, exec_lo, s17
	s_cbranch_execz .LBB87_51
	s_branch .LBB87_50
.LBB87_48:                              ;   in Loop: Header=BB87_8 Depth=1
	s_or_b32 exec_lo, exec_lo, s16
	s_andn2_b32 vcc_lo, exec_lo, s13
	s_cbranch_vccnz .LBB87_47
.LBB87_49:                              ;   in Loop: Header=BB87_8 Depth=1
	v_lshlrev_b64 v[102:103], 1, v[2:3]
	v_add_co_u32 v102, vcc_lo, s46, v102
	v_add_co_ci_u32_e64 v103, null, s47, v103, vcc_lo
	global_load_ushort v102, v[102:103], off offset:128
	s_waitcnt vmcnt(0)
	v_cvt_f32_f16_e32 v102, v102
	v_mul_f32_e32 v102, v40, v102
	v_cmp_ngt_f32_e64 s16, 0x3f200000, |v93|
                                        ; implicit-def: $vgpr107
	s_and_saveexec_b32 s17, s16
	s_xor_b32 s16, exec_lo, s17
	s_cbranch_execz .LBB87_51
.LBB87_50:                              ;   in Loop: Header=BB87_8 Depth=1
	v_add_f32_e64 v103, |v93|, |v93|
	v_mul_f32_e32 v107, 0x3fb8aa3b, v103
	v_cmp_ngt_f32_e32 vcc_lo, 0xc2ce8ed0, v103
	v_rndne_f32_e32 v108, v107
	v_fma_f32 v109, 0x3fb8aa3b, v103, -v107
	v_sub_f32_e32 v107, v107, v108
	v_fmac_f32_e32 v109, 0x32a5705f, v103
	v_cvt_i32_f32_e32 v108, v108
	v_add_f32_e32 v107, v107, v109
	v_exp_f32_e32 v107, v107
	v_ldexp_f32 v107, v107, v108
	v_cndmask_b32_e32 v107, 0, v107, vcc_lo
	v_cmp_nlt_f32_e32 vcc_lo, 0x42b17218, v103
	v_cndmask_b32_e32 v103, 0x7f800000, v107, vcc_lo
	v_add_f32_e32 v103, 1.0, v103
	v_rcp_f32_e32 v103, v103
	v_fma_f32 v107, v103, -2.0, 1.0
.LBB87_51:                              ;   in Loop: Header=BB87_8 Depth=1
	s_andn2_saveexec_b32 s16, s16
	s_cbranch_execz .LBB87_54
; %bb.52:                               ;   in Loop: Header=BB87_8 Depth=1
	v_mul_f32_e32 v103, v93, v93
	v_fmaak_f32 v107, s15, v103, 0x3ca908c9
	v_fmaak_f32 v107, v103, v107, 0xbd5c1c4e
	;; [unrolled: 1-line block ×4, first 2 shown]
	v_mul_f32_e64 v107, |v93|, v107
	v_fma_f32 v107, v103, v107, |v93|
	s_or_b32 exec_lo, exec_lo, s16
	s_andn2_b32 vcc_lo, exec_lo, s13
	s_cbranch_vccz .LBB87_55
.LBB87_53:                              ;   in Loop: Header=BB87_8 Depth=1
	v_mov_b32_e32 v103, 0
	s_branch .LBB87_56
.LBB87_54:                              ;   in Loop: Header=BB87_8 Depth=1
	s_or_b32 exec_lo, exec_lo, s16
	s_andn2_b32 vcc_lo, exec_lo, s13
	s_cbranch_vccnz .LBB87_53
.LBB87_55:                              ;   in Loop: Header=BB87_8 Depth=1
	v_lshlrev_b64 v[2:3], 1, v[2:3]
	v_add_co_u32 v2, vcc_lo, s46, v2
	v_add_co_ci_u32_e64 v3, null, s47, v3, vcc_lo
	global_load_ushort v2, v[2:3], off offset:192
	s_waitcnt vmcnt(0)
	v_cvt_f32_f16_e32 v2, v2
	v_mul_f32_e32 v103, v40, v2
.LBB87_56:                              ;   in Loop: Header=BB87_8 Depth=1
	v_bfi_b32 v2, 0x7fffffff, v104, v90
	v_bfi_b32 v3, 0x7fffffff, v105, v91
	;; [unrolled: 1-line block ×3, first 2 shown]
	v_cmp_ngt_f32_e64 s16, 0x3f200000, |v86|
                                        ; implicit-def: $vgpr106
	v_fmac_f32_e32 v94, s19, v2
	v_fmac_f32_e32 v99, s19, v3
	v_bfi_b32 v2, 0x7fffffff, v107, v93
	v_fmac_f32_e32 v102, s19, v90
	v_add_f32_e32 v3, 0x40051340, v94
	v_add_f32_e32 v90, 0x40051340, v99
	v_fmac_f32_e32 v103, s19, v2
	v_add_f32_e32 v2, 0x40051340, v102
	v_max3_f32 v3, v79, v3, v90
	v_add_f32_e32 v90, 0x40051340, v103
	v_max3_f32 v2, v3, v2, v90
	ds_bpermute_b32 v3, v5, v2
	s_waitcnt lgkmcnt(0)
	v_max_f32_e32 v3, v3, v3
	v_max_f32_e32 v2, v2, v3
	ds_bpermute_b32 v3, v95, v2
	s_waitcnt lgkmcnt(0)
	v_max_f32_e32 v3, v3, v3
	v_max_f32_e32 v2, v2, v3
	;; [unrolled: 4-line block ×4, first 2 shown]
	ds_bpermute_b32 v104, v98, v93
	s_and_saveexec_b32 s17, s16
	s_xor_b32 s16, exec_lo, s17
	s_cbranch_execz .LBB87_58
; %bb.57:                               ;   in Loop: Header=BB87_8 Depth=1
	v_add_f32_e64 v2, |v86|, |v86|
	v_mul_f32_e32 v3, 0x3fb8aa3b, v2
	v_cmp_ngt_f32_e32 vcc_lo, 0xc2ce8ed0, v2
	v_rndne_f32_e32 v90, v3
	v_fma_f32 v91, 0x3fb8aa3b, v2, -v3
	v_sub_f32_e32 v3, v3, v90
	v_fmac_f32_e32 v91, 0x32a5705f, v2
	v_cvt_i32_f32_e32 v90, v90
	v_add_f32_e32 v3, v3, v91
	v_exp_f32_e32 v3, v3
	v_ldexp_f32 v3, v3, v90
	v_cndmask_b32_e32 v3, 0, v3, vcc_lo
	v_cmp_nlt_f32_e32 vcc_lo, 0x42b17218, v2
	v_cndmask_b32_e32 v2, 0x7f800000, v3, vcc_lo
	v_add_f32_e32 v2, 1.0, v2
	v_rcp_f32_e32 v2, v2
	v_fma_f32 v106, v2, -2.0, 1.0
.LBB87_58:                              ;   in Loop: Header=BB87_8 Depth=1
	s_andn2_saveexec_b32 s16, s16
	s_cbranch_execz .LBB87_60
; %bb.59:                               ;   in Loop: Header=BB87_8 Depth=1
	v_mul_f32_e32 v2, v86, v86
	v_fmaak_f32 v3, s15, v2, 0x3ca908c9
	v_fmaak_f32 v3, v2, v3, 0xbd5c1c4e
	v_fmaak_f32 v3, v2, v3, 0x3e088382
	v_fmaak_f32 v3, v2, v3, 0xbeaaaa99
	v_mul_f32_e64 v3, |v86|, v3
	v_fma_f32 v106, v2, v3, |v86|
.LBB87_60:                              ;   in Loop: Header=BB87_8 Depth=1
	s_or_b32 exec_lo, exec_lo, s16
	v_add_nc_u32_e32 v2, v4, v65
	s_andn2_b32 vcc_lo, exec_lo, s13
	v_ashrrev_i32_e32 v3, 31, v2
	s_cbranch_vccnz .LBB87_108
; %bb.61:                               ;   in Loop: Header=BB87_8 Depth=1
	v_lshlrev_b64 v[90:91], 1, v[2:3]
	v_add_co_u32 v90, vcc_lo, s46, v90
	v_add_co_ci_u32_e64 v91, null, s47, v91, vcc_lo
	global_load_ushort v90, v[90:91], off
	s_waitcnt vmcnt(0)
	v_cvt_f32_f16_e32 v90, v90
	v_mul_f32_e32 v90, v40, v90
	v_cmp_ngt_f32_e64 s16, 0x3f200000, |v87|
                                        ; implicit-def: $vgpr107
	s_and_saveexec_b32 s17, s16
	s_xor_b32 s16, exec_lo, s17
	s_cbranch_execz .LBB87_63
.LBB87_62:                              ;   in Loop: Header=BB87_8 Depth=1
	v_add_f32_e64 v91, |v87|, |v87|
	v_mul_f32_e32 v92, 0x3fb8aa3b, v91
	v_cmp_ngt_f32_e32 vcc_lo, 0xc2ce8ed0, v91
	v_rndne_f32_e32 v105, v92
	v_fma_f32 v107, 0x3fb8aa3b, v91, -v92
	v_sub_f32_e32 v92, v92, v105
	v_fmac_f32_e32 v107, 0x32a5705f, v91
	v_cvt_i32_f32_e32 v105, v105
	v_add_f32_e32 v92, v92, v107
	v_exp_f32_e32 v92, v92
	v_ldexp_f32 v92, v92, v105
	v_cndmask_b32_e32 v92, 0, v92, vcc_lo
	v_cmp_nlt_f32_e32 vcc_lo, 0x42b17218, v91
	v_cndmask_b32_e32 v91, 0x7f800000, v92, vcc_lo
	v_add_f32_e32 v91, 1.0, v91
	v_rcp_f32_e32 v91, v91
	v_fma_f32 v107, v91, -2.0, 1.0
.LBB87_63:                              ;   in Loop: Header=BB87_8 Depth=1
	s_andn2_saveexec_b32 s16, s16
	s_cbranch_execz .LBB87_66
; %bb.64:                               ;   in Loop: Header=BB87_8 Depth=1
	v_mul_f32_e32 v91, v87, v87
	v_fmaak_f32 v92, s15, v91, 0x3ca908c9
	v_fmaak_f32 v92, v91, v92, 0xbd5c1c4e
	;; [unrolled: 1-line block ×4, first 2 shown]
	v_mul_f32_e64 v92, |v87|, v92
	v_fma_f32 v107, v91, v92, |v87|
	s_or_b32 exec_lo, exec_lo, s16
	s_andn2_b32 vcc_lo, exec_lo, s13
	s_cbranch_vccz .LBB87_67
.LBB87_65:                              ;   in Loop: Header=BB87_8 Depth=1
	v_mov_b32_e32 v91, 0
	v_cmp_ngt_f32_e64 s16, 0x3f200000, |v88|
                                        ; implicit-def: $vgpr108
	s_and_saveexec_b32 s17, s16
	s_xor_b32 s16, exec_lo, s17
	s_cbranch_execz .LBB87_69
	s_branch .LBB87_68
.LBB87_66:                              ;   in Loop: Header=BB87_8 Depth=1
	s_or_b32 exec_lo, exec_lo, s16
	s_andn2_b32 vcc_lo, exec_lo, s13
	s_cbranch_vccnz .LBB87_65
.LBB87_67:                              ;   in Loop: Header=BB87_8 Depth=1
	v_lshlrev_b64 v[91:92], 1, v[2:3]
	v_add_co_u32 v91, vcc_lo, s46, v91
	v_add_co_ci_u32_e64 v92, null, s47, v92, vcc_lo
	global_load_ushort v91, v[91:92], off offset:64
	s_waitcnt vmcnt(0)
	v_cvt_f32_f16_e32 v91, v91
	v_mul_f32_e32 v91, v40, v91
	v_cmp_ngt_f32_e64 s16, 0x3f200000, |v88|
                                        ; implicit-def: $vgpr108
	s_and_saveexec_b32 s17, s16
	s_xor_b32 s16, exec_lo, s17
	s_cbranch_execz .LBB87_69
.LBB87_68:                              ;   in Loop: Header=BB87_8 Depth=1
	v_add_f32_e64 v92, |v88|, |v88|
	v_mul_f32_e32 v105, 0x3fb8aa3b, v92
	v_cmp_ngt_f32_e32 vcc_lo, 0xc2ce8ed0, v92
	v_rndne_f32_e32 v108, v105
	v_fma_f32 v109, 0x3fb8aa3b, v92, -v105
	v_sub_f32_e32 v105, v105, v108
	v_fmac_f32_e32 v109, 0x32a5705f, v92
	v_cvt_i32_f32_e32 v108, v108
	v_add_f32_e32 v105, v105, v109
	v_exp_f32_e32 v105, v105
	v_ldexp_f32 v105, v105, v108
	v_cndmask_b32_e32 v105, 0, v105, vcc_lo
	v_cmp_nlt_f32_e32 vcc_lo, 0x42b17218, v92
	v_cndmask_b32_e32 v92, 0x7f800000, v105, vcc_lo
	v_add_f32_e32 v92, 1.0, v92
	v_rcp_f32_e32 v92, v92
	v_fma_f32 v108, v92, -2.0, 1.0
.LBB87_69:                              ;   in Loop: Header=BB87_8 Depth=1
	s_andn2_saveexec_b32 s16, s16
	s_cbranch_execz .LBB87_72
; %bb.70:                               ;   in Loop: Header=BB87_8 Depth=1
	v_mul_f32_e32 v92, v88, v88
	v_fmaak_f32 v105, s15, v92, 0x3ca908c9
	v_fmaak_f32 v105, v92, v105, 0xbd5c1c4e
	;; [unrolled: 1-line block ×4, first 2 shown]
	v_mul_f32_e64 v105, |v88|, v105
	v_fma_f32 v108, v92, v105, |v88|
	s_or_b32 exec_lo, exec_lo, s16
	s_andn2_b32 vcc_lo, exec_lo, s13
	s_cbranch_vccz .LBB87_73
.LBB87_71:                              ;   in Loop: Header=BB87_8 Depth=1
	v_mov_b32_e32 v92, 0
	v_cmp_ngt_f32_e64 s16, 0x3f200000, |v89|
                                        ; implicit-def: $vgpr109
	s_and_saveexec_b32 s17, s16
	s_xor_b32 s16, exec_lo, s17
	s_cbranch_execz .LBB87_75
	s_branch .LBB87_74
.LBB87_72:                              ;   in Loop: Header=BB87_8 Depth=1
	s_or_b32 exec_lo, exec_lo, s16
	s_andn2_b32 vcc_lo, exec_lo, s13
	s_cbranch_vccnz .LBB87_71
.LBB87_73:                              ;   in Loop: Header=BB87_8 Depth=1
	v_lshlrev_b64 v[109:110], 1, v[2:3]
	v_add_co_u32 v109, vcc_lo, s46, v109
	v_add_co_ci_u32_e64 v110, null, s47, v110, vcc_lo
	global_load_ushort v92, v[109:110], off offset:128
	s_waitcnt vmcnt(0)
	v_cvt_f32_f16_e32 v92, v92
	v_mul_f32_e32 v92, v40, v92
	v_cmp_ngt_f32_e64 s16, 0x3f200000, |v89|
                                        ; implicit-def: $vgpr109
	s_and_saveexec_b32 s17, s16
	s_xor_b32 s16, exec_lo, s17
	s_cbranch_execz .LBB87_75
.LBB87_74:                              ;   in Loop: Header=BB87_8 Depth=1
	v_add_f32_e64 v105, |v89|, |v89|
	v_mul_f32_e32 v109, 0x3fb8aa3b, v105
	v_cmp_ngt_f32_e32 vcc_lo, 0xc2ce8ed0, v105
	v_rndne_f32_e32 v110, v109
	v_fma_f32 v111, 0x3fb8aa3b, v105, -v109
	v_sub_f32_e32 v109, v109, v110
	v_fmac_f32_e32 v111, 0x32a5705f, v105
	v_cvt_i32_f32_e32 v110, v110
	v_add_f32_e32 v109, v109, v111
	v_exp_f32_e32 v109, v109
	v_ldexp_f32 v109, v109, v110
	v_cndmask_b32_e32 v109, 0, v109, vcc_lo
	v_cmp_nlt_f32_e32 vcc_lo, 0x42b17218, v105
	v_cndmask_b32_e32 v105, 0x7f800000, v109, vcc_lo
	v_add_f32_e32 v105, 1.0, v105
	v_rcp_f32_e32 v105, v105
	v_fma_f32 v109, v105, -2.0, 1.0
.LBB87_75:                              ;   in Loop: Header=BB87_8 Depth=1
	s_andn2_saveexec_b32 s16, s16
	s_cbranch_execz .LBB87_78
; %bb.76:                               ;   in Loop: Header=BB87_8 Depth=1
	v_mul_f32_e32 v105, v89, v89
	v_fmaak_f32 v109, s15, v105, 0x3ca908c9
	v_fmaak_f32 v109, v105, v109, 0xbd5c1c4e
	v_fmaak_f32 v109, v105, v109, 0x3e088382
	v_fmaak_f32 v109, v105, v109, 0xbeaaaa99
	v_mul_f32_e64 v109, |v89|, v109
	v_fma_f32 v109, v105, v109, |v89|
	s_or_b32 exec_lo, exec_lo, s16
	s_andn2_b32 vcc_lo, exec_lo, s13
	s_cbranch_vccz .LBB87_79
.LBB87_77:                              ;   in Loop: Header=BB87_8 Depth=1
	v_mov_b32_e32 v105, 0
	s_branch .LBB87_80
.LBB87_78:                              ;   in Loop: Header=BB87_8 Depth=1
	s_or_b32 exec_lo, exec_lo, s16
	s_andn2_b32 vcc_lo, exec_lo, s13
	s_cbranch_vccnz .LBB87_77
.LBB87_79:                              ;   in Loop: Header=BB87_8 Depth=1
	v_lshlrev_b64 v[2:3], 1, v[2:3]
	v_add_co_u32 v2, vcc_lo, s46, v2
	v_add_co_ci_u32_e64 v3, null, s47, v3, vcc_lo
	global_load_ushort v2, v[2:3], off offset:192
	s_waitcnt vmcnt(0)
	v_cvt_f32_f16_e32 v2, v2
	v_mul_f32_e32 v105, v40, v2
.LBB87_80:                              ;   in Loop: Header=BB87_8 Depth=1
	v_bfi_b32 v2, 0x7fffffff, v106, v86
	v_bfi_b32 v3, 0x7fffffff, v107, v87
	;; [unrolled: 1-line block ×3, first 2 shown]
	v_cmp_ngt_f32_e64 s16, 0x3f200000, |v82|
                                        ; implicit-def: $vgpr108
	v_fmac_f32_e32 v90, s19, v2
	v_fmac_f32_e32 v91, s19, v3
	v_bfi_b32 v2, 0x7fffffff, v109, v89
	v_fmac_f32_e32 v92, s19, v86
	v_add_f32_e32 v3, 0x40051340, v90
	v_add_f32_e32 v86, 0x40051340, v91
	v_fmac_f32_e32 v105, s19, v2
	v_add_f32_e32 v2, 0x40051340, v92
	v_max3_f32 v3, v77, v3, v86
	v_add_f32_e32 v86, 0x40051340, v105
	v_max3_f32 v2, v3, v2, v86
	ds_bpermute_b32 v3, v5, v2
	s_waitcnt lgkmcnt(0)
	v_max_f32_e32 v3, v3, v3
	v_max_f32_e32 v2, v2, v3
	ds_bpermute_b32 v3, v95, v2
	s_waitcnt lgkmcnt(0)
	v_max_f32_e32 v3, v3, v3
	v_max_f32_e32 v2, v2, v3
	;; [unrolled: 4-line block ×4, first 2 shown]
	ds_bpermute_b32 v107, v98, v106
	s_and_saveexec_b32 s17, s16
	s_xor_b32 s16, exec_lo, s17
	s_cbranch_execz .LBB87_82
; %bb.81:                               ;   in Loop: Header=BB87_8 Depth=1
	v_add_f32_e64 v2, |v82|, |v82|
	v_mul_f32_e32 v3, 0x3fb8aa3b, v2
	v_cmp_ngt_f32_e32 vcc_lo, 0xc2ce8ed0, v2
	v_rndne_f32_e32 v86, v3
	v_fma_f32 v87, 0x3fb8aa3b, v2, -v3
	v_sub_f32_e32 v3, v3, v86
	v_fmac_f32_e32 v87, 0x32a5705f, v2
	v_cvt_i32_f32_e32 v86, v86
	v_add_f32_e32 v3, v3, v87
	v_exp_f32_e32 v3, v3
	v_ldexp_f32 v3, v3, v86
	v_cndmask_b32_e32 v3, 0, v3, vcc_lo
	v_cmp_nlt_f32_e32 vcc_lo, 0x42b17218, v2
	v_cndmask_b32_e32 v2, 0x7f800000, v3, vcc_lo
	v_add_f32_e32 v2, 1.0, v2
	v_rcp_f32_e32 v2, v2
	v_fma_f32 v108, v2, -2.0, 1.0
.LBB87_82:                              ;   in Loop: Header=BB87_8 Depth=1
	s_andn2_saveexec_b32 s16, s16
	s_cbranch_execz .LBB87_84
; %bb.83:                               ;   in Loop: Header=BB87_8 Depth=1
	v_mul_f32_e32 v2, v82, v82
	v_fmaak_f32 v3, s15, v2, 0x3ca908c9
	v_fmaak_f32 v3, v2, v3, 0xbd5c1c4e
	;; [unrolled: 1-line block ×4, first 2 shown]
	v_mul_f32_e64 v3, |v82|, v3
	v_fma_f32 v108, v2, v3, |v82|
.LBB87_84:                              ;   in Loop: Header=BB87_8 Depth=1
	s_or_b32 exec_lo, exec_lo, s16
	v_add_nc_u32_e32 v2, v4, v66
	s_andn2_b32 vcc_lo, exec_lo, s13
	v_ashrrev_i32_e32 v3, 31, v2
	s_cbranch_vccnz .LBB87_109
; %bb.85:                               ;   in Loop: Header=BB87_8 Depth=1
	v_lshlrev_b64 v[86:87], 1, v[2:3]
	v_add_co_u32 v86, vcc_lo, s46, v86
	v_add_co_ci_u32_e64 v87, null, s47, v87, vcc_lo
	global_load_ushort v4, v[86:87], off
	s_waitcnt vmcnt(0)
	v_cvt_f32_f16_e32 v4, v4
	v_mul_f32_e32 v86, v40, v4
	v_cmp_ngt_f32_e64 s16, 0x3f200000, |v83|
                                        ; implicit-def: $vgpr4
	s_and_saveexec_b32 s17, s16
	s_xor_b32 s16, exec_lo, s17
	s_cbranch_execz .LBB87_87
.LBB87_86:                              ;   in Loop: Header=BB87_8 Depth=1
	v_add_f32_e64 v4, |v83|, |v83|
	v_mul_f32_e32 v87, 0x3fb8aa3b, v4
	v_cmp_ngt_f32_e32 vcc_lo, 0xc2ce8ed0, v4
	v_rndne_f32_e32 v88, v87
	v_fma_f32 v89, 0x3fb8aa3b, v4, -v87
	v_sub_f32_e32 v87, v87, v88
	v_fmac_f32_e32 v89, 0x32a5705f, v4
	v_cvt_i32_f32_e32 v88, v88
	v_add_f32_e32 v87, v87, v89
	v_exp_f32_e32 v87, v87
	v_ldexp_f32 v87, v87, v88
	v_cndmask_b32_e32 v87, 0, v87, vcc_lo
	v_cmp_nlt_f32_e32 vcc_lo, 0x42b17218, v4
	v_cndmask_b32_e32 v4, 0x7f800000, v87, vcc_lo
	v_add_f32_e32 v4, 1.0, v4
	v_rcp_f32_e32 v4, v4
	v_fma_f32 v4, v4, -2.0, 1.0
.LBB87_87:                              ;   in Loop: Header=BB87_8 Depth=1
	s_andn2_saveexec_b32 s16, s16
	s_cbranch_execz .LBB87_90
; %bb.88:                               ;   in Loop: Header=BB87_8 Depth=1
	v_mul_f32_e32 v4, v83, v83
	v_fmaak_f32 v87, s15, v4, 0x3ca908c9
	v_fmaak_f32 v87, v4, v87, 0xbd5c1c4e
	;; [unrolled: 1-line block ×4, first 2 shown]
	v_mul_f32_e64 v87, |v83|, v87
	v_fma_f32 v4, v4, v87, |v83|
	s_or_b32 exec_lo, exec_lo, s16
	s_andn2_b32 vcc_lo, exec_lo, s13
	s_cbranch_vccz .LBB87_91
.LBB87_89:                              ;   in Loop: Header=BB87_8 Depth=1
	v_mov_b32_e32 v87, 0
	v_cmp_ngt_f32_e64 s16, 0x3f200000, |v84|
                                        ; implicit-def: $vgpr109
	s_and_saveexec_b32 s17, s16
	s_xor_b32 s16, exec_lo, s17
	s_cbranch_execz .LBB87_93
	s_branch .LBB87_92
.LBB87_90:                              ;   in Loop: Header=BB87_8 Depth=1
	s_or_b32 exec_lo, exec_lo, s16
	s_andn2_b32 vcc_lo, exec_lo, s13
	s_cbranch_vccnz .LBB87_89
.LBB87_91:                              ;   in Loop: Header=BB87_8 Depth=1
	v_lshlrev_b64 v[87:88], 1, v[2:3]
	v_add_co_u32 v87, vcc_lo, s46, v87
	v_add_co_ci_u32_e64 v88, null, s47, v88, vcc_lo
	global_load_ushort v87, v[87:88], off offset:64
	s_waitcnt vmcnt(0)
	v_cvt_f32_f16_e32 v87, v87
	v_mul_f32_e32 v87, v40, v87
	v_cmp_ngt_f32_e64 s16, 0x3f200000, |v84|
                                        ; implicit-def: $vgpr109
	s_and_saveexec_b32 s17, s16
	s_xor_b32 s16, exec_lo, s17
	s_cbranch_execz .LBB87_93
.LBB87_92:                              ;   in Loop: Header=BB87_8 Depth=1
	v_add_f32_e64 v88, |v84|, |v84|
	v_mul_f32_e32 v89, 0x3fb8aa3b, v88
	v_cmp_ngt_f32_e32 vcc_lo, 0xc2ce8ed0, v88
	v_rndne_f32_e32 v109, v89
	v_fma_f32 v110, 0x3fb8aa3b, v88, -v89
	v_sub_f32_e32 v89, v89, v109
	v_fmac_f32_e32 v110, 0x32a5705f, v88
	v_cvt_i32_f32_e32 v109, v109
	v_add_f32_e32 v89, v89, v110
	v_exp_f32_e32 v89, v89
	v_ldexp_f32 v89, v89, v109
	v_cndmask_b32_e32 v89, 0, v89, vcc_lo
	v_cmp_nlt_f32_e32 vcc_lo, 0x42b17218, v88
	v_cndmask_b32_e32 v88, 0x7f800000, v89, vcc_lo
	v_add_f32_e32 v88, 1.0, v88
	v_rcp_f32_e32 v88, v88
	v_fma_f32 v109, v88, -2.0, 1.0
.LBB87_93:                              ;   in Loop: Header=BB87_8 Depth=1
	s_andn2_saveexec_b32 s16, s16
	s_cbranch_execz .LBB87_96
; %bb.94:                               ;   in Loop: Header=BB87_8 Depth=1
	v_mul_f32_e32 v88, v84, v84
	v_fmaak_f32 v89, s15, v88, 0x3ca908c9
	v_fmaak_f32 v89, v88, v89, 0xbd5c1c4e
	;; [unrolled: 1-line block ×4, first 2 shown]
	v_mul_f32_e64 v89, |v84|, v89
	v_fma_f32 v109, v88, v89, |v84|
	s_or_b32 exec_lo, exec_lo, s16
	s_andn2_b32 vcc_lo, exec_lo, s13
	s_cbranch_vccz .LBB87_97
.LBB87_95:                              ;   in Loop: Header=BB87_8 Depth=1
	v_mov_b32_e32 v88, 0
	v_cmp_ngt_f32_e64 s16, 0x3f200000, |v85|
                                        ; implicit-def: $vgpr110
	s_and_saveexec_b32 s17, s16
	s_xor_b32 s16, exec_lo, s17
	s_cbranch_execz .LBB87_99
	s_branch .LBB87_98
.LBB87_96:                              ;   in Loop: Header=BB87_8 Depth=1
	s_or_b32 exec_lo, exec_lo, s16
	s_andn2_b32 vcc_lo, exec_lo, s13
	s_cbranch_vccnz .LBB87_95
.LBB87_97:                              ;   in Loop: Header=BB87_8 Depth=1
	v_lshlrev_b64 v[88:89], 1, v[2:3]
	v_add_co_u32 v88, vcc_lo, s46, v88
	v_add_co_ci_u32_e64 v89, null, s47, v89, vcc_lo
	global_load_ushort v88, v[88:89], off offset:128
	s_waitcnt vmcnt(0)
	v_cvt_f32_f16_e32 v88, v88
	v_mul_f32_e32 v88, v40, v88
	v_cmp_ngt_f32_e64 s16, 0x3f200000, |v85|
                                        ; implicit-def: $vgpr110
	s_and_saveexec_b32 s17, s16
	s_xor_b32 s16, exec_lo, s17
	s_cbranch_execz .LBB87_99
.LBB87_98:                              ;   in Loop: Header=BB87_8 Depth=1
	v_add_f32_e64 v89, |v85|, |v85|
	v_mul_f32_e32 v110, 0x3fb8aa3b, v89
	v_cmp_ngt_f32_e32 vcc_lo, 0xc2ce8ed0, v89
	v_rndne_f32_e32 v111, v110
	v_fma_f32 v112, 0x3fb8aa3b, v89, -v110
	v_sub_f32_e32 v110, v110, v111
	v_fmac_f32_e32 v112, 0x32a5705f, v89
	v_cvt_i32_f32_e32 v111, v111
	v_add_f32_e32 v110, v110, v112
	v_exp_f32_e32 v110, v110
	v_ldexp_f32 v110, v110, v111
	v_cndmask_b32_e32 v110, 0, v110, vcc_lo
	v_cmp_nlt_f32_e32 vcc_lo, 0x42b17218, v89
	v_cndmask_b32_e32 v89, 0x7f800000, v110, vcc_lo
	v_add_f32_e32 v89, 1.0, v89
	v_rcp_f32_e32 v89, v89
	v_fma_f32 v110, v89, -2.0, 1.0
.LBB87_99:                              ;   in Loop: Header=BB87_8 Depth=1
	s_andn2_saveexec_b32 s16, s16
	s_cbranch_execz .LBB87_102
; %bb.100:                              ;   in Loop: Header=BB87_8 Depth=1
	v_mul_f32_e32 v89, v85, v85
	v_fmaak_f32 v110, s15, v89, 0x3ca908c9
	v_fmaak_f32 v110, v89, v110, 0xbd5c1c4e
	;; [unrolled: 1-line block ×4, first 2 shown]
	v_mul_f32_e64 v110, |v85|, v110
	v_fma_f32 v110, v89, v110, |v85|
	s_or_b32 exec_lo, exec_lo, s16
	s_andn2_b32 vcc_lo, exec_lo, s13
	s_cbranch_vccz .LBB87_103
.LBB87_101:                             ;   in Loop: Header=BB87_8 Depth=1
	v_mov_b32_e32 v89, 0
	s_branch .LBB87_104
.LBB87_102:                             ;   in Loop: Header=BB87_8 Depth=1
	s_or_b32 exec_lo, exec_lo, s16
	s_andn2_b32 vcc_lo, exec_lo, s13
	s_cbranch_vccnz .LBB87_101
.LBB87_103:                             ;   in Loop: Header=BB87_8 Depth=1
	v_lshlrev_b64 v[2:3], 1, v[2:3]
	v_add_co_u32 v2, vcc_lo, s46, v2
	v_add_co_ci_u32_e64 v3, null, s47, v3, vcc_lo
	global_load_ushort v2, v[2:3], off offset:192
	s_waitcnt vmcnt(0)
	v_cvt_f32_f16_e32 v2, v2
	v_mul_f32_e32 v89, v40, v2
.LBB87_104:                             ;   in Loop: Header=BB87_8 Depth=1
	v_bfi_b32 v2, 0x7fffffff, v108, v82
	v_bfi_b32 v3, 0x7fffffff, v4, v83
	;; [unrolled: 1-line block ×3, first 2 shown]
	s_mul_hi_i32 s17, s10, s22
	s_mul_i32 s16, s10, s22
	v_fmac_f32_e32 v86, s19, v2
	v_fmac_f32_e32 v87, s19, v3
	;; [unrolled: 1-line block ×3, first 2 shown]
	s_waitcnt lgkmcnt(0)
	s_barrier
	v_add_f32_e32 v2, 0x40051340, v86
	v_add_f32_e32 v3, 0x40051340, v87
	buffer_gl0_inv
	s_lshl_b64 s[16:17], s[16:17], 2
	s_add_u32 s16, s11, s16
	v_max3_f32 v82, v75, v2, v3
	v_bfi_b32 v2, 0x7fffffff, v109, v84
	v_max_f32_e32 v3, v106, v106
	v_max_f32_e32 v84, v100, v100
	s_addc_u32 s17, s14, s17
	v_fmac_f32_e32 v88, s19, v2
	v_max_f32_e32 v2, v107, v107
	v_add_f32_e32 v83, 0x40051340, v88
	v_max_f32_e32 v4, v3, v2
	v_max_f32_e32 v2, v104, v104
	;; [unrolled: 1-line block ×6, first 2 shown]
	v_add_f32_e32 v84, 0x40051340, v89
	v_sub_f32_e32 v22, v22, v2
	v_max3_f32 v82, v82, v83, v84
	v_sub_f32_e32 v23, v23, v2
	v_sub_f32_e32 v81, v81, v2
	v_cmp_ngt_f32_e32 vcc_lo, 0xc2ce8ed0, v22
	ds_bpermute_b32 v5, v5, v82
	s_waitcnt lgkmcnt(0)
	v_max_f32_e32 v5, v5, v5
	v_max_f32_e32 v5, v82, v5
	ds_bpermute_b32 v82, v95, v5
	s_waitcnt lgkmcnt(0)
	v_max_f32_e32 v82, v82, v82
	v_max_f32_e32 v5, v5, v82
	;; [unrolled: 4-line block ×5, first 2 shown]
	v_mul_f32_e32 v82, 0x3fb8aa3b, v22
	v_sub_f32_e32 v87, v87, v5
	v_fma_f32 v83, 0x3fb8aa3b, v22, -v82
	v_rndne_f32_e32 v84, v82
	v_sub_f32_e32 v88, v88, v5
	v_sub_f32_e32 v89, v89, v5
	;; [unrolled: 1-line block ×3, first 2 shown]
	v_fmac_f32_e32 v83, 0x32a5705f, v22
	v_sub_f32_e32 v82, v82, v84
	v_add_f32_e32 v82, v82, v83
	v_cvt_i32_f32_e32 v83, v84
	v_exp_f32_e32 v82, v82
	v_ldexp_f32 v82, v82, v83
	v_mul_f32_e32 v83, 0x3fb8aa3b, v23
	v_cndmask_b32_e32 v82, 0, v82, vcc_lo
	v_fma_f32 v84, 0x3fb8aa3b, v23, -v83
	v_rndne_f32_e32 v85, v83
	v_cmp_nlt_f32_e32 vcc_lo, 0x42b17218, v22
	v_fmac_f32_e32 v84, 0x32a5705f, v23
	v_sub_f32_e32 v83, v83, v85
	v_cndmask_b32_e32 v22, 0x7f800000, v82, vcc_lo
	v_cmp_ngt_f32_e32 vcc_lo, 0xc2ce8ed0, v23
	v_add_f32_e32 v83, v83, v84
	v_cvt_i32_f32_e32 v84, v85
	v_cvt_f16_f32_e32 v82, v22
	v_exp_f32_e32 v83, v83
	v_ldexp_f32 v83, v83, v84
	v_cndmask_b32_e32 v83, 0, v83, vcc_lo
	v_cmp_nlt_f32_e32 vcc_lo, 0x42b17218, v23
	v_cndmask_b32_e32 v23, 0x7f800000, v83, vcc_lo
	v_add_f32_e32 v22, v22, v23
	v_cvt_f16_f32_e32 v83, v23
	v_sub_f32_e32 v23, v24, v2
	v_mul_f32_e32 v24, 0x3fb8aa3b, v23
	v_cmp_ngt_f32_e32 vcc_lo, 0xc2ce8ed0, v23
	v_fma_f32 v84, 0x3fb8aa3b, v23, -v24
	v_rndne_f32_e32 v85, v24
	v_fmac_f32_e32 v84, 0x32a5705f, v23
	v_sub_f32_e32 v24, v24, v85
	v_add_f32_e32 v24, v24, v84
	v_cvt_i32_f32_e32 v84, v85
	v_exp_f32_e32 v24, v24
	v_ldexp_f32 v24, v24, v84
	v_cndmask_b32_e32 v24, 0, v24, vcc_lo
	v_cmp_nlt_f32_e32 vcc_lo, 0x42b17218, v23
	v_cndmask_b32_e32 v23, 0x7f800000, v24, vcc_lo
	v_add_f32_e32 v22, v23, v22
	v_cvt_f16_f32_e32 v84, v23
	v_sub_f32_e32 v23, v25, v2
	v_mul_f32_e32 v24, 0x3fb8aa3b, v23
	v_cmp_ngt_f32_e32 vcc_lo, 0xc2ce8ed0, v23
	v_fma_f32 v25, 0x3fb8aa3b, v23, -v24
	v_rndne_f32_e32 v85, v24
	v_fmac_f32_e32 v25, 0x32a5705f, v23
	v_sub_f32_e32 v24, v24, v85
	v_add_f32_e32 v24, v24, v25
	v_cvt_i32_f32_e32 v25, v85
	v_exp_f32_e32 v24, v24
	v_ldexp_f32 v24, v24, v25
	v_cndmask_b32_e32 v24, 0, v24, vcc_lo
	v_cmp_nlt_f32_e32 vcc_lo, 0x42b17218, v23
	v_cndmask_b32_e32 v23, 0x7f800000, v24, vcc_lo
	v_cmp_ngt_f32_e32 vcc_lo, 0xc2ce8ed0, v81
	v_add_f32_e32 v25, v23, v22
	v_mul_f32_e32 v22, 0x3fb8aa3b, v81
	v_cvt_f16_f32_e32 v85, v23
	v_fma_f32 v23, 0x3fb8aa3b, v81, -v22
	v_rndne_f32_e32 v24, v22
	v_fmac_f32_e32 v23, 0x32a5705f, v81
	v_sub_f32_e32 v22, v22, v24
	v_add_f32_e32 v22, v22, v23
	v_cvt_i32_f32_e32 v23, v24
	v_exp_f32_e32 v22, v22
	v_ldexp_f32 v22, v22, v23
	v_sub_f32_e32 v23, v94, v3
	v_cndmask_b32_e32 v22, 0, v22, vcc_lo
	v_cmp_nlt_f32_e32 vcc_lo, 0x42b17218, v81
	v_mul_f32_e32 v24, 0x3fb8aa3b, v23
	v_cndmask_b32_e32 v22, 0x7f800000, v22, vcc_lo
	v_rndne_f32_e32 v81, v24
	v_cmp_ngt_f32_e32 vcc_lo, 0xc2ce8ed0, v23
	v_fmac_f32_e32 v25, v80, v22
	v_cvt_f16_f32_e32 v22, v22
	v_mul_u32_u24_sdwa v80, v22, v73 dst_sel:DWORD dst_unused:UNUSED_PAD src0_sel:WORD_0 src1_sel:DWORD
	v_sub_f32_e32 v22, v79, v3
	v_fma_f32 v79, 0x3fb8aa3b, v23, -v24
	v_sub_f32_e32 v24, v24, v81
	v_pk_mul_f16 v54, v54, v80
	v_fmac_f32_e32 v79, 0x32a5705f, v23
	v_add_f32_e32 v24, v24, v79
	v_cvt_i32_f32_e32 v79, v81
	v_exp_f32_e32 v24, v24
	v_ldexp_f32 v24, v24, v79
	v_cndmask_b32_e32 v24, 0, v24, vcc_lo
	v_cmp_nlt_f32_e32 vcc_lo, 0x42b17218, v23
	v_cndmask_b32_e32 v23, 0x7f800000, v24, vcc_lo
	v_sub_f32_e32 v24, v99, v3
	v_cvt_f16_f32_e32 v79, v23
	v_mul_f32_e32 v81, 0x3fb8aa3b, v24
	v_cmp_ngt_f32_e32 vcc_lo, 0xc2ce8ed0, v24
	v_fma_f32 v93, 0x3fb8aa3b, v24, -v81
	v_rndne_f32_e32 v94, v81
	v_fmac_f32_e32 v93, 0x32a5705f, v24
	v_sub_f32_e32 v81, v81, v94
	v_add_f32_e32 v81, v81, v93
	v_cvt_i32_f32_e32 v93, v94
	v_exp_f32_e32 v81, v81
	v_ldexp_f32 v81, v81, v93
	v_cndmask_b32_e32 v81, 0, v81, vcc_lo
	v_cmp_nlt_f32_e32 vcc_lo, 0x42b17218, v24
	v_cndmask_b32_e32 v24, 0x7f800000, v81, vcc_lo
	v_add_f32_e32 v23, v23, v24
	v_cvt_f16_f32_e32 v81, v24
	v_sub_f32_e32 v24, v102, v3
	v_pack_b32_f16 v81, v83, v81
	v_mul_f32_e32 v93, 0x3fb8aa3b, v24
	v_cmp_ngt_f32_e32 vcc_lo, 0xc2ce8ed0, v24
	v_fma_f32 v94, 0x3fb8aa3b, v24, -v93
	v_rndne_f32_e32 v95, v93
	v_fmac_f32_e32 v94, 0x32a5705f, v24
	v_sub_f32_e32 v93, v93, v95
	v_add_f32_e32 v93, v93, v94
	v_cvt_i32_f32_e32 v94, v95
	v_exp_f32_e32 v93, v93
	v_ldexp_f32 v93, v93, v94
	v_cndmask_b32_e32 v93, 0, v93, vcc_lo
	v_cmp_nlt_f32_e32 vcc_lo, 0x42b17218, v24
	v_cndmask_b32_e32 v24, 0x7f800000, v93, vcc_lo
	v_add_f32_e32 v23, v24, v23
	v_cvt_f16_f32_e32 v93, v24
	v_sub_f32_e32 v24, v103, v3
	v_mul_f32_e32 v94, 0x3fb8aa3b, v24
	v_cmp_ngt_f32_e32 vcc_lo, 0xc2ce8ed0, v24
	v_fma_f32 v95, 0x3fb8aa3b, v24, -v94
	v_rndne_f32_e32 v96, v94
	v_fmac_f32_e32 v95, 0x32a5705f, v24
	v_sub_f32_e32 v94, v94, v96
	v_add_f32_e32 v94, v94, v95
	v_cvt_i32_f32_e32 v95, v96
	v_exp_f32_e32 v94, v94
	v_ldexp_f32 v94, v94, v95
	v_cndmask_b32_e32 v94, 0, v94, vcc_lo
	v_cmp_nlt_f32_e32 vcc_lo, 0x42b17218, v24
	v_cndmask_b32_e32 v94, 0x7f800000, v94, vcc_lo
	v_cmp_ngt_f32_e32 vcc_lo, 0xc2ce8ed0, v22
	v_add_f32_e32 v24, v94, v23
	v_mul_f32_e32 v23, 0x3fb8aa3b, v22
	v_cvt_f16_f32_e32 v94, v94
	v_fma_f32 v95, 0x3fb8aa3b, v22, -v23
	v_rndne_f32_e32 v96, v23
	v_fmac_f32_e32 v95, 0x32a5705f, v22
	v_sub_f32_e32 v23, v23, v96
	v_add_f32_e32 v23, v23, v95
	v_cvt_i32_f32_e32 v95, v96
	v_exp_f32_e32 v23, v23
	v_ldexp_f32 v23, v23, v95
	v_cndmask_b32_e32 v23, 0, v23, vcc_lo
	v_cmp_nlt_f32_e32 vcc_lo, 0x42b17218, v22
	v_cndmask_b32_e32 v22, 0x7f800000, v23, vcc_lo
	v_sub_f32_e32 v23, v90, v4
	v_fmac_f32_e32 v24, v78, v22
	v_cvt_f16_f32_e32 v22, v22
	v_cmp_ngt_f32_e32 vcc_lo, 0xc2ce8ed0, v23
	v_mul_u32_u24_sdwa v78, v22, v73 dst_sel:DWORD dst_unused:UNUSED_PAD src0_sel:WORD_0 src1_sel:DWORD
	v_sub_f32_e32 v22, v77, v4
	v_mul_f32_e32 v77, 0x3fb8aa3b, v23
	v_pk_mul_f16 v53, v53, v78
	v_fma_f32 v90, 0x3fb8aa3b, v23, -v77
	v_rndne_f32_e32 v95, v77
	v_fmac_f32_e32 v90, 0x32a5705f, v23
	v_sub_f32_e32 v77, v77, v95
	v_add_f32_e32 v77, v77, v90
	v_cvt_i32_f32_e32 v90, v95
	v_exp_f32_e32 v77, v77
	v_ldexp_f32 v77, v77, v90
	v_sub_f32_e32 v90, v91, v4
	v_cndmask_b32_e32 v77, 0, v77, vcc_lo
	v_mul_f32_e32 v91, 0x3fb8aa3b, v90
	v_cmp_nlt_f32_e32 vcc_lo, 0x42b17218, v23
	v_fma_f32 v95, 0x3fb8aa3b, v90, -v91
	v_rndne_f32_e32 v96, v91
	v_cndmask_b32_e32 v23, 0x7f800000, v77, vcc_lo
	v_cmp_ngt_f32_e32 vcc_lo, 0xc2ce8ed0, v90
	v_fmac_f32_e32 v95, 0x32a5705f, v90
	v_sub_f32_e32 v91, v91, v96
	v_cvt_f16_f32_e32 v77, v23
	v_add_f32_e32 v91, v91, v95
	v_cvt_i32_f32_e32 v95, v96
	v_exp_f32_e32 v91, v91
	v_ldexp_f32 v91, v91, v95
	v_cndmask_b32_e32 v91, 0, v91, vcc_lo
	v_cmp_nlt_f32_e32 vcc_lo, 0x42b17218, v90
	v_cndmask_b32_e32 v90, 0x7f800000, v91, vcc_lo
	v_sub_f32_e32 v91, v92, v4
	v_add_f32_e32 v23, v23, v90
	v_mul_f32_e32 v92, 0x3fb8aa3b, v91
	v_cmp_ngt_f32_e32 vcc_lo, 0xc2ce8ed0, v91
	v_cvt_f16_f32_e32 v90, v90
	v_fma_f32 v95, 0x3fb8aa3b, v91, -v92
	v_rndne_f32_e32 v96, v92
	v_fmac_f32_e32 v95, 0x32a5705f, v91
	v_sub_f32_e32 v92, v92, v96
	v_add_f32_e32 v92, v92, v95
	v_cvt_i32_f32_e32 v95, v96
	v_exp_f32_e32 v92, v92
	v_ldexp_f32 v92, v92, v95
	v_cndmask_b32_e32 v92, 0, v92, vcc_lo
	v_cmp_nlt_f32_e32 vcc_lo, 0x42b17218, v91
	v_cndmask_b32_e32 v91, 0x7f800000, v92, vcc_lo
	v_sub_f32_e32 v92, v105, v4
	v_add_f32_e32 v23, v91, v23
	v_mul_f32_e32 v95, 0x3fb8aa3b, v92
	v_cmp_ngt_f32_e32 vcc_lo, 0xc2ce8ed0, v92
	v_cvt_f16_f32_e32 v91, v91
	v_fma_f32 v96, 0x3fb8aa3b, v92, -v95
	v_rndne_f32_e32 v97, v95
	v_fmac_f32_e32 v96, 0x32a5705f, v92
	v_sub_f32_e32 v95, v95, v97
	v_add_f32_e32 v95, v95, v96
	v_cvt_i32_f32_e32 v96, v97
	v_exp_f32_e32 v95, v95
	v_ldexp_f32 v95, v95, v96
	v_cndmask_b32_e32 v95, 0, v95, vcc_lo
	v_cmp_nlt_f32_e32 vcc_lo, 0x42b17218, v92
	v_cndmask_b32_e32 v92, 0x7f800000, v95, vcc_lo
	v_mul_f32_e32 v95, 0x3fb8aa3b, v22
	v_cmp_ngt_f32_e32 vcc_lo, 0xc2ce8ed0, v22
	v_add_f32_e32 v23, v92, v23
	v_fma_f32 v96, 0x3fb8aa3b, v22, -v95
	v_rndne_f32_e32 v97, v95
	v_cvt_f16_f32_e32 v92, v92
	v_fmac_f32_e32 v96, 0x32a5705f, v22
	v_sub_f32_e32 v95, v95, v97
	v_add_f32_e32 v95, v95, v96
	v_cvt_i32_f32_e32 v96, v97
	v_exp_f32_e32 v95, v95
	v_ldexp_f32 v95, v95, v96
	v_cndmask_b32_e32 v95, 0, v95, vcc_lo
	v_cmp_nlt_f32_e32 vcc_lo, 0x42b17218, v22
	v_cndmask_b32_e32 v22, 0x7f800000, v95, vcc_lo
	v_fmac_f32_e32 v23, v76, v22
	v_cvt_f16_f32_e32 v22, v22
	v_mul_u32_u24_sdwa v76, v22, v73 dst_sel:DWORD dst_unused:UNUSED_PAD src0_sel:WORD_0 src1_sel:DWORD
	v_sub_f32_e32 v22, v86, v5
	v_pk_mul_f16 v52, v52, v76
	v_mul_f32_e32 v86, 0x3fb8aa3b, v22
	v_cmp_ngt_f32_e32 vcc_lo, 0xc2ce8ed0, v22
	v_fma_f32 v95, 0x3fb8aa3b, v22, -v86
	v_rndne_f32_e32 v96, v86
	v_fmac_f32_e32 v95, 0x32a5705f, v22
	v_sub_f32_e32 v86, v86, v96
	v_add_f32_e32 v86, v86, v95
	v_cvt_i32_f32_e32 v95, v96
	v_exp_f32_e32 v86, v86
	v_ldexp_f32 v86, v86, v95
	v_mul_f32_e32 v95, 0x3fb8aa3b, v87
	v_cndmask_b32_e32 v86, 0, v86, vcc_lo
	v_fma_f32 v96, 0x3fb8aa3b, v87, -v95
	v_rndne_f32_e32 v97, v95
	v_cmp_nlt_f32_e32 vcc_lo, 0x42b17218, v22
	v_fmac_f32_e32 v96, 0x32a5705f, v87
	v_sub_f32_e32 v95, v95, v97
	v_cndmask_b32_e32 v22, 0x7f800000, v86, vcc_lo
	v_cmp_ngt_f32_e32 vcc_lo, 0xc2ce8ed0, v87
	v_add_f32_e32 v95, v95, v96
	v_cvt_i32_f32_e32 v96, v97
	v_cvt_f16_f32_e32 v86, v22
	v_exp_f32_e32 v95, v95
	v_ldexp_f32 v95, v95, v96
	v_cndmask_b32_e32 v95, 0, v95, vcc_lo
	v_cmp_nlt_f32_e32 vcc_lo, 0x42b17218, v87
	v_cndmask_b32_e32 v87, 0x7f800000, v95, vcc_lo
	v_mul_f32_e32 v95, 0x3fb8aa3b, v88
	v_cmp_ngt_f32_e32 vcc_lo, 0xc2ce8ed0, v88
	v_add_f32_e32 v22, v22, v87
	v_fma_f32 v96, 0x3fb8aa3b, v88, -v95
	v_rndne_f32_e32 v97, v95
	v_cvt_f16_f32_e32 v87, v87
	v_fmac_f32_e32 v96, 0x32a5705f, v88
	v_sub_f32_e32 v95, v95, v97
	v_add_f32_e32 v95, v95, v96
	v_cvt_i32_f32_e32 v96, v97
	v_exp_f32_e32 v95, v95
	v_ldexp_f32 v95, v95, v96
	v_cndmask_b32_e32 v95, 0, v95, vcc_lo
	v_cmp_nlt_f32_e32 vcc_lo, 0x42b17218, v88
	v_cndmask_b32_e32 v88, 0x7f800000, v95, vcc_lo
	v_mul_f32_e32 v95, 0x3fb8aa3b, v89
	v_cmp_ngt_f32_e32 vcc_lo, 0xc2ce8ed0, v89
	v_add_f32_e32 v22, v88, v22
	v_fma_f32 v96, 0x3fb8aa3b, v89, -v95
	v_rndne_f32_e32 v97, v95
	v_cvt_f16_f32_e32 v88, v88
	v_fmac_f32_e32 v96, 0x32a5705f, v89
	v_sub_f32_e32 v95, v95, v97
	v_add_f32_e32 v95, v95, v96
	v_cvt_i32_f32_e32 v96, v97
	;; [unrolled: 15-line block ×3, first 2 shown]
	v_exp_f32_e32 v95, v95
	v_ldexp_f32 v95, v95, v96
	v_cndmask_b32_e32 v95, 0, v95, vcc_lo
	v_cmp_nlt_f32_e32 vcc_lo, 0x42b17218, v75
	v_cndmask_b32_e32 v75, 0x7f800000, v95, vcc_lo
	v_add_nc_u32_e32 v95, v41, v37
	v_fmac_f32_e32 v22, v74, v75
	v_cvt_f16_f32_e32 v74, v75
	v_pack_b32_f16 v75, v77, v86
	v_mul_u32_u24_sdwa v74, v74, v73 dst_sel:DWORD dst_unused:UNUSED_PAD src0_sel:WORD_0 src1_sel:DWORD
	v_pk_mul_f16 v51, v51, v74
	v_pk_mul_f16 v50, v50, v74
	v_pack_b32_f16 v74, v82, v79
	v_pack_b32_f16 v82, v90, v87
	ds_write2_b64 v95, v[74:75], v[81:82] offset1:32
	v_pack_b32_f16 v75, v91, v88
	v_pack_b32_f16 v74, v84, v93
	;; [unrolled: 1-line block ×4, first 2 shown]
	ds_write2_b64 v95, v[74:75], v[81:82] offset0:64 offset1:96
	v_add_co_u32 v74, vcc_lo, s16, v14
	v_add_co_ci_u32_e64 v75, null, s17, v15, vcc_lo
	v_add_co_u32 v74, vcc_lo, v74, v71
	v_add_co_ci_u32_e64 v75, null, 0, v75, vcc_lo
	global_load_dwordx4 v[81:84], v[74:75], off
	v_add_co_u32 v74, vcc_lo, s16, v16
	v_add_co_ci_u32_e64 v75, null, s17, v17, vcc_lo
	v_add_co_u32 v74, vcc_lo, v74, v71
	v_add_co_ci_u32_e64 v75, null, 0, v75, vcc_lo
	s_waitcnt vmcnt(0)
	ds_write_b128 v64, v[81:84]
	global_load_dwordx4 v[81:84], v[74:75], off
	v_add_co_u32 v74, vcc_lo, s16, v18
	v_add_co_ci_u32_e64 v75, null, s17, v19, vcc_lo
	v_add_co_u32 v74, vcc_lo, v74, v71
	v_add_co_ci_u32_e64 v75, null, 0, v75, vcc_lo
	s_waitcnt vmcnt(0)
	ds_write_b128 v67, v[81:84]
	global_load_dwordx4 v[81:84], v[74:75], off
	v_add_co_u32 v74, vcc_lo, s16, v20
	v_add_co_ci_u32_e64 v75, null, s17, v21, vcc_lo
	s_or_b32 s16, s10, 64
	v_add_co_u32 v74, vcc_lo, v74, v71
	v_add_co_ci_u32_e64 v75, null, 0, v75, vcc_lo
	s_mul_hi_i32 s17, s16, s22
	s_mul_i32 s16, s16, s22
	s_lshl_b64 s[16:17], s[16:17], 2
	s_add_u32 s16, s11, s16
	s_addc_u32 s17, s14, s17
	s_waitcnt vmcnt(0)
	ds_write_b128 v68, v[81:84]
	global_load_dwordx4 v[81:84], v[74:75], off
	s_waitcnt vmcnt(0)
	ds_write_b128 v69, v[81:84]
	s_waitcnt lgkmcnt(0)
	s_barrier
	buffer_gl0_inv
	ds_read2_b64 v[81:84], v37 offset1:32
	ds_read_b128 v[85:88], v41
	ds_read_b128 v[89:92], v41 offset:16
	ds_read_b128 v[93:96], v41 offset:32
	;; [unrolled: 1-line block ×3, first 2 shown]
	s_waitcnt lgkmcnt(3)
	v_mul_u32_u24_sdwa v74, v85, v73 dst_sel:DWORD dst_unused:UNUSED_PAD src0_sel:WORD_0 src1_sel:DWORD
	v_mul_u32_u24_sdwa v75, v85, v73 dst_sel:DWORD dst_unused:UNUSED_PAD src0_sel:WORD_1 src1_sel:DWORD
	v_mul_u32_u24_sdwa v77, v86, v73 dst_sel:DWORD dst_unused:UNUSED_PAD src0_sel:WORD_0 src1_sel:DWORD
	v_mul_u32_u24_sdwa v79, v86, v73 dst_sel:DWORD dst_unused:UNUSED_PAD src0_sel:WORD_1 src1_sel:DWORD
	v_pk_mul_f16 v85, v81, v74
	v_pk_fma_f16 v54, v82, v74, v54
	v_pk_fma_f16 v53, v82, v75, v53
	;; [unrolled: 1-line block ×5, first 2 shown]
	v_pk_mul_f16 v80, v81, v75
	v_mul_u32_u24_sdwa v74, v87, v73 dst_sel:DWORD dst_unused:UNUSED_PAD src0_sel:WORD_0 src1_sel:DWORD
	v_mul_u32_u24_sdwa v75, v87, v73 dst_sel:DWORD dst_unused:UNUSED_PAD src0_sel:WORD_1 src1_sel:DWORD
	v_pk_fma_f16 v51, v81, v79, v51
	v_pk_fma_f16 v48, v48, v78, v80
	v_pk_mul_f16 v78, v81, v77
	v_mul_u32_u24_sdwa v77, v88, v73 dst_sel:DWORD dst_unused:UNUSED_PAD src0_sel:WORD_1 src1_sel:DWORD
	v_pk_fma_f16 v54, v84, v74, v54
	v_pk_fma_f16 v53, v84, v75, v53
	;; [unrolled: 1-line block ×4, first 2 shown]
	v_mul_u32_u24_sdwa v76, v88, v73 dst_sel:DWORD dst_unused:UNUSED_PAD src0_sel:WORD_0 src1_sel:DWORD
	v_pk_fma_f16 v78, v83, v74, v49
	v_pk_fma_f16 v74, v84, v77, v50
	;; [unrolled: 1-line block ×3, first 2 shown]
	s_waitcnt lgkmcnt(2)
	v_mul_u32_u24_sdwa v75, v89, v73 dst_sel:DWORD dst_unused:UNUSED_PAD src0_sel:WORD_0 src1_sel:DWORD
	v_pk_fma_f16 v80, v83, v76, v47
	ds_read2_b64 v[47:50], v37 offset0:64 offset1:96
	v_pk_fma_f16 v52, v84, v76, v52
	v_mul_u32_u24_sdwa v76, v89, v73 dst_sel:DWORD dst_unused:UNUSED_PAD src0_sel:WORD_1 src1_sel:DWORD
	v_mul_u32_u24_sdwa v77, v90, v73 dst_sel:DWORD dst_unused:UNUSED_PAD src0_sel:WORD_0 src1_sel:DWORD
	v_mul_u32_u24_sdwa v81, v90, v73 dst_sel:DWORD dst_unused:UNUSED_PAD src0_sel:WORD_1 src1_sel:DWORD
	s_waitcnt lgkmcnt(0)
	v_pk_fma_f16 v78, v47, v75, v78
	v_pk_fma_f16 v79, v47, v76, v79
	;; [unrolled: 1-line block ×8, first 2 shown]
	v_mul_u32_u24_sdwa v54, v91, v73 dst_sel:DWORD dst_unused:UNUSED_PAD src0_sel:WORD_0 src1_sel:DWORD
	v_mul_u32_u24_sdwa v74, v91, v73 dst_sel:DWORD dst_unused:UNUSED_PAD src0_sel:WORD_1 src1_sel:DWORD
	v_mul_u32_u24_sdwa v75, v92, v73 dst_sel:DWORD dst_unused:UNUSED_PAD src0_sel:WORD_0 src1_sel:DWORD
	v_mul_u32_u24_sdwa v76, v92, v73 dst_sel:DWORD dst_unused:UNUSED_PAD src0_sel:WORD_1 src1_sel:DWORD
	v_mul_u32_u24_sdwa v81, v94, v73 dst_sel:DWORD dst_unused:UNUSED_PAD src0_sel:WORD_1 src1_sel:DWORD
	v_pk_fma_f16 v77, v49, v54, v78
	v_pk_fma_f16 v78, v49, v74, v79
	;; [unrolled: 1-line block ×8, first 2 shown]
	ds_read2_b64 v[47:50], v37 offset0:128 offset1:160
	v_mul_u32_u24_sdwa v74, v93, v73 dst_sel:DWORD dst_unused:UNUSED_PAD src0_sel:WORD_0 src1_sel:DWORD
	v_mul_u32_u24_sdwa v75, v93, v73 dst_sel:DWORD dst_unused:UNUSED_PAD src0_sel:WORD_1 src1_sel:DWORD
	v_mul_u32_u24_sdwa v76, v94, v73 dst_sel:DWORD dst_unused:UNUSED_PAD src0_sel:WORD_0 src1_sel:DWORD
	s_waitcnt lgkmcnt(0)
	v_pk_fma_f16 v77, v47, v74, v77
	v_pk_fma_f16 v78, v47, v75, v78
	;; [unrolled: 1-line block ×8, first 2 shown]
	v_mul_u32_u24_sdwa v54, v95, v73 dst_sel:DWORD dst_unused:UNUSED_PAD src0_sel:WORD_0 src1_sel:DWORD
	v_mul_u32_u24_sdwa v74, v95, v73 dst_sel:DWORD dst_unused:UNUSED_PAD src0_sel:WORD_1 src1_sel:DWORD
	v_mul_u32_u24_sdwa v75, v96, v73 dst_sel:DWORD dst_unused:UNUSED_PAD src0_sel:WORD_0 src1_sel:DWORD
	v_mul_u32_u24_sdwa v76, v96, v73 dst_sel:DWORD dst_unused:UNUSED_PAD src0_sel:WORD_1 src1_sel:DWORD
	v_mul_u32_u24_sdwa v81, v98, v73 dst_sel:DWORD dst_unused:UNUSED_PAD src0_sel:WORD_1 src1_sel:DWORD
	v_pk_fma_f16 v77, v49, v54, v77
	v_pk_fma_f16 v78, v49, v74, v78
	;; [unrolled: 1-line block ×8, first 2 shown]
	ds_read2_b64 v[47:50], v37 offset0:192 offset1:224
	v_mul_u32_u24_sdwa v74, v97, v73 dst_sel:DWORD dst_unused:UNUSED_PAD src0_sel:WORD_0 src1_sel:DWORD
	v_mul_u32_u24_sdwa v75, v97, v73 dst_sel:DWORD dst_unused:UNUSED_PAD src0_sel:WORD_1 src1_sel:DWORD
	v_mul_u32_u24_sdwa v76, v98, v73 dst_sel:DWORD dst_unused:UNUSED_PAD src0_sel:WORD_0 src1_sel:DWORD
	s_waitcnt lgkmcnt(0)
	v_pk_fma_f16 v77, v47, v74, v77
	v_pk_fma_f16 v78, v47, v75, v78
	v_pk_fma_f16 v79, v47, v76, v79
	v_pk_fma_f16 v47, v47, v81, v80
	v_pk_fma_f16 v51, v48, v74, v51
	v_pk_fma_f16 v53, v48, v75, v53
	v_pk_fma_f16 v52, v48, v76, v52
	v_pk_fma_f16 v48, v48, v81, v54
	v_mul_u32_u24_sdwa v54, v99, v73 dst_sel:DWORD dst_unused:UNUSED_PAD src0_sel:WORD_0 src1_sel:DWORD
	v_mul_u32_u24_sdwa v74, v99, v73 dst_sel:DWORD dst_unused:UNUSED_PAD src0_sel:WORD_1 src1_sel:DWORD
	v_mul_u32_u24_sdwa v75, v100, v73 dst_sel:DWORD dst_unused:UNUSED_PAD src0_sel:WORD_0 src1_sel:DWORD
	v_mul_u32_u24_sdwa v76, v100, v73 dst_sel:DWORD dst_unused:UNUSED_PAD src0_sel:WORD_1 src1_sel:DWORD
	v_pk_fma_f16 v80, v49, v54, v77
	v_pk_fma_f16 v78, v49, v74, v78
	;; [unrolled: 1-line block ×8, first 2 shown]
	v_add_nc_u32_e32 v50, 0x800, v37
	ds_read2_b64 v[51:54], v50 offset1:32
	ds_read_b128 v[74:77], v41 offset:64
	s_waitcnt lgkmcnt(0)
	v_mul_u32_u24_sdwa v83, v74, v73 dst_sel:DWORD dst_unused:UNUSED_PAD src0_sel:WORD_0 src1_sel:DWORD
	v_mul_u32_u24_sdwa v74, v74, v73 dst_sel:DWORD dst_unused:UNUSED_PAD src0_sel:WORD_1 src1_sel:DWORD
	v_mul_u32_u24_sdwa v84, v75, v73 dst_sel:DWORD dst_unused:UNUSED_PAD src0_sel:WORD_0 src1_sel:DWORD
	v_mul_u32_u24_sdwa v75, v75, v73 dst_sel:DWORD dst_unused:UNUSED_PAD src0_sel:WORD_1 src1_sel:DWORD
	v_pk_fma_f16 v80, v51, v83, v80
	v_pk_fma_f16 v78, v51, v74, v78
	v_pk_fma_f16 v79, v51, v84, v79
	v_pk_fma_f16 v47, v51, v75, v47
	v_pk_fma_f16 v49, v52, v83, v49
	v_pk_fma_f16 v51, v52, v74, v81
	v_pk_fma_f16 v74, v52, v84, v82
	v_pk_fma_f16 v48, v52, v75, v48
	v_mul_u32_u24_sdwa v52, v76, v73 dst_sel:DWORD dst_unused:UNUSED_PAD src0_sel:WORD_0 src1_sel:DWORD
	v_mul_u32_u24_sdwa v75, v76, v73 dst_sel:DWORD dst_unused:UNUSED_PAD src0_sel:WORD_1 src1_sel:DWORD
	v_mul_u32_u24_sdwa v76, v77, v73 dst_sel:DWORD dst_unused:UNUSED_PAD src0_sel:WORD_0 src1_sel:DWORD
	v_mul_u32_u24_sdwa v77, v77, v73 dst_sel:DWORD dst_unused:UNUSED_PAD src0_sel:WORD_1 src1_sel:DWORD
	v_pk_fma_f16 v80, v53, v52, v80
	v_pk_fma_f16 v78, v53, v75, v78
	v_pk_fma_f16 v79, v53, v76, v79
	v_pk_fma_f16 v47, v53, v77, v47
	v_pk_fma_f16 v49, v54, v52, v49
	v_pk_fma_f16 v81, v54, v75, v51
	v_pk_fma_f16 v82, v54, v76, v74
	v_pk_fma_f16 v48, v54, v77, v48
	ds_read2_b64 v[51:54], v50 offset0:64 offset1:96
	ds_read_b128 v[74:77], v41 offset:80
	s_waitcnt lgkmcnt(0)
	v_mul_u32_u24_sdwa v83, v74, v73 dst_sel:DWORD dst_unused:UNUSED_PAD src0_sel:WORD_0 src1_sel:DWORD
	v_mul_u32_u24_sdwa v74, v74, v73 dst_sel:DWORD dst_unused:UNUSED_PAD src0_sel:WORD_1 src1_sel:DWORD
	v_mul_u32_u24_sdwa v84, v75, v73 dst_sel:DWORD dst_unused:UNUSED_PAD src0_sel:WORD_0 src1_sel:DWORD
	v_mul_u32_u24_sdwa v75, v75, v73 dst_sel:DWORD dst_unused:UNUSED_PAD src0_sel:WORD_1 src1_sel:DWORD
	v_pk_fma_f16 v80, v51, v83, v80
	v_pk_fma_f16 v78, v51, v74, v78
	v_pk_fma_f16 v79, v51, v84, v79
	v_pk_fma_f16 v47, v51, v75, v47
	v_pk_fma_f16 v49, v52, v83, v49
	v_pk_fma_f16 v51, v52, v74, v81
	v_pk_fma_f16 v74, v52, v84, v82
	v_pk_fma_f16 v48, v52, v75, v48
	v_mul_u32_u24_sdwa v52, v76, v73 dst_sel:DWORD dst_unused:UNUSED_PAD src0_sel:WORD_0 src1_sel:DWORD
	v_mul_u32_u24_sdwa v75, v76, v73 dst_sel:DWORD dst_unused:UNUSED_PAD src0_sel:WORD_1 src1_sel:DWORD
	v_mul_u32_u24_sdwa v76, v77, v73 dst_sel:DWORD dst_unused:UNUSED_PAD src0_sel:WORD_0 src1_sel:DWORD
	v_mul_u32_u24_sdwa v77, v77, v73 dst_sel:DWORD dst_unused:UNUSED_PAD src0_sel:WORD_1 src1_sel:DWORD
	v_pk_fma_f16 v80, v53, v52, v80
	v_pk_fma_f16 v78, v53, v75, v78
	v_pk_fma_f16 v79, v53, v76, v79
	v_pk_fma_f16 v47, v53, v77, v47
	v_pk_fma_f16 v49, v54, v52, v49
	v_pk_fma_f16 v81, v54, v75, v51
	v_pk_fma_f16 v82, v54, v76, v74
	v_pk_fma_f16 v48, v54, v77, v48
	ds_read2_b64 v[51:54], v50 offset0:128 offset1:160
	;; [unrolled: 27-line block ×3, first 2 shown]
	ds_read_b128 v[74:77], v41 offset:112
	s_waitcnt lgkmcnt(0)
	v_mul_u32_u24_sdwa v83, v74, v73 dst_sel:DWORD dst_unused:UNUSED_PAD src0_sel:WORD_0 src1_sel:DWORD
	v_mul_u32_u24_sdwa v74, v74, v73 dst_sel:DWORD dst_unused:UNUSED_PAD src0_sel:WORD_1 src1_sel:DWORD
	v_mul_u32_u24_sdwa v84, v75, v73 dst_sel:DWORD dst_unused:UNUSED_PAD src0_sel:WORD_0 src1_sel:DWORD
	v_mul_u32_u24_sdwa v75, v75, v73 dst_sel:DWORD dst_unused:UNUSED_PAD src0_sel:WORD_1 src1_sel:DWORD
	v_pk_fma_f16 v80, v51, v83, v80
	v_pk_fma_f16 v78, v51, v74, v78
	;; [unrolled: 1-line block ×8, first 2 shown]
	v_mul_u32_u24_sdwa v52, v76, v73 dst_sel:DWORD dst_unused:UNUSED_PAD src0_sel:WORD_0 src1_sel:DWORD
	v_mul_u32_u24_sdwa v75, v76, v73 dst_sel:DWORD dst_unused:UNUSED_PAD src0_sel:WORD_1 src1_sel:DWORD
	v_mul_u32_u24_sdwa v76, v77, v73 dst_sel:DWORD dst_unused:UNUSED_PAD src0_sel:WORD_0 src1_sel:DWORD
	v_mul_u32_u24_sdwa v77, v77, v73 dst_sel:DWORD dst_unused:UNUSED_PAD src0_sel:WORD_1 src1_sel:DWORD
	v_pk_fma_f16 v82, v53, v52, v80
	v_pk_fma_f16 v49, v54, v52, v49
	;; [unrolled: 1-line block ×3, first 2 shown]
	v_add_nc_u32_e32 v51, 0x1000, v37
	v_pk_fma_f16 v83, v53, v75, v78
	v_pk_fma_f16 v84, v53, v76, v79
	;; [unrolled: 1-line block ×5, first 2 shown]
	ds_read2_b64 v[74:77], v51 offset1:32
	ds_read_b128 v[78:81], v41 offset:128
	s_waitcnt lgkmcnt(0)
	v_mul_u32_u24_sdwa v54, v78, v73 dst_sel:DWORD dst_unused:UNUSED_PAD src0_sel:WORD_0 src1_sel:DWORD
	v_mul_u32_u24_sdwa v78, v78, v73 dst_sel:DWORD dst_unused:UNUSED_PAD src0_sel:WORD_1 src1_sel:DWORD
	v_mul_u32_u24_sdwa v85, v79, v73 dst_sel:DWORD dst_unused:UNUSED_PAD src0_sel:WORD_0 src1_sel:DWORD
	v_mul_u32_u24_sdwa v79, v79, v73 dst_sel:DWORD dst_unused:UNUSED_PAD src0_sel:WORD_1 src1_sel:DWORD
	v_pk_fma_f16 v82, v74, v54, v82
	v_pk_fma_f16 v83, v74, v78, v83
	v_pk_fma_f16 v84, v74, v85, v84
	v_pk_fma_f16 v47, v74, v79, v47
	v_pk_fma_f16 v49, v75, v54, v49
	v_pk_fma_f16 v52, v75, v78, v52
	v_pk_fma_f16 v53, v75, v85, v53
	v_pk_fma_f16 v48, v75, v79, v48
	v_mul_u32_u24_sdwa v54, v80, v73 dst_sel:DWORD dst_unused:UNUSED_PAD src0_sel:WORD_0 src1_sel:DWORD
	v_mul_u32_u24_sdwa v74, v80, v73 dst_sel:DWORD dst_unused:UNUSED_PAD src0_sel:WORD_1 src1_sel:DWORD
	v_mul_u32_u24_sdwa v75, v81, v73 dst_sel:DWORD dst_unused:UNUSED_PAD src0_sel:WORD_0 src1_sel:DWORD
	v_mul_u32_u24_sdwa v78, v81, v73 dst_sel:DWORD dst_unused:UNUSED_PAD src0_sel:WORD_1 src1_sel:DWORD
	v_pk_fma_f16 v82, v76, v54, v82
	v_pk_fma_f16 v83, v76, v74, v83
	v_pk_fma_f16 v84, v76, v75, v84
	v_pk_fma_f16 v47, v76, v78, v47
	v_pk_fma_f16 v49, v77, v54, v49
	v_pk_fma_f16 v52, v77, v74, v52
	v_pk_fma_f16 v53, v77, v75, v53
	v_pk_fma_f16 v48, v77, v78, v48
	ds_read2_b64 v[74:77], v51 offset0:64 offset1:96
	ds_read_b128 v[78:81], v41 offset:144
	s_waitcnt lgkmcnt(0)
	v_mul_u32_u24_sdwa v54, v78, v73 dst_sel:DWORD dst_unused:UNUSED_PAD src0_sel:WORD_0 src1_sel:DWORD
	v_mul_u32_u24_sdwa v78, v78, v73 dst_sel:DWORD dst_unused:UNUSED_PAD src0_sel:WORD_1 src1_sel:DWORD
	v_mul_u32_u24_sdwa v85, v79, v73 dst_sel:DWORD dst_unused:UNUSED_PAD src0_sel:WORD_0 src1_sel:DWORD
	v_mul_u32_u24_sdwa v79, v79, v73 dst_sel:DWORD dst_unused:UNUSED_PAD src0_sel:WORD_1 src1_sel:DWORD
	v_pk_fma_f16 v82, v74, v54, v82
	v_pk_fma_f16 v83, v74, v78, v83
	v_pk_fma_f16 v84, v74, v85, v84
	v_pk_fma_f16 v47, v74, v79, v47
	v_pk_fma_f16 v49, v75, v54, v49
	v_pk_fma_f16 v52, v75, v78, v52
	v_pk_fma_f16 v53, v75, v85, v53
	v_pk_fma_f16 v48, v75, v79, v48
	v_mul_u32_u24_sdwa v54, v80, v73 dst_sel:DWORD dst_unused:UNUSED_PAD src0_sel:WORD_0 src1_sel:DWORD
	v_mul_u32_u24_sdwa v74, v80, v73 dst_sel:DWORD dst_unused:UNUSED_PAD src0_sel:WORD_1 src1_sel:DWORD
	v_mul_u32_u24_sdwa v75, v81, v73 dst_sel:DWORD dst_unused:UNUSED_PAD src0_sel:WORD_0 src1_sel:DWORD
	v_mul_u32_u24_sdwa v78, v81, v73 dst_sel:DWORD dst_unused:UNUSED_PAD src0_sel:WORD_1 src1_sel:DWORD
	v_pk_fma_f16 v82, v76, v54, v82
	v_pk_fma_f16 v83, v76, v74, v83
	v_pk_fma_f16 v84, v76, v75, v84
	v_pk_fma_f16 v47, v76, v78, v47
	v_pk_fma_f16 v49, v77, v54, v49
	v_pk_fma_f16 v52, v77, v74, v52
	v_pk_fma_f16 v53, v77, v75, v53
	v_pk_fma_f16 v48, v77, v78, v48
	ds_read2_b64 v[74:77], v51 offset0:128 offset1:160
	;; [unrolled: 27-line block ×3, first 2 shown]
	ds_read_b128 v[78:81], v41 offset:176
	s_waitcnt lgkmcnt(0)
	v_mul_u32_u24_sdwa v54, v78, v73 dst_sel:DWORD dst_unused:UNUSED_PAD src0_sel:WORD_0 src1_sel:DWORD
	v_mul_u32_u24_sdwa v78, v78, v73 dst_sel:DWORD dst_unused:UNUSED_PAD src0_sel:WORD_1 src1_sel:DWORD
	v_mul_u32_u24_sdwa v85, v79, v73 dst_sel:DWORD dst_unused:UNUSED_PAD src0_sel:WORD_0 src1_sel:DWORD
	v_mul_u32_u24_sdwa v79, v79, v73 dst_sel:DWORD dst_unused:UNUSED_PAD src0_sel:WORD_1 src1_sel:DWORD
	v_pk_fma_f16 v82, v74, v54, v82
	v_pk_fma_f16 v83, v74, v78, v83
	;; [unrolled: 1-line block ×6, first 2 shown]
	v_mul_u32_u24_sdwa v54, v80, v73 dst_sel:DWORD dst_unused:UNUSED_PAD src0_sel:WORD_0 src1_sel:DWORD
	v_mul_u32_u24_sdwa v74, v80, v73 dst_sel:DWORD dst_unused:UNUSED_PAD src0_sel:WORD_1 src1_sel:DWORD
	v_pk_fma_f16 v53, v75, v85, v53
	v_pk_fma_f16 v48, v75, v79, v48
	v_mul_u32_u24_sdwa v75, v81, v73 dst_sel:DWORD dst_unused:UNUSED_PAD src0_sel:WORD_0 src1_sel:DWORD
	v_mul_u32_u24_sdwa v78, v81, v73 dst_sel:DWORD dst_unused:UNUSED_PAD src0_sel:WORD_1 src1_sel:DWORD
	v_pk_fma_f16 v82, v76, v54, v82
	v_pk_fma_f16 v49, v77, v54, v49
	;; [unrolled: 1-line block ×3, first 2 shown]
	v_add_nc_u32_e32 v52, 0x1800, v37
	v_pk_fma_f16 v83, v76, v74, v83
	v_pk_fma_f16 v84, v76, v75, v84
	;; [unrolled: 1-line block ×5, first 2 shown]
	ds_read2_b64 v[74:77], v52 offset1:32
	ds_read_b128 v[78:81], v41 offset:192
	s_waitcnt lgkmcnt(0)
	v_mul_u32_u24_sdwa v85, v78, v73 dst_sel:DWORD dst_unused:UNUSED_PAD src0_sel:WORD_0 src1_sel:DWORD
	v_mul_u32_u24_sdwa v78, v78, v73 dst_sel:DWORD dst_unused:UNUSED_PAD src0_sel:WORD_1 src1_sel:DWORD
	v_mul_u32_u24_sdwa v86, v79, v73 dst_sel:DWORD dst_unused:UNUSED_PAD src0_sel:WORD_0 src1_sel:DWORD
	v_mul_u32_u24_sdwa v79, v79, v73 dst_sel:DWORD dst_unused:UNUSED_PAD src0_sel:WORD_1 src1_sel:DWORD
	v_pk_fma_f16 v82, v74, v85, v82
	v_pk_fma_f16 v83, v74, v78, v83
	v_pk_fma_f16 v84, v74, v86, v84
	v_pk_fma_f16 v47, v74, v79, v47
	v_pk_fma_f16 v49, v75, v85, v49
	v_pk_fma_f16 v54, v75, v78, v54
	v_pk_fma_f16 v53, v75, v86, v53
	v_pk_fma_f16 v48, v75, v79, v48
	v_mul_u32_u24_sdwa v74, v80, v73 dst_sel:DWORD dst_unused:UNUSED_PAD src0_sel:WORD_0 src1_sel:DWORD
	v_mul_u32_u24_sdwa v75, v80, v73 dst_sel:DWORD dst_unused:UNUSED_PAD src0_sel:WORD_1 src1_sel:DWORD
	v_mul_u32_u24_sdwa v78, v81, v73 dst_sel:DWORD dst_unused:UNUSED_PAD src0_sel:WORD_0 src1_sel:DWORD
	v_mul_u32_u24_sdwa v79, v81, v73 dst_sel:DWORD dst_unused:UNUSED_PAD src0_sel:WORD_1 src1_sel:DWORD
	v_pk_fma_f16 v82, v76, v74, v82
	v_pk_fma_f16 v83, v76, v75, v83
	v_pk_fma_f16 v84, v76, v78, v84
	v_pk_fma_f16 v47, v76, v79, v47
	v_pk_fma_f16 v49, v77, v74, v49
	v_pk_fma_f16 v54, v77, v75, v54
	v_pk_fma_f16 v53, v77, v78, v53
	v_pk_fma_f16 v48, v77, v79, v48
	ds_read2_b64 v[74:77], v52 offset0:64 offset1:96
	ds_read_b128 v[78:81], v41 offset:208
	s_waitcnt lgkmcnt(0)
	v_mul_u32_u24_sdwa v85, v78, v73 dst_sel:DWORD dst_unused:UNUSED_PAD src0_sel:WORD_0 src1_sel:DWORD
	v_mul_u32_u24_sdwa v78, v78, v73 dst_sel:DWORD dst_unused:UNUSED_PAD src0_sel:WORD_1 src1_sel:DWORD
	v_mul_u32_u24_sdwa v86, v79, v73 dst_sel:DWORD dst_unused:UNUSED_PAD src0_sel:WORD_0 src1_sel:DWORD
	v_mul_u32_u24_sdwa v79, v79, v73 dst_sel:DWORD dst_unused:UNUSED_PAD src0_sel:WORD_1 src1_sel:DWORD
	v_pk_fma_f16 v82, v74, v85, v82
	v_pk_fma_f16 v83, v74, v78, v83
	v_pk_fma_f16 v84, v74, v86, v84
	v_pk_fma_f16 v47, v74, v79, v47
	v_pk_fma_f16 v49, v75, v85, v49
	v_pk_fma_f16 v54, v75, v78, v54
	v_pk_fma_f16 v53, v75, v86, v53
	v_pk_fma_f16 v48, v75, v79, v48
	v_mul_u32_u24_sdwa v74, v80, v73 dst_sel:DWORD dst_unused:UNUSED_PAD src0_sel:WORD_0 src1_sel:DWORD
	v_mul_u32_u24_sdwa v75, v80, v73 dst_sel:DWORD dst_unused:UNUSED_PAD src0_sel:WORD_1 src1_sel:DWORD
	v_mul_u32_u24_sdwa v78, v81, v73 dst_sel:DWORD dst_unused:UNUSED_PAD src0_sel:WORD_0 src1_sel:DWORD
	v_mul_u32_u24_sdwa v79, v81, v73 dst_sel:DWORD dst_unused:UNUSED_PAD src0_sel:WORD_1 src1_sel:DWORD
	v_pk_fma_f16 v82, v76, v74, v82
	v_pk_fma_f16 v83, v76, v75, v83
	v_pk_fma_f16 v84, v76, v78, v84
	v_pk_fma_f16 v47, v76, v79, v47
	v_pk_fma_f16 v49, v77, v74, v49
	v_pk_fma_f16 v54, v77, v75, v54
	v_pk_fma_f16 v53, v77, v78, v53
	v_pk_fma_f16 v48, v77, v79, v48
	ds_read2_b64 v[74:77], v52 offset0:128 offset1:160
	;; [unrolled: 27-line block ×3, first 2 shown]
	ds_read_b128 v[78:81], v41 offset:240
	s_waitcnt lgkmcnt(0)
	v_mul_u32_u24_sdwa v85, v78, v73 dst_sel:DWORD dst_unused:UNUSED_PAD src0_sel:WORD_0 src1_sel:DWORD
	v_mul_u32_u24_sdwa v78, v78, v73 dst_sel:DWORD dst_unused:UNUSED_PAD src0_sel:WORD_1 src1_sel:DWORD
	v_mul_u32_u24_sdwa v86, v79, v73 dst_sel:DWORD dst_unused:UNUSED_PAD src0_sel:WORD_0 src1_sel:DWORD
	v_mul_u32_u24_sdwa v79, v79, v73 dst_sel:DWORD dst_unused:UNUSED_PAD src0_sel:WORD_1 src1_sel:DWORD
	v_pk_fma_f16 v82, v74, v85, v82
	v_pk_fma_f16 v83, v74, v78, v83
	;; [unrolled: 1-line block ×4, first 2 shown]
	v_mul_u32_u24_sdwa v78, v81, v73 dst_sel:DWORD dst_unused:UNUSED_PAD src0_sel:WORD_0 src1_sel:DWORD
	v_pk_fma_f16 v84, v74, v86, v84
	v_pk_fma_f16 v47, v74, v79, v47
	;; [unrolled: 1-line block ×4, first 2 shown]
	v_mul_u32_u24_sdwa v74, v80, v73 dst_sel:DWORD dst_unused:UNUSED_PAD src0_sel:WORD_0 src1_sel:DWORD
	v_mul_u32_u24_sdwa v75, v80, v73 dst_sel:DWORD dst_unused:UNUSED_PAD src0_sel:WORD_1 src1_sel:DWORD
	v_mul_u32_u24_sdwa v79, v81, v73 dst_sel:DWORD dst_unused:UNUSED_PAD src0_sel:WORD_1 src1_sel:DWORD
	v_pk_fma_f16 v85, v77, v78, v53
	v_add_nc_u32_e32 v53, 0x2000, v37
	v_pk_fma_f16 v82, v76, v74, v82
	v_pk_fma_f16 v83, v76, v75, v83
	;; [unrolled: 1-line block ×7, first 2 shown]
	ds_read2_b64 v[74:77], v53 offset1:32
	ds_read_b128 v[78:81], v41 offset:256
	s_waitcnt lgkmcnt(0)
	v_mul_u32_u24_sdwa v86, v78, v73 dst_sel:DWORD dst_unused:UNUSED_PAD src0_sel:WORD_0 src1_sel:DWORD
	v_mul_u32_u24_sdwa v78, v78, v73 dst_sel:DWORD dst_unused:UNUSED_PAD src0_sel:WORD_1 src1_sel:DWORD
	v_mul_u32_u24_sdwa v87, v79, v73 dst_sel:DWORD dst_unused:UNUSED_PAD src0_sel:WORD_0 src1_sel:DWORD
	v_mul_u32_u24_sdwa v79, v79, v73 dst_sel:DWORD dst_unused:UNUSED_PAD src0_sel:WORD_1 src1_sel:DWORD
	v_pk_fma_f16 v82, v74, v86, v82
	v_pk_fma_f16 v83, v74, v78, v83
	v_pk_fma_f16 v84, v74, v87, v84
	v_pk_fma_f16 v47, v74, v79, v47
	v_pk_fma_f16 v49, v75, v86, v49
	v_pk_fma_f16 v54, v75, v78, v54
	v_pk_fma_f16 v74, v75, v87, v85
	v_pk_fma_f16 v48, v75, v79, v48
	v_mul_u32_u24_sdwa v75, v80, v73 dst_sel:DWORD dst_unused:UNUSED_PAD src0_sel:WORD_0 src1_sel:DWORD
	v_mul_u32_u24_sdwa v78, v80, v73 dst_sel:DWORD dst_unused:UNUSED_PAD src0_sel:WORD_1 src1_sel:DWORD
	v_mul_u32_u24_sdwa v79, v81, v73 dst_sel:DWORD dst_unused:UNUSED_PAD src0_sel:WORD_0 src1_sel:DWORD
	v_mul_u32_u24_sdwa v80, v81, v73 dst_sel:DWORD dst_unused:UNUSED_PAD src0_sel:WORD_1 src1_sel:DWORD
	v_pk_fma_f16 v82, v76, v75, v82
	v_pk_fma_f16 v83, v76, v78, v83
	v_pk_fma_f16 v84, v76, v79, v84
	v_pk_fma_f16 v47, v76, v80, v47
	v_pk_fma_f16 v49, v77, v75, v49
	v_pk_fma_f16 v54, v77, v78, v54
	v_pk_fma_f16 v85, v77, v79, v74
	v_pk_fma_f16 v48, v77, v80, v48
	ds_read2_b64 v[74:77], v53 offset0:64 offset1:96
	ds_read_b128 v[78:81], v41 offset:272
	s_waitcnt lgkmcnt(0)
	v_mul_u32_u24_sdwa v86, v78, v73 dst_sel:DWORD dst_unused:UNUSED_PAD src0_sel:WORD_0 src1_sel:DWORD
	v_mul_u32_u24_sdwa v78, v78, v73 dst_sel:DWORD dst_unused:UNUSED_PAD src0_sel:WORD_1 src1_sel:DWORD
	v_mul_u32_u24_sdwa v87, v79, v73 dst_sel:DWORD dst_unused:UNUSED_PAD src0_sel:WORD_0 src1_sel:DWORD
	v_mul_u32_u24_sdwa v79, v79, v73 dst_sel:DWORD dst_unused:UNUSED_PAD src0_sel:WORD_1 src1_sel:DWORD
	v_pk_fma_f16 v82, v74, v86, v82
	v_pk_fma_f16 v83, v74, v78, v83
	v_pk_fma_f16 v84, v74, v87, v84
	v_pk_fma_f16 v47, v74, v79, v47
	v_pk_fma_f16 v49, v75, v86, v49
	v_pk_fma_f16 v54, v75, v78, v54
	v_pk_fma_f16 v74, v75, v87, v85
	v_pk_fma_f16 v48, v75, v79, v48
	v_mul_u32_u24_sdwa v75, v80, v73 dst_sel:DWORD dst_unused:UNUSED_PAD src0_sel:WORD_0 src1_sel:DWORD
	v_mul_u32_u24_sdwa v78, v80, v73 dst_sel:DWORD dst_unused:UNUSED_PAD src0_sel:WORD_1 src1_sel:DWORD
	v_mul_u32_u24_sdwa v79, v81, v73 dst_sel:DWORD dst_unused:UNUSED_PAD src0_sel:WORD_0 src1_sel:DWORD
	v_mul_u32_u24_sdwa v80, v81, v73 dst_sel:DWORD dst_unused:UNUSED_PAD src0_sel:WORD_1 src1_sel:DWORD
	v_pk_fma_f16 v82, v76, v75, v82
	v_pk_fma_f16 v83, v76, v78, v83
	v_pk_fma_f16 v84, v76, v79, v84
	v_pk_fma_f16 v47, v76, v80, v47
	v_pk_fma_f16 v49, v77, v75, v49
	v_pk_fma_f16 v54, v77, v78, v54
	v_pk_fma_f16 v85, v77, v79, v74
	v_pk_fma_f16 v48, v77, v80, v48
	ds_read2_b64 v[74:77], v53 offset0:128 offset1:160
	;; [unrolled: 27-line block ×3, first 2 shown]
	ds_read_b128 v[78:81], v41 offset:304
	s_waitcnt lgkmcnt(0)
	v_mul_u32_u24_sdwa v86, v78, v73 dst_sel:DWORD dst_unused:UNUSED_PAD src0_sel:WORD_0 src1_sel:DWORD
	v_mul_u32_u24_sdwa v78, v78, v73 dst_sel:DWORD dst_unused:UNUSED_PAD src0_sel:WORD_1 src1_sel:DWORD
	v_mul_u32_u24_sdwa v87, v79, v73 dst_sel:DWORD dst_unused:UNUSED_PAD src0_sel:WORD_0 src1_sel:DWORD
	v_mul_u32_u24_sdwa v79, v79, v73 dst_sel:DWORD dst_unused:UNUSED_PAD src0_sel:WORD_1 src1_sel:DWORD
	v_pk_fma_f16 v82, v74, v86, v82
	v_pk_fma_f16 v83, v74, v78, v83
	;; [unrolled: 1-line block ×8, first 2 shown]
	v_mul_u32_u24_sdwa v75, v80, v73 dst_sel:DWORD dst_unused:UNUSED_PAD src0_sel:WORD_0 src1_sel:DWORD
	v_mul_u32_u24_sdwa v78, v80, v73 dst_sel:DWORD dst_unused:UNUSED_PAD src0_sel:WORD_1 src1_sel:DWORD
	v_mul_u32_u24_sdwa v79, v81, v73 dst_sel:DWORD dst_unused:UNUSED_PAD src0_sel:WORD_0 src1_sel:DWORD
	v_mul_u32_u24_sdwa v80, v81, v73 dst_sel:DWORD dst_unused:UNUSED_PAD src0_sel:WORD_1 src1_sel:DWORD
	v_pk_fma_f16 v85, v77, v75, v49
	v_add_nc_u32_e32 v49, 0x2800, v37
	v_pk_fma_f16 v82, v76, v75, v82
	v_pk_fma_f16 v83, v76, v78, v83
	;; [unrolled: 1-line block ×7, first 2 shown]
	ds_read2_b64 v[74:77], v49 offset1:32
	ds_read_b128 v[78:81], v41 offset:320
	s_waitcnt lgkmcnt(0)
	v_mul_u32_u24_sdwa v87, v78, v73 dst_sel:DWORD dst_unused:UNUSED_PAD src0_sel:WORD_0 src1_sel:DWORD
	v_mul_u32_u24_sdwa v78, v78, v73 dst_sel:DWORD dst_unused:UNUSED_PAD src0_sel:WORD_1 src1_sel:DWORD
	v_mul_u32_u24_sdwa v88, v79, v73 dst_sel:DWORD dst_unused:UNUSED_PAD src0_sel:WORD_0 src1_sel:DWORD
	v_mul_u32_u24_sdwa v79, v79, v73 dst_sel:DWORD dst_unused:UNUSED_PAD src0_sel:WORD_1 src1_sel:DWORD
	v_pk_fma_f16 v82, v74, v87, v82
	v_pk_fma_f16 v83, v74, v78, v83
	v_pk_fma_f16 v84, v74, v88, v84
	v_pk_fma_f16 v47, v74, v79, v47
	v_pk_fma_f16 v74, v75, v87, v85
	v_pk_fma_f16 v54, v75, v78, v54
	v_pk_fma_f16 v78, v75, v88, v86
	v_pk_fma_f16 v48, v75, v79, v48
	v_mul_u32_u24_sdwa v75, v80, v73 dst_sel:DWORD dst_unused:UNUSED_PAD src0_sel:WORD_0 src1_sel:DWORD
	v_mul_u32_u24_sdwa v79, v80, v73 dst_sel:DWORD dst_unused:UNUSED_PAD src0_sel:WORD_1 src1_sel:DWORD
	v_mul_u32_u24_sdwa v80, v81, v73 dst_sel:DWORD dst_unused:UNUSED_PAD src0_sel:WORD_0 src1_sel:DWORD
	v_mul_u32_u24_sdwa v81, v81, v73 dst_sel:DWORD dst_unused:UNUSED_PAD src0_sel:WORD_1 src1_sel:DWORD
	v_pk_fma_f16 v82, v76, v75, v82
	v_pk_fma_f16 v83, v76, v79, v83
	v_pk_fma_f16 v84, v76, v80, v84
	v_pk_fma_f16 v47, v76, v81, v47
	v_pk_fma_f16 v85, v77, v75, v74
	v_pk_fma_f16 v54, v77, v79, v54
	v_pk_fma_f16 v86, v77, v80, v78
	v_pk_fma_f16 v48, v77, v81, v48
	ds_read2_b64 v[74:77], v49 offset0:64 offset1:96
	ds_read_b128 v[78:81], v41 offset:336
	s_waitcnt lgkmcnt(0)
	v_mul_u32_u24_sdwa v87, v78, v73 dst_sel:DWORD dst_unused:UNUSED_PAD src0_sel:WORD_0 src1_sel:DWORD
	v_mul_u32_u24_sdwa v78, v78, v73 dst_sel:DWORD dst_unused:UNUSED_PAD src0_sel:WORD_1 src1_sel:DWORD
	v_mul_u32_u24_sdwa v88, v79, v73 dst_sel:DWORD dst_unused:UNUSED_PAD src0_sel:WORD_0 src1_sel:DWORD
	v_mul_u32_u24_sdwa v79, v79, v73 dst_sel:DWORD dst_unused:UNUSED_PAD src0_sel:WORD_1 src1_sel:DWORD
	v_pk_fma_f16 v82, v74, v87, v82
	v_pk_fma_f16 v83, v74, v78, v83
	v_pk_fma_f16 v84, v74, v88, v84
	v_pk_fma_f16 v47, v74, v79, v47
	v_pk_fma_f16 v74, v75, v87, v85
	v_pk_fma_f16 v54, v75, v78, v54
	v_pk_fma_f16 v78, v75, v88, v86
	v_pk_fma_f16 v48, v75, v79, v48
	v_mul_u32_u24_sdwa v75, v80, v73 dst_sel:DWORD dst_unused:UNUSED_PAD src0_sel:WORD_0 src1_sel:DWORD
	v_mul_u32_u24_sdwa v79, v80, v73 dst_sel:DWORD dst_unused:UNUSED_PAD src0_sel:WORD_1 src1_sel:DWORD
	v_mul_u32_u24_sdwa v80, v81, v73 dst_sel:DWORD dst_unused:UNUSED_PAD src0_sel:WORD_0 src1_sel:DWORD
	v_mul_u32_u24_sdwa v81, v81, v73 dst_sel:DWORD dst_unused:UNUSED_PAD src0_sel:WORD_1 src1_sel:DWORD
	v_pk_fma_f16 v82, v76, v75, v82
	v_pk_fma_f16 v83, v76, v79, v83
	v_pk_fma_f16 v84, v76, v80, v84
	v_pk_fma_f16 v47, v76, v81, v47
	v_pk_fma_f16 v85, v77, v75, v74
	v_pk_fma_f16 v54, v77, v79, v54
	v_pk_fma_f16 v86, v77, v80, v78
	v_pk_fma_f16 v48, v77, v81, v48
	ds_read2_b64 v[74:77], v49 offset0:128 offset1:160
	;; [unrolled: 27-line block ×3, first 2 shown]
	ds_read_b128 v[78:81], v41 offset:368
	s_waitcnt lgkmcnt(0)
	v_mul_u32_u24_sdwa v87, v78, v73 dst_sel:DWORD dst_unused:UNUSED_PAD src0_sel:WORD_0 src1_sel:DWORD
	v_mul_u32_u24_sdwa v78, v78, v73 dst_sel:DWORD dst_unused:UNUSED_PAD src0_sel:WORD_1 src1_sel:DWORD
	v_mul_u32_u24_sdwa v88, v79, v73 dst_sel:DWORD dst_unused:UNUSED_PAD src0_sel:WORD_0 src1_sel:DWORD
	v_mul_u32_u24_sdwa v79, v79, v73 dst_sel:DWORD dst_unused:UNUSED_PAD src0_sel:WORD_1 src1_sel:DWORD
	v_pk_fma_f16 v82, v74, v87, v82
	v_pk_fma_f16 v83, v74, v78, v83
	;; [unrolled: 1-line block ×8, first 2 shown]
	v_mul_u32_u24_sdwa v75, v80, v73 dst_sel:DWORD dst_unused:UNUSED_PAD src0_sel:WORD_0 src1_sel:DWORD
	v_mul_u32_u24_sdwa v79, v80, v73 dst_sel:DWORD dst_unused:UNUSED_PAD src0_sel:WORD_1 src1_sel:DWORD
	v_mul_u32_u24_sdwa v80, v81, v73 dst_sel:DWORD dst_unused:UNUSED_PAD src0_sel:WORD_0 src1_sel:DWORD
	v_mul_u32_u24_sdwa v81, v81, v73 dst_sel:DWORD dst_unused:UNUSED_PAD src0_sel:WORD_1 src1_sel:DWORD
	v_pk_fma_f16 v82, v76, v75, v82
	v_pk_fma_f16 v83, v76, v79, v83
	;; [unrolled: 1-line block ×4, first 2 shown]
	v_add_nc_u32_e32 v48, 0x3000, v37
	v_pk_fma_f16 v47, v76, v81, v47
	v_pk_fma_f16 v85, v77, v75, v74
	;; [unrolled: 1-line block ×4, first 2 shown]
	ds_read2_b64 v[74:77], v48 offset1:32
	ds_read_b128 v[78:81], v41 offset:384
	s_waitcnt lgkmcnt(0)
	v_mul_u32_u24_sdwa v88, v78, v73 dst_sel:DWORD dst_unused:UNUSED_PAD src0_sel:WORD_0 src1_sel:DWORD
	v_mul_u32_u24_sdwa v78, v78, v73 dst_sel:DWORD dst_unused:UNUSED_PAD src0_sel:WORD_1 src1_sel:DWORD
	v_mul_u32_u24_sdwa v89, v79, v73 dst_sel:DWORD dst_unused:UNUSED_PAD src0_sel:WORD_0 src1_sel:DWORD
	v_mul_u32_u24_sdwa v79, v79, v73 dst_sel:DWORD dst_unused:UNUSED_PAD src0_sel:WORD_1 src1_sel:DWORD
	v_pk_fma_f16 v82, v74, v88, v82
	v_pk_fma_f16 v83, v74, v78, v83
	v_pk_fma_f16 v84, v74, v89, v84
	v_pk_fma_f16 v47, v74, v79, v47
	v_pk_fma_f16 v74, v75, v88, v85
	v_pk_fma_f16 v54, v75, v78, v54
	v_pk_fma_f16 v78, v75, v89, v86
	v_pk_fma_f16 v75, v75, v79, v87
	v_mul_u32_u24_sdwa v79, v80, v73 dst_sel:DWORD dst_unused:UNUSED_PAD src0_sel:WORD_0 src1_sel:DWORD
	v_mul_u32_u24_sdwa v80, v80, v73 dst_sel:DWORD dst_unused:UNUSED_PAD src0_sel:WORD_1 src1_sel:DWORD
	v_mul_u32_u24_sdwa v85, v81, v73 dst_sel:DWORD dst_unused:UNUSED_PAD src0_sel:WORD_0 src1_sel:DWORD
	v_mul_u32_u24_sdwa v81, v81, v73 dst_sel:DWORD dst_unused:UNUSED_PAD src0_sel:WORD_1 src1_sel:DWORD
	v_pk_fma_f16 v82, v76, v79, v82
	v_pk_fma_f16 v83, v76, v80, v83
	v_pk_fma_f16 v84, v76, v85, v84
	v_pk_fma_f16 v47, v76, v81, v47
	v_pk_fma_f16 v86, v77, v79, v74
	v_pk_fma_f16 v54, v77, v80, v54
	v_pk_fma_f16 v85, v77, v85, v78
	v_pk_fma_f16 v87, v77, v81, v75
	ds_read2_b64 v[74:77], v48 offset0:64 offset1:96
	ds_read_b128 v[78:81], v41 offset:400
	s_waitcnt lgkmcnt(0)
	v_mul_u32_u24_sdwa v88, v78, v73 dst_sel:DWORD dst_unused:UNUSED_PAD src0_sel:WORD_0 src1_sel:DWORD
	v_mul_u32_u24_sdwa v78, v78, v73 dst_sel:DWORD dst_unused:UNUSED_PAD src0_sel:WORD_1 src1_sel:DWORD
	v_mul_u32_u24_sdwa v89, v79, v73 dst_sel:DWORD dst_unused:UNUSED_PAD src0_sel:WORD_0 src1_sel:DWORD
	v_mul_u32_u24_sdwa v79, v79, v73 dst_sel:DWORD dst_unused:UNUSED_PAD src0_sel:WORD_1 src1_sel:DWORD
	v_pk_fma_f16 v82, v74, v88, v82
	v_pk_fma_f16 v83, v74, v78, v83
	v_pk_fma_f16 v84, v74, v89, v84
	v_pk_fma_f16 v47, v74, v79, v47
	v_pk_fma_f16 v74, v75, v88, v86
	v_pk_fma_f16 v54, v75, v78, v54
	v_pk_fma_f16 v78, v75, v89, v85
	v_pk_fma_f16 v75, v75, v79, v87
	v_mul_u32_u24_sdwa v79, v80, v73 dst_sel:DWORD dst_unused:UNUSED_PAD src0_sel:WORD_0 src1_sel:DWORD
	v_mul_u32_u24_sdwa v80, v80, v73 dst_sel:DWORD dst_unused:UNUSED_PAD src0_sel:WORD_1 src1_sel:DWORD
	v_mul_u32_u24_sdwa v85, v81, v73 dst_sel:DWORD dst_unused:UNUSED_PAD src0_sel:WORD_0 src1_sel:DWORD
	v_mul_u32_u24_sdwa v81, v81, v73 dst_sel:DWORD dst_unused:UNUSED_PAD src0_sel:WORD_1 src1_sel:DWORD
	v_pk_fma_f16 v82, v76, v79, v82
	v_pk_fma_f16 v83, v76, v80, v83
	v_pk_fma_f16 v84, v76, v85, v84
	v_pk_fma_f16 v47, v76, v81, v47
	v_pk_fma_f16 v86, v77, v79, v74
	v_pk_fma_f16 v54, v77, v80, v54
	v_pk_fma_f16 v85, v77, v85, v78
	v_pk_fma_f16 v87, v77, v81, v75
	ds_read2_b64 v[74:77], v48 offset0:128 offset1:160
	;; [unrolled: 27-line block ×3, first 2 shown]
	ds_read_b128 v[78:81], v41 offset:432
	s_waitcnt lgkmcnt(0)
	v_mul_u32_u24_sdwa v88, v78, v73 dst_sel:DWORD dst_unused:UNUSED_PAD src0_sel:WORD_0 src1_sel:DWORD
	v_mul_u32_u24_sdwa v78, v78, v73 dst_sel:DWORD dst_unused:UNUSED_PAD src0_sel:WORD_1 src1_sel:DWORD
	v_mul_u32_u24_sdwa v89, v79, v73 dst_sel:DWORD dst_unused:UNUSED_PAD src0_sel:WORD_0 src1_sel:DWORD
	v_mul_u32_u24_sdwa v79, v79, v73 dst_sel:DWORD dst_unused:UNUSED_PAD src0_sel:WORD_1 src1_sel:DWORD
	v_pk_fma_f16 v82, v74, v88, v82
	v_pk_fma_f16 v83, v74, v78, v83
	v_pk_fma_f16 v54, v75, v78, v54
	v_pk_fma_f16 v47, v74, v79, v47
	v_pk_fma_f16 v78, v75, v89, v85
	v_mul_u32_u24_sdwa v85, v81, v73 dst_sel:DWORD dst_unused:UNUSED_PAD src0_sel:WORD_0 src1_sel:DWORD
	v_mul_u32_u24_sdwa v81, v81, v73 dst_sel:DWORD dst_unused:UNUSED_PAD src0_sel:WORD_1 src1_sel:DWORD
	v_pk_fma_f16 v84, v74, v89, v84
	v_pk_fma_f16 v74, v75, v88, v86
	;; [unrolled: 1-line block ×3, first 2 shown]
	v_mul_u32_u24_sdwa v79, v80, v73 dst_sel:DWORD dst_unused:UNUSED_PAD src0_sel:WORD_0 src1_sel:DWORD
	v_mul_u32_u24_sdwa v80, v80, v73 dst_sel:DWORD dst_unused:UNUSED_PAD src0_sel:WORD_1 src1_sel:DWORD
	v_pk_fma_f16 v86, v76, v81, v47
	v_add_nc_u32_e32 v47, 0x3800, v37
	v_pk_fma_f16 v84, v76, v85, v84
	v_pk_fma_f16 v82, v76, v79, v82
	;; [unrolled: 1-line block ×7, first 2 shown]
	ds_read2_b64 v[74:77], v47 offset1:32
	ds_read_b128 v[78:81], v41 offset:448
	s_waitcnt lgkmcnt(0)
	v_mul_u32_u24_sdwa v89, v78, v73 dst_sel:DWORD dst_unused:UNUSED_PAD src0_sel:WORD_0 src1_sel:DWORD
	v_mul_u32_u24_sdwa v78, v78, v73 dst_sel:DWORD dst_unused:UNUSED_PAD src0_sel:WORD_1 src1_sel:DWORD
	v_mul_u32_u24_sdwa v90, v79, v73 dst_sel:DWORD dst_unused:UNUSED_PAD src0_sel:WORD_0 src1_sel:DWORD
	v_mul_u32_u24_sdwa v79, v79, v73 dst_sel:DWORD dst_unused:UNUSED_PAD src0_sel:WORD_1 src1_sel:DWORD
	v_pk_fma_f16 v82, v74, v89, v82
	v_pk_fma_f16 v83, v74, v78, v83
	v_pk_fma_f16 v84, v74, v90, v84
	v_pk_fma_f16 v74, v74, v79, v86
	v_pk_fma_f16 v86, v75, v89, v87
	v_pk_fma_f16 v54, v75, v78, v54
	v_pk_fma_f16 v78, v75, v90, v85
	v_pk_fma_f16 v75, v75, v79, v88
	v_mul_u32_u24_sdwa v79, v80, v73 dst_sel:DWORD dst_unused:UNUSED_PAD src0_sel:WORD_0 src1_sel:DWORD
	v_mul_u32_u24_sdwa v80, v80, v73 dst_sel:DWORD dst_unused:UNUSED_PAD src0_sel:WORD_1 src1_sel:DWORD
	v_mul_u32_u24_sdwa v85, v81, v73 dst_sel:DWORD dst_unused:UNUSED_PAD src0_sel:WORD_0 src1_sel:DWORD
	v_mul_u32_u24_sdwa v81, v81, v73 dst_sel:DWORD dst_unused:UNUSED_PAD src0_sel:WORD_1 src1_sel:DWORD
	v_pk_fma_f16 v82, v76, v79, v82
	v_pk_fma_f16 v83, v76, v80, v83
	v_pk_fma_f16 v84, v76, v85, v84
	v_pk_fma_f16 v87, v76, v81, v74
	v_pk_fma_f16 v86, v77, v79, v86
	v_pk_fma_f16 v54, v77, v80, v54
	v_pk_fma_f16 v85, v77, v85, v78
	v_pk_fma_f16 v88, v77, v81, v75
	ds_read2_b64 v[74:77], v47 offset0:64 offset1:96
	ds_read_b128 v[78:81], v41 offset:464
	s_waitcnt lgkmcnt(0)
	v_mul_u32_u24_sdwa v89, v78, v73 dst_sel:DWORD dst_unused:UNUSED_PAD src0_sel:WORD_0 src1_sel:DWORD
	v_mul_u32_u24_sdwa v78, v78, v73 dst_sel:DWORD dst_unused:UNUSED_PAD src0_sel:WORD_1 src1_sel:DWORD
	v_mul_u32_u24_sdwa v90, v79, v73 dst_sel:DWORD dst_unused:UNUSED_PAD src0_sel:WORD_0 src1_sel:DWORD
	v_mul_u32_u24_sdwa v79, v79, v73 dst_sel:DWORD dst_unused:UNUSED_PAD src0_sel:WORD_1 src1_sel:DWORD
	v_pk_fma_f16 v82, v74, v89, v82
	v_pk_fma_f16 v83, v74, v78, v83
	v_pk_fma_f16 v84, v74, v90, v84
	v_pk_fma_f16 v74, v74, v79, v87
	v_pk_fma_f16 v86, v75, v89, v86
	v_pk_fma_f16 v54, v75, v78, v54
	v_pk_fma_f16 v78, v75, v90, v85
	v_pk_fma_f16 v75, v75, v79, v88
	v_mul_u32_u24_sdwa v79, v80, v73 dst_sel:DWORD dst_unused:UNUSED_PAD src0_sel:WORD_0 src1_sel:DWORD
	v_mul_u32_u24_sdwa v80, v80, v73 dst_sel:DWORD dst_unused:UNUSED_PAD src0_sel:WORD_1 src1_sel:DWORD
	v_mul_u32_u24_sdwa v85, v81, v73 dst_sel:DWORD dst_unused:UNUSED_PAD src0_sel:WORD_0 src1_sel:DWORD
	v_mul_u32_u24_sdwa v81, v81, v73 dst_sel:DWORD dst_unused:UNUSED_PAD src0_sel:WORD_1 src1_sel:DWORD
	v_pk_fma_f16 v82, v76, v79, v82
	v_pk_fma_f16 v83, v76, v80, v83
	v_pk_fma_f16 v84, v76, v85, v84
	v_pk_fma_f16 v87, v76, v81, v74
	v_pk_fma_f16 v86, v77, v79, v86
	v_pk_fma_f16 v54, v77, v80, v54
	v_pk_fma_f16 v85, v77, v85, v78
	v_pk_fma_f16 v88, v77, v81, v75
	ds_read2_b64 v[74:77], v47 offset0:128 offset1:160
	;; [unrolled: 27-line block ×3, first 2 shown]
	ds_read_b128 v[78:81], v41 offset:496
	s_waitcnt lgkmcnt(0)
	s_barrier
	buffer_gl0_inv
	v_mul_u32_u24_sdwa v89, v78, v73 dst_sel:DWORD dst_unused:UNUSED_PAD src0_sel:WORD_0 src1_sel:DWORD
	v_mul_u32_u24_sdwa v78, v78, v73 dst_sel:DWORD dst_unused:UNUSED_PAD src0_sel:WORD_1 src1_sel:DWORD
	v_mul_u32_u24_sdwa v90, v79, v73 dst_sel:DWORD dst_unused:UNUSED_PAD src0_sel:WORD_0 src1_sel:DWORD
	v_mul_u32_u24_sdwa v79, v79, v73 dst_sel:DWORD dst_unused:UNUSED_PAD src0_sel:WORD_1 src1_sel:DWORD
	v_pk_fma_f16 v82, v74, v89, v82
	v_pk_fma_f16 v83, v74, v78, v83
	;; [unrolled: 1-line block ×6, first 2 shown]
	v_mul_u32_u24_sdwa v85, v81, v73 dst_sel:DWORD dst_unused:UNUSED_PAD src0_sel:WORD_0 src1_sel:DWORD
	v_mul_u32_u24_sdwa v81, v81, v73 dst_sel:DWORD dst_unused:UNUSED_PAD src0_sel:WORD_1 src1_sel:DWORD
	v_pk_fma_f16 v86, v75, v89, v86
	v_pk_fma_f16 v75, v75, v79, v88
	v_mul_u32_u24_sdwa v79, v80, v73 dst_sel:DWORD dst_unused:UNUSED_PAD src0_sel:WORD_0 src1_sel:DWORD
	v_mul_u32_u24_sdwa v80, v80, v73 dst_sel:DWORD dst_unused:UNUSED_PAD src0_sel:WORD_1 src1_sel:DWORD
	v_pk_fma_f16 v97, v76, v81, v74
	v_add_co_u32 v74, vcc_lo, s16, v14
	v_pk_fma_f16 v100, v77, v81, v75
	v_add_co_ci_u32_e64 v75, null, s17, v15, vcc_lo
	v_add_co_u32 v74, vcc_lo, v74, v71
	v_pk_fma_f16 v94, v76, v79, v82
	v_add_co_ci_u32_e64 v75, null, 0, v75, vcc_lo
	v_pk_fma_f16 v95, v76, v80, v83
	v_pk_fma_f16 v96, v76, v85, v84
	v_pk_fma_f16 v98, v77, v79, v86
	v_pk_fma_f16 v54, v77, v80, v54
	v_pk_fma_f16 v99, v77, v85, v78
	global_load_dwordx4 v[74:77], v[74:75], off
	s_waitcnt vmcnt(0)
	ds_write_b128 v64, v[74:77]
	v_add_co_u32 v74, vcc_lo, s16, v16
	v_add_co_ci_u32_e64 v75, null, s17, v17, vcc_lo
	v_add_co_u32 v74, vcc_lo, v74, v71
	v_add_co_ci_u32_e64 v75, null, 0, v75, vcc_lo
	global_load_dwordx4 v[74:77], v[74:75], off
	s_waitcnt vmcnt(0)
	ds_write_b128 v67, v[74:77]
	v_add_co_u32 v74, vcc_lo, s16, v18
	v_add_co_ci_u32_e64 v75, null, s17, v19, vcc_lo
	v_add_co_u32 v74, vcc_lo, v74, v71
	v_add_co_ci_u32_e64 v75, null, 0, v75, vcc_lo
	;; [unrolled: 7-line block ×3, first 2 shown]
	global_load_dwordx4 v[74:77], v[74:75], off
	s_waitcnt vmcnt(0)
	ds_write_b128 v69, v[74:77]
	s_waitcnt lgkmcnt(0)
	s_barrier
	buffer_gl0_inv
	ds_read2_b64 v[74:77], v37 offset1:32
	ds_read_b128 v[78:81], v41 offset:512
	ds_read_b128 v[82:85], v41 offset:528
	ds_read_b128 v[86:89], v41 offset:544
	ds_read_b128 v[90:93], v41 offset:560
	s_waitcnt lgkmcnt(3)
	v_mul_u32_u24_sdwa v101, v78, v73 dst_sel:DWORD dst_unused:UNUSED_PAD src0_sel:WORD_0 src1_sel:DWORD
	v_mul_u32_u24_sdwa v78, v78, v73 dst_sel:DWORD dst_unused:UNUSED_PAD src0_sel:WORD_1 src1_sel:DWORD
	v_mul_u32_u24_sdwa v102, v79, v73 dst_sel:DWORD dst_unused:UNUSED_PAD src0_sel:WORD_0 src1_sel:DWORD
	v_mul_u32_u24_sdwa v79, v79, v73 dst_sel:DWORD dst_unused:UNUSED_PAD src0_sel:WORD_1 src1_sel:DWORD
	v_pk_fma_f16 v94, v74, v101, v94
	v_pk_fma_f16 v95, v74, v78, v95
	;; [unrolled: 1-line block ×8, first 2 shown]
	v_mul_u32_u24_sdwa v79, v80, v73 dst_sel:DWORD dst_unused:UNUSED_PAD src0_sel:WORD_0 src1_sel:DWORD
	v_mul_u32_u24_sdwa v80, v80, v73 dst_sel:DWORD dst_unused:UNUSED_PAD src0_sel:WORD_1 src1_sel:DWORD
	v_mul_u32_u24_sdwa v98, v81, v73 dst_sel:DWORD dst_unused:UNUSED_PAD src0_sel:WORD_0 src1_sel:DWORD
	v_mul_u32_u24_sdwa v81, v81, v73 dst_sel:DWORD dst_unused:UNUSED_PAD src0_sel:WORD_1 src1_sel:DWORD
	v_pk_fma_f16 v94, v76, v79, v94
	v_pk_fma_f16 v95, v76, v80, v95
	;; [unrolled: 1-line block ×8, first 2 shown]
	ds_read2_b64 v[74:77], v37 offset0:64 offset1:96
	s_waitcnt lgkmcnt(3)
	v_mul_u32_u24_sdwa v81, v82, v73 dst_sel:DWORD dst_unused:UNUSED_PAD src0_sel:WORD_0 src1_sel:DWORD
	v_mul_u32_u24_sdwa v82, v82, v73 dst_sel:DWORD dst_unused:UNUSED_PAD src0_sel:WORD_1 src1_sel:DWORD
	v_mul_u32_u24_sdwa v97, v83, v73 dst_sel:DWORD dst_unused:UNUSED_PAD src0_sel:WORD_0 src1_sel:DWORD
	v_mul_u32_u24_sdwa v83, v83, v73 dst_sel:DWORD dst_unused:UNUSED_PAD src0_sel:WORD_1 src1_sel:DWORD
	s_waitcnt lgkmcnt(0)
	v_pk_fma_f16 v94, v74, v81, v94
	v_pk_fma_f16 v95, v74, v82, v95
	;; [unrolled: 1-line block ×8, first 2 shown]
	v_mul_u32_u24_sdwa v80, v84, v73 dst_sel:DWORD dst_unused:UNUSED_PAD src0_sel:WORD_0 src1_sel:DWORD
	v_mul_u32_u24_sdwa v81, v84, v73 dst_sel:DWORD dst_unused:UNUSED_PAD src0_sel:WORD_1 src1_sel:DWORD
	v_mul_u32_u24_sdwa v82, v85, v73 dst_sel:DWORD dst_unused:UNUSED_PAD src0_sel:WORD_0 src1_sel:DWORD
	v_mul_u32_u24_sdwa v83, v85, v73 dst_sel:DWORD dst_unused:UNUSED_PAD src0_sel:WORD_1 src1_sel:DWORD
	v_pk_fma_f16 v84, v76, v80, v94
	v_pk_fma_f16 v85, v76, v81, v95
	;; [unrolled: 1-line block ×8, first 2 shown]
	ds_read2_b64 v[74:77], v37 offset0:128 offset1:160
	v_mul_u32_u24_sdwa v81, v86, v73 dst_sel:DWORD dst_unused:UNUSED_PAD src0_sel:WORD_0 src1_sel:DWORD
	v_mul_u32_u24_sdwa v82, v86, v73 dst_sel:DWORD dst_unused:UNUSED_PAD src0_sel:WORD_1 src1_sel:DWORD
	v_mul_u32_u24_sdwa v83, v87, v73 dst_sel:DWORD dst_unused:UNUSED_PAD src0_sel:WORD_0 src1_sel:DWORD
	v_mul_u32_u24_sdwa v86, v87, v73 dst_sel:DWORD dst_unused:UNUSED_PAD src0_sel:WORD_1 src1_sel:DWORD
	s_waitcnt lgkmcnt(0)
	v_pk_fma_f16 v84, v74, v81, v84
	v_pk_fma_f16 v85, v74, v82, v85
	;; [unrolled: 1-line block ×8, first 2 shown]
	v_mul_u32_u24_sdwa v80, v88, v73 dst_sel:DWORD dst_unused:UNUSED_PAD src0_sel:WORD_0 src1_sel:DWORD
	v_mul_u32_u24_sdwa v81, v88, v73 dst_sel:DWORD dst_unused:UNUSED_PAD src0_sel:WORD_1 src1_sel:DWORD
	v_mul_u32_u24_sdwa v82, v89, v73 dst_sel:DWORD dst_unused:UNUSED_PAD src0_sel:WORD_0 src1_sel:DWORD
	v_mul_u32_u24_sdwa v83, v89, v73 dst_sel:DWORD dst_unused:UNUSED_PAD src0_sel:WORD_1 src1_sel:DWORD
	v_mul_u32_u24_sdwa v88, v91, v73 dst_sel:DWORD dst_unused:UNUSED_PAD src0_sel:WORD_1 src1_sel:DWORD
	v_pk_fma_f16 v84, v76, v80, v84
	v_pk_fma_f16 v85, v76, v81, v85
	v_pk_fma_f16 v86, v76, v82, v87
	v_pk_fma_f16 v87, v76, v83, v74
	v_pk_fma_f16 v79, v77, v80, v79
	v_pk_fma_f16 v54, v77, v81, v54
	v_pk_fma_f16 v78, v77, v82, v78
	v_pk_fma_f16 v80, v77, v83, v75
	ds_read2_b64 v[74:77], v37 offset0:192 offset1:224
	v_mul_u32_u24_sdwa v81, v90, v73 dst_sel:DWORD dst_unused:UNUSED_PAD src0_sel:WORD_0 src1_sel:DWORD
	v_mul_u32_u24_sdwa v82, v90, v73 dst_sel:DWORD dst_unused:UNUSED_PAD src0_sel:WORD_1 src1_sel:DWORD
	v_mul_u32_u24_sdwa v83, v91, v73 dst_sel:DWORD dst_unused:UNUSED_PAD src0_sel:WORD_0 src1_sel:DWORD
	s_waitcnt lgkmcnt(0)
	v_pk_fma_f16 v84, v74, v81, v84
	v_pk_fma_f16 v85, v74, v82, v85
	;; [unrolled: 1-line block ×8, first 2 shown]
	v_mul_u32_u24_sdwa v80, v92, v73 dst_sel:DWORD dst_unused:UNUSED_PAD src0_sel:WORD_0 src1_sel:DWORD
	v_mul_u32_u24_sdwa v81, v92, v73 dst_sel:DWORD dst_unused:UNUSED_PAD src0_sel:WORD_1 src1_sel:DWORD
	v_mul_u32_u24_sdwa v82, v93, v73 dst_sel:DWORD dst_unused:UNUSED_PAD src0_sel:WORD_0 src1_sel:DWORD
	v_mul_u32_u24_sdwa v83, v93, v73 dst_sel:DWORD dst_unused:UNUSED_PAD src0_sel:WORD_1 src1_sel:DWORD
	v_pk_fma_f16 v84, v76, v80, v84
	v_pk_fma_f16 v85, v76, v81, v85
	;; [unrolled: 1-line block ×8, first 2 shown]
	ds_read2_b64 v[74:77], v50 offset1:32
	ds_read_b128 v[78:81], v41 offset:576
	s_waitcnt lgkmcnt(0)
	v_mul_u32_u24_sdwa v89, v78, v73 dst_sel:DWORD dst_unused:UNUSED_PAD src0_sel:WORD_0 src1_sel:DWORD
	v_mul_u32_u24_sdwa v78, v78, v73 dst_sel:DWORD dst_unused:UNUSED_PAD src0_sel:WORD_1 src1_sel:DWORD
	v_mul_u32_u24_sdwa v90, v79, v73 dst_sel:DWORD dst_unused:UNUSED_PAD src0_sel:WORD_0 src1_sel:DWORD
	v_mul_u32_u24_sdwa v79, v79, v73 dst_sel:DWORD dst_unused:UNUSED_PAD src0_sel:WORD_1 src1_sel:DWORD
	v_pk_fma_f16 v84, v74, v89, v84
	v_pk_fma_f16 v85, v74, v78, v85
	v_pk_fma_f16 v86, v74, v90, v86
	v_pk_fma_f16 v74, v74, v79, v87
	v_pk_fma_f16 v87, v75, v89, v88
	v_pk_fma_f16 v54, v75, v78, v54
	v_pk_fma_f16 v78, v75, v90, v82
	v_pk_fma_f16 v75, v75, v79, v83
	v_mul_u32_u24_sdwa v79, v80, v73 dst_sel:DWORD dst_unused:UNUSED_PAD src0_sel:WORD_0 src1_sel:DWORD
	v_mul_u32_u24_sdwa v80, v80, v73 dst_sel:DWORD dst_unused:UNUSED_PAD src0_sel:WORD_1 src1_sel:DWORD
	v_mul_u32_u24_sdwa v82, v81, v73 dst_sel:DWORD dst_unused:UNUSED_PAD src0_sel:WORD_0 src1_sel:DWORD
	v_mul_u32_u24_sdwa v81, v81, v73 dst_sel:DWORD dst_unused:UNUSED_PAD src0_sel:WORD_1 src1_sel:DWORD
	v_pk_fma_f16 v83, v76, v79, v84
	v_pk_fma_f16 v84, v76, v80, v85
	v_pk_fma_f16 v85, v76, v82, v86
	v_pk_fma_f16 v86, v76, v81, v74
	v_pk_fma_f16 v87, v77, v79, v87
	v_pk_fma_f16 v54, v77, v80, v54
	v_pk_fma_f16 v82, v77, v82, v78
	v_pk_fma_f16 v88, v77, v81, v75
	ds_read2_b64 v[74:77], v50 offset0:64 offset1:96
	ds_read_b128 v[78:81], v41 offset:592
	s_waitcnt lgkmcnt(0)
	v_mul_u32_u24_sdwa v89, v78, v73 dst_sel:DWORD dst_unused:UNUSED_PAD src0_sel:WORD_0 src1_sel:DWORD
	v_mul_u32_u24_sdwa v78, v78, v73 dst_sel:DWORD dst_unused:UNUSED_PAD src0_sel:WORD_1 src1_sel:DWORD
	v_mul_u32_u24_sdwa v90, v79, v73 dst_sel:DWORD dst_unused:UNUSED_PAD src0_sel:WORD_0 src1_sel:DWORD
	v_mul_u32_u24_sdwa v79, v79, v73 dst_sel:DWORD dst_unused:UNUSED_PAD src0_sel:WORD_1 src1_sel:DWORD
	v_pk_fma_f16 v83, v74, v89, v83
	v_pk_fma_f16 v84, v74, v78, v84
	v_pk_fma_f16 v85, v74, v90, v85
	v_pk_fma_f16 v74, v74, v79, v86
	v_pk_fma_f16 v86, v75, v89, v87
	v_pk_fma_f16 v54, v75, v78, v54
	v_pk_fma_f16 v78, v75, v90, v82
	v_pk_fma_f16 v75, v75, v79, v88
	v_mul_u32_u24_sdwa v79, v80, v73 dst_sel:DWORD dst_unused:UNUSED_PAD src0_sel:WORD_0 src1_sel:DWORD
	v_mul_u32_u24_sdwa v80, v80, v73 dst_sel:DWORD dst_unused:UNUSED_PAD src0_sel:WORD_1 src1_sel:DWORD
	v_mul_u32_u24_sdwa v82, v81, v73 dst_sel:DWORD dst_unused:UNUSED_PAD src0_sel:WORD_0 src1_sel:DWORD
	v_mul_u32_u24_sdwa v81, v81, v73 dst_sel:DWORD dst_unused:UNUSED_PAD src0_sel:WORD_1 src1_sel:DWORD
	v_pk_fma_f16 v83, v76, v79, v83
	v_pk_fma_f16 v84, v76, v80, v84
	v_pk_fma_f16 v85, v76, v82, v85
	v_pk_fma_f16 v87, v76, v81, v74
	v_pk_fma_f16 v86, v77, v79, v86
	v_pk_fma_f16 v54, v77, v80, v54
	v_pk_fma_f16 v82, v77, v82, v78
	v_pk_fma_f16 v88, v77, v81, v75
	ds_read2_b64 v[74:77], v50 offset0:128 offset1:160
	;; [unrolled: 27-line block ×3, first 2 shown]
	ds_read_b128 v[78:81], v41 offset:624
	s_waitcnt lgkmcnt(0)
	v_mul_u32_u24_sdwa v50, v78, v73 dst_sel:DWORD dst_unused:UNUSED_PAD src0_sel:WORD_0 src1_sel:DWORD
	v_mul_u32_u24_sdwa v78, v78, v73 dst_sel:DWORD dst_unused:UNUSED_PAD src0_sel:WORD_1 src1_sel:DWORD
	v_mul_u32_u24_sdwa v89, v79, v73 dst_sel:DWORD dst_unused:UNUSED_PAD src0_sel:WORD_0 src1_sel:DWORD
	v_mul_u32_u24_sdwa v79, v79, v73 dst_sel:DWORD dst_unused:UNUSED_PAD src0_sel:WORD_1 src1_sel:DWORD
	v_pk_fma_f16 v83, v74, v50, v83
	v_pk_fma_f16 v84, v74, v78, v84
	;; [unrolled: 1-line block ×8, first 2 shown]
	v_mul_u32_u24_sdwa v79, v80, v73 dst_sel:DWORD dst_unused:UNUSED_PAD src0_sel:WORD_0 src1_sel:DWORD
	v_mul_u32_u24_sdwa v80, v80, v73 dst_sel:DWORD dst_unused:UNUSED_PAD src0_sel:WORD_1 src1_sel:DWORD
	v_mul_u32_u24_sdwa v82, v81, v73 dst_sel:DWORD dst_unused:UNUSED_PAD src0_sel:WORD_0 src1_sel:DWORD
	v_mul_u32_u24_sdwa v81, v81, v73 dst_sel:DWORD dst_unused:UNUSED_PAD src0_sel:WORD_1 src1_sel:DWORD
	v_pk_fma_f16 v83, v76, v79, v83
	v_pk_fma_f16 v84, v76, v80, v84
	v_pk_fma_f16 v85, v76, v82, v85
	v_pk_fma_f16 v86, v76, v81, v74
	v_pk_fma_f16 v50, v77, v79, v50
	v_pk_fma_f16 v54, v77, v80, v54
	v_pk_fma_f16 v82, v77, v82, v78
	v_pk_fma_f16 v87, v77, v81, v75
	ds_read2_b64 v[74:77], v51 offset1:32
	ds_read_b128 v[78:81], v41 offset:640
	s_waitcnt lgkmcnt(0)
	v_mul_u32_u24_sdwa v88, v78, v73 dst_sel:DWORD dst_unused:UNUSED_PAD src0_sel:WORD_0 src1_sel:DWORD
	v_mul_u32_u24_sdwa v78, v78, v73 dst_sel:DWORD dst_unused:UNUSED_PAD src0_sel:WORD_1 src1_sel:DWORD
	v_mul_u32_u24_sdwa v89, v79, v73 dst_sel:DWORD dst_unused:UNUSED_PAD src0_sel:WORD_0 src1_sel:DWORD
	v_mul_u32_u24_sdwa v79, v79, v73 dst_sel:DWORD dst_unused:UNUSED_PAD src0_sel:WORD_1 src1_sel:DWORD
	v_pk_fma_f16 v83, v74, v88, v83
	v_pk_fma_f16 v84, v74, v78, v84
	v_pk_fma_f16 v85, v74, v89, v85
	v_pk_fma_f16 v74, v74, v79, v86
	v_pk_fma_f16 v50, v75, v88, v50
	v_pk_fma_f16 v54, v75, v78, v54
	v_pk_fma_f16 v78, v75, v89, v82
	v_pk_fma_f16 v75, v75, v79, v87
	v_mul_u32_u24_sdwa v79, v80, v73 dst_sel:DWORD dst_unused:UNUSED_PAD src0_sel:WORD_0 src1_sel:DWORD
	v_mul_u32_u24_sdwa v80, v80, v73 dst_sel:DWORD dst_unused:UNUSED_PAD src0_sel:WORD_1 src1_sel:DWORD
	v_mul_u32_u24_sdwa v82, v81, v73 dst_sel:DWORD dst_unused:UNUSED_PAD src0_sel:WORD_0 src1_sel:DWORD
	v_mul_u32_u24_sdwa v81, v81, v73 dst_sel:DWORD dst_unused:UNUSED_PAD src0_sel:WORD_1 src1_sel:DWORD
	v_pk_fma_f16 v83, v76, v79, v83
	v_pk_fma_f16 v84, v76, v80, v84
	v_pk_fma_f16 v85, v76, v82, v85
	v_pk_fma_f16 v86, v76, v81, v74
	v_pk_fma_f16 v50, v77, v79, v50
	v_pk_fma_f16 v54, v77, v80, v54
	v_pk_fma_f16 v82, v77, v82, v78
	v_pk_fma_f16 v87, v77, v81, v75
	ds_read2_b64 v[74:77], v51 offset0:64 offset1:96
	ds_read_b128 v[78:81], v41 offset:656
	s_waitcnt lgkmcnt(0)
	v_mul_u32_u24_sdwa v88, v78, v73 dst_sel:DWORD dst_unused:UNUSED_PAD src0_sel:WORD_0 src1_sel:DWORD
	v_mul_u32_u24_sdwa v78, v78, v73 dst_sel:DWORD dst_unused:UNUSED_PAD src0_sel:WORD_1 src1_sel:DWORD
	v_mul_u32_u24_sdwa v89, v79, v73 dst_sel:DWORD dst_unused:UNUSED_PAD src0_sel:WORD_0 src1_sel:DWORD
	v_mul_u32_u24_sdwa v79, v79, v73 dst_sel:DWORD dst_unused:UNUSED_PAD src0_sel:WORD_1 src1_sel:DWORD
	v_pk_fma_f16 v83, v74, v88, v83
	v_pk_fma_f16 v84, v74, v78, v84
	v_pk_fma_f16 v85, v74, v89, v85
	v_pk_fma_f16 v74, v74, v79, v86
	v_pk_fma_f16 v50, v75, v88, v50
	v_pk_fma_f16 v54, v75, v78, v54
	v_pk_fma_f16 v78, v75, v89, v82
	v_pk_fma_f16 v75, v75, v79, v87
	v_mul_u32_u24_sdwa v79, v80, v73 dst_sel:DWORD dst_unused:UNUSED_PAD src0_sel:WORD_0 src1_sel:DWORD
	v_mul_u32_u24_sdwa v80, v80, v73 dst_sel:DWORD dst_unused:UNUSED_PAD src0_sel:WORD_1 src1_sel:DWORD
	v_mul_u32_u24_sdwa v82, v81, v73 dst_sel:DWORD dst_unused:UNUSED_PAD src0_sel:WORD_0 src1_sel:DWORD
	v_mul_u32_u24_sdwa v81, v81, v73 dst_sel:DWORD dst_unused:UNUSED_PAD src0_sel:WORD_1 src1_sel:DWORD
	v_pk_fma_f16 v83, v76, v79, v83
	v_pk_fma_f16 v84, v76, v80, v84
	v_pk_fma_f16 v85, v76, v82, v85
	v_pk_fma_f16 v86, v76, v81, v74
	v_pk_fma_f16 v50, v77, v79, v50
	v_pk_fma_f16 v54, v77, v80, v54
	v_pk_fma_f16 v82, v77, v82, v78
	v_pk_fma_f16 v87, v77, v81, v75
	ds_read2_b64 v[74:77], v51 offset0:128 offset1:160
	;; [unrolled: 27-line block ×3, first 2 shown]
	ds_read_b128 v[78:81], v41 offset:688
	s_waitcnt lgkmcnt(0)
	v_mul_u32_u24_sdwa v51, v78, v73 dst_sel:DWORD dst_unused:UNUSED_PAD src0_sel:WORD_0 src1_sel:DWORD
	v_mul_u32_u24_sdwa v78, v78, v73 dst_sel:DWORD dst_unused:UNUSED_PAD src0_sel:WORD_1 src1_sel:DWORD
	v_mul_u32_u24_sdwa v88, v79, v73 dst_sel:DWORD dst_unused:UNUSED_PAD src0_sel:WORD_0 src1_sel:DWORD
	v_mul_u32_u24_sdwa v79, v79, v73 dst_sel:DWORD dst_unused:UNUSED_PAD src0_sel:WORD_1 src1_sel:DWORD
	v_pk_fma_f16 v83, v74, v51, v83
	v_pk_fma_f16 v84, v74, v78, v84
	;; [unrolled: 1-line block ×8, first 2 shown]
	v_mul_u32_u24_sdwa v78, v80, v73 dst_sel:DWORD dst_unused:UNUSED_PAD src0_sel:WORD_0 src1_sel:DWORD
	v_mul_u32_u24_sdwa v79, v80, v73 dst_sel:DWORD dst_unused:UNUSED_PAD src0_sel:WORD_1 src1_sel:DWORD
	v_mul_u32_u24_sdwa v80, v81, v73 dst_sel:DWORD dst_unused:UNUSED_PAD src0_sel:WORD_0 src1_sel:DWORD
	v_mul_u32_u24_sdwa v81, v81, v73 dst_sel:DWORD dst_unused:UNUSED_PAD src0_sel:WORD_1 src1_sel:DWORD
	v_pk_fma_f16 v82, v76, v78, v83
	v_pk_fma_f16 v83, v76, v79, v84
	;; [unrolled: 1-line block ×8, first 2 shown]
	ds_read2_b64 v[74:77], v52 offset1:32
	ds_read_b128 v[78:81], v41 offset:704
	s_waitcnt lgkmcnt(0)
	v_mul_u32_u24_sdwa v87, v78, v73 dst_sel:DWORD dst_unused:UNUSED_PAD src0_sel:WORD_0 src1_sel:DWORD
	v_mul_u32_u24_sdwa v78, v78, v73 dst_sel:DWORD dst_unused:UNUSED_PAD src0_sel:WORD_1 src1_sel:DWORD
	v_mul_u32_u24_sdwa v88, v79, v73 dst_sel:DWORD dst_unused:UNUSED_PAD src0_sel:WORD_0 src1_sel:DWORD
	v_mul_u32_u24_sdwa v79, v79, v73 dst_sel:DWORD dst_unused:UNUSED_PAD src0_sel:WORD_1 src1_sel:DWORD
	v_pk_fma_f16 v82, v74, v87, v82
	v_pk_fma_f16 v83, v74, v78, v83
	v_pk_fma_f16 v84, v74, v88, v84
	v_pk_fma_f16 v74, v74, v79, v85
	v_pk_fma_f16 v50, v75, v87, v50
	v_pk_fma_f16 v51, v75, v78, v51
	v_pk_fma_f16 v54, v75, v88, v54
	v_pk_fma_f16 v75, v75, v79, v86
	v_mul_u32_u24_sdwa v78, v80, v73 dst_sel:DWORD dst_unused:UNUSED_PAD src0_sel:WORD_0 src1_sel:DWORD
	v_mul_u32_u24_sdwa v79, v80, v73 dst_sel:DWORD dst_unused:UNUSED_PAD src0_sel:WORD_1 src1_sel:DWORD
	v_mul_u32_u24_sdwa v80, v81, v73 dst_sel:DWORD dst_unused:UNUSED_PAD src0_sel:WORD_0 src1_sel:DWORD
	v_mul_u32_u24_sdwa v81, v81, v73 dst_sel:DWORD dst_unused:UNUSED_PAD src0_sel:WORD_1 src1_sel:DWORD
	v_pk_fma_f16 v82, v76, v78, v82
	v_pk_fma_f16 v83, v76, v79, v83
	v_pk_fma_f16 v84, v76, v80, v84
	v_pk_fma_f16 v85, v76, v81, v74
	v_pk_fma_f16 v50, v77, v78, v50
	v_pk_fma_f16 v51, v77, v79, v51
	v_pk_fma_f16 v54, v77, v80, v54
	v_pk_fma_f16 v86, v77, v81, v75
	ds_read2_b64 v[74:77], v52 offset0:64 offset1:96
	ds_read_b128 v[78:81], v41 offset:720
	s_waitcnt lgkmcnt(0)
	v_mul_u32_u24_sdwa v87, v78, v73 dst_sel:DWORD dst_unused:UNUSED_PAD src0_sel:WORD_0 src1_sel:DWORD
	v_mul_u32_u24_sdwa v78, v78, v73 dst_sel:DWORD dst_unused:UNUSED_PAD src0_sel:WORD_1 src1_sel:DWORD
	v_mul_u32_u24_sdwa v88, v79, v73 dst_sel:DWORD dst_unused:UNUSED_PAD src0_sel:WORD_0 src1_sel:DWORD
	v_mul_u32_u24_sdwa v79, v79, v73 dst_sel:DWORD dst_unused:UNUSED_PAD src0_sel:WORD_1 src1_sel:DWORD
	v_pk_fma_f16 v82, v74, v87, v82
	v_pk_fma_f16 v83, v74, v78, v83
	v_pk_fma_f16 v84, v74, v88, v84
	v_pk_fma_f16 v74, v74, v79, v85
	v_pk_fma_f16 v50, v75, v87, v50
	v_pk_fma_f16 v51, v75, v78, v51
	v_pk_fma_f16 v54, v75, v88, v54
	v_pk_fma_f16 v75, v75, v79, v86
	v_mul_u32_u24_sdwa v78, v80, v73 dst_sel:DWORD dst_unused:UNUSED_PAD src0_sel:WORD_0 src1_sel:DWORD
	v_mul_u32_u24_sdwa v79, v80, v73 dst_sel:DWORD dst_unused:UNUSED_PAD src0_sel:WORD_1 src1_sel:DWORD
	v_mul_u32_u24_sdwa v80, v81, v73 dst_sel:DWORD dst_unused:UNUSED_PAD src0_sel:WORD_0 src1_sel:DWORD
	v_mul_u32_u24_sdwa v81, v81, v73 dst_sel:DWORD dst_unused:UNUSED_PAD src0_sel:WORD_1 src1_sel:DWORD
	v_pk_fma_f16 v82, v76, v78, v82
	v_pk_fma_f16 v83, v76, v79, v83
	v_pk_fma_f16 v84, v76, v80, v84
	v_pk_fma_f16 v85, v76, v81, v74
	v_pk_fma_f16 v50, v77, v78, v50
	v_pk_fma_f16 v51, v77, v79, v51
	v_pk_fma_f16 v54, v77, v80, v54
	v_pk_fma_f16 v86, v77, v81, v75
	ds_read2_b64 v[74:77], v52 offset0:128 offset1:160
	;; [unrolled: 27-line block ×3, first 2 shown]
	ds_read_b128 v[78:81], v41 offset:752
	s_waitcnt lgkmcnt(0)
	v_mul_u32_u24_sdwa v52, v78, v73 dst_sel:DWORD dst_unused:UNUSED_PAD src0_sel:WORD_0 src1_sel:DWORD
	v_mul_u32_u24_sdwa v78, v78, v73 dst_sel:DWORD dst_unused:UNUSED_PAD src0_sel:WORD_1 src1_sel:DWORD
	v_mul_u32_u24_sdwa v87, v79, v73 dst_sel:DWORD dst_unused:UNUSED_PAD src0_sel:WORD_0 src1_sel:DWORD
	v_mul_u32_u24_sdwa v79, v79, v73 dst_sel:DWORD dst_unused:UNUSED_PAD src0_sel:WORD_1 src1_sel:DWORD
	v_pk_fma_f16 v82, v74, v52, v82
	v_pk_fma_f16 v83, v74, v78, v83
	;; [unrolled: 1-line block ×8, first 2 shown]
	v_mul_u32_u24_sdwa v75, v80, v73 dst_sel:DWORD dst_unused:UNUSED_PAD src0_sel:WORD_0 src1_sel:DWORD
	v_mul_u32_u24_sdwa v78, v80, v73 dst_sel:DWORD dst_unused:UNUSED_PAD src0_sel:WORD_1 src1_sel:DWORD
	v_mul_u32_u24_sdwa v79, v81, v73 dst_sel:DWORD dst_unused:UNUSED_PAD src0_sel:WORD_0 src1_sel:DWORD
	v_mul_u32_u24_sdwa v80, v81, v73 dst_sel:DWORD dst_unused:UNUSED_PAD src0_sel:WORD_1 src1_sel:DWORD
	v_pk_fma_f16 v82, v76, v75, v82
	v_pk_fma_f16 v83, v76, v78, v83
	;; [unrolled: 1-line block ×8, first 2 shown]
	ds_read2_b64 v[74:77], v53 offset1:32
	ds_read_b128 v[78:81], v41 offset:768
	s_waitcnt lgkmcnt(0)
	v_mul_u32_u24_sdwa v86, v78, v73 dst_sel:DWORD dst_unused:UNUSED_PAD src0_sel:WORD_0 src1_sel:DWORD
	v_mul_u32_u24_sdwa v78, v78, v73 dst_sel:DWORD dst_unused:UNUSED_PAD src0_sel:WORD_1 src1_sel:DWORD
	v_mul_u32_u24_sdwa v87, v79, v73 dst_sel:DWORD dst_unused:UNUSED_PAD src0_sel:WORD_0 src1_sel:DWORD
	v_mul_u32_u24_sdwa v79, v79, v73 dst_sel:DWORD dst_unused:UNUSED_PAD src0_sel:WORD_1 src1_sel:DWORD
	v_pk_fma_f16 v82, v74, v86, v82
	v_pk_fma_f16 v83, v74, v78, v83
	v_pk_fma_f16 v84, v74, v87, v84
	v_pk_fma_f16 v74, v74, v79, v85
	v_pk_fma_f16 v50, v75, v86, v50
	v_pk_fma_f16 v51, v75, v78, v51
	v_pk_fma_f16 v52, v75, v87, v52
	v_pk_fma_f16 v54, v75, v79, v54
	v_mul_u32_u24_sdwa v75, v80, v73 dst_sel:DWORD dst_unused:UNUSED_PAD src0_sel:WORD_0 src1_sel:DWORD
	v_mul_u32_u24_sdwa v78, v80, v73 dst_sel:DWORD dst_unused:UNUSED_PAD src0_sel:WORD_1 src1_sel:DWORD
	v_mul_u32_u24_sdwa v79, v81, v73 dst_sel:DWORD dst_unused:UNUSED_PAD src0_sel:WORD_0 src1_sel:DWORD
	v_mul_u32_u24_sdwa v80, v81, v73 dst_sel:DWORD dst_unused:UNUSED_PAD src0_sel:WORD_1 src1_sel:DWORD
	v_pk_fma_f16 v82, v76, v75, v82
	v_pk_fma_f16 v83, v76, v78, v83
	v_pk_fma_f16 v84, v76, v79, v84
	v_pk_fma_f16 v85, v76, v80, v74
	v_pk_fma_f16 v50, v77, v75, v50
	v_pk_fma_f16 v51, v77, v78, v51
	v_pk_fma_f16 v52, v77, v79, v52
	v_pk_fma_f16 v54, v77, v80, v54
	ds_read2_b64 v[74:77], v53 offset0:64 offset1:96
	ds_read_b128 v[78:81], v41 offset:784
	s_waitcnt lgkmcnt(0)
	v_mul_u32_u24_sdwa v86, v78, v73 dst_sel:DWORD dst_unused:UNUSED_PAD src0_sel:WORD_0 src1_sel:DWORD
	v_mul_u32_u24_sdwa v78, v78, v73 dst_sel:DWORD dst_unused:UNUSED_PAD src0_sel:WORD_1 src1_sel:DWORD
	v_mul_u32_u24_sdwa v87, v79, v73 dst_sel:DWORD dst_unused:UNUSED_PAD src0_sel:WORD_0 src1_sel:DWORD
	v_mul_u32_u24_sdwa v79, v79, v73 dst_sel:DWORD dst_unused:UNUSED_PAD src0_sel:WORD_1 src1_sel:DWORD
	v_pk_fma_f16 v82, v74, v86, v82
	v_pk_fma_f16 v83, v74, v78, v83
	v_pk_fma_f16 v84, v74, v87, v84
	v_pk_fma_f16 v74, v74, v79, v85
	v_pk_fma_f16 v50, v75, v86, v50
	v_pk_fma_f16 v51, v75, v78, v51
	v_pk_fma_f16 v52, v75, v87, v52
	v_pk_fma_f16 v54, v75, v79, v54
	v_mul_u32_u24_sdwa v75, v80, v73 dst_sel:DWORD dst_unused:UNUSED_PAD src0_sel:WORD_0 src1_sel:DWORD
	v_mul_u32_u24_sdwa v78, v80, v73 dst_sel:DWORD dst_unused:UNUSED_PAD src0_sel:WORD_1 src1_sel:DWORD
	v_mul_u32_u24_sdwa v79, v81, v73 dst_sel:DWORD dst_unused:UNUSED_PAD src0_sel:WORD_0 src1_sel:DWORD
	v_mul_u32_u24_sdwa v80, v81, v73 dst_sel:DWORD dst_unused:UNUSED_PAD src0_sel:WORD_1 src1_sel:DWORD
	v_pk_fma_f16 v82, v76, v75, v82
	v_pk_fma_f16 v83, v76, v78, v83
	v_pk_fma_f16 v84, v76, v79, v84
	v_pk_fma_f16 v85, v76, v80, v74
	v_pk_fma_f16 v50, v77, v75, v50
	v_pk_fma_f16 v51, v77, v78, v51
	v_pk_fma_f16 v52, v77, v79, v52
	v_pk_fma_f16 v54, v77, v80, v54
	ds_read2_b64 v[74:77], v53 offset0:128 offset1:160
	;; [unrolled: 27-line block ×3, first 2 shown]
	ds_read_b128 v[74:77], v41 offset:816
	s_waitcnt lgkmcnt(0)
	v_mul_u32_u24_sdwa v80, v74, v73 dst_sel:DWORD dst_unused:UNUSED_PAD src0_sel:WORD_0 src1_sel:DWORD
	v_mul_u32_u24_sdwa v74, v74, v73 dst_sel:DWORD dst_unused:UNUSED_PAD src0_sel:WORD_1 src1_sel:DWORD
	v_mul_u32_u24_sdwa v86, v75, v73 dst_sel:DWORD dst_unused:UNUSED_PAD src0_sel:WORD_0 src1_sel:DWORD
	v_mul_u32_u24_sdwa v75, v75, v73 dst_sel:DWORD dst_unused:UNUSED_PAD src0_sel:WORD_1 src1_sel:DWORD
	v_pk_fma_f16 v81, v50, v80, v81
	v_pk_fma_f16 v82, v50, v74, v82
	;; [unrolled: 1-line block ×8, first 2 shown]
	v_mul_u32_u24_sdwa v54, v76, v73 dst_sel:DWORD dst_unused:UNUSED_PAD src0_sel:WORD_0 src1_sel:DWORD
	v_mul_u32_u24_sdwa v75, v76, v73 dst_sel:DWORD dst_unused:UNUSED_PAD src0_sel:WORD_1 src1_sel:DWORD
	v_mul_u32_u24_sdwa v76, v77, v73 dst_sel:DWORD dst_unused:UNUSED_PAD src0_sel:WORD_0 src1_sel:DWORD
	v_mul_u32_u24_sdwa v77, v77, v73 dst_sel:DWORD dst_unused:UNUSED_PAD src0_sel:WORD_1 src1_sel:DWORD
	v_pk_fma_f16 v79, v52, v54, v81
	v_pk_fma_f16 v81, v52, v75, v82
	;; [unrolled: 1-line block ×8, first 2 shown]
	ds_read2_b64 v[50:53], v49 offset1:32
	ds_read_b128 v[74:77], v41 offset:832
	s_waitcnt lgkmcnt(0)
	v_mul_u32_u24_sdwa v85, v74, v73 dst_sel:DWORD dst_unused:UNUSED_PAD src0_sel:WORD_0 src1_sel:DWORD
	v_mul_u32_u24_sdwa v74, v74, v73 dst_sel:DWORD dst_unused:UNUSED_PAD src0_sel:WORD_1 src1_sel:DWORD
	v_mul_u32_u24_sdwa v86, v75, v73 dst_sel:DWORD dst_unused:UNUSED_PAD src0_sel:WORD_0 src1_sel:DWORD
	v_mul_u32_u24_sdwa v75, v75, v73 dst_sel:DWORD dst_unused:UNUSED_PAD src0_sel:WORD_1 src1_sel:DWORD
	v_pk_fma_f16 v79, v50, v85, v79
	v_pk_fma_f16 v81, v50, v74, v81
	v_pk_fma_f16 v82, v50, v86, v82
	v_pk_fma_f16 v50, v50, v75, v83
	v_pk_fma_f16 v54, v51, v85, v54
	v_pk_fma_f16 v74, v51, v74, v80
	v_pk_fma_f16 v78, v51, v86, v78
	v_pk_fma_f16 v51, v51, v75, v84
	v_mul_u32_u24_sdwa v75, v76, v73 dst_sel:DWORD dst_unused:UNUSED_PAD src0_sel:WORD_0 src1_sel:DWORD
	v_mul_u32_u24_sdwa v76, v76, v73 dst_sel:DWORD dst_unused:UNUSED_PAD src0_sel:WORD_1 src1_sel:DWORD
	v_mul_u32_u24_sdwa v80, v77, v73 dst_sel:DWORD dst_unused:UNUSED_PAD src0_sel:WORD_0 src1_sel:DWORD
	v_mul_u32_u24_sdwa v77, v77, v73 dst_sel:DWORD dst_unused:UNUSED_PAD src0_sel:WORD_1 src1_sel:DWORD
	v_pk_fma_f16 v79, v52, v75, v79
	v_pk_fma_f16 v81, v52, v76, v81
	v_pk_fma_f16 v82, v52, v80, v82
	v_pk_fma_f16 v83, v52, v77, v50
	v_pk_fma_f16 v54, v53, v75, v54
	v_pk_fma_f16 v84, v53, v76, v74
	v_pk_fma_f16 v78, v53, v80, v78
	v_pk_fma_f16 v80, v53, v77, v51
	ds_read2_b64 v[50:53], v49 offset0:64 offset1:96
	ds_read_b128 v[74:77], v41 offset:848
	s_waitcnt lgkmcnt(0)
	v_mul_u32_u24_sdwa v85, v74, v73 dst_sel:DWORD dst_unused:UNUSED_PAD src0_sel:WORD_0 src1_sel:DWORD
	v_mul_u32_u24_sdwa v74, v74, v73 dst_sel:DWORD dst_unused:UNUSED_PAD src0_sel:WORD_1 src1_sel:DWORD
	v_mul_u32_u24_sdwa v86, v75, v73 dst_sel:DWORD dst_unused:UNUSED_PAD src0_sel:WORD_0 src1_sel:DWORD
	v_mul_u32_u24_sdwa v75, v75, v73 dst_sel:DWORD dst_unused:UNUSED_PAD src0_sel:WORD_1 src1_sel:DWORD
	v_pk_fma_f16 v79, v50, v85, v79
	v_pk_fma_f16 v81, v50, v74, v81
	v_pk_fma_f16 v82, v50, v86, v82
	v_pk_fma_f16 v50, v50, v75, v83
	v_pk_fma_f16 v54, v51, v85, v54
	v_pk_fma_f16 v74, v51, v74, v84
	v_pk_fma_f16 v78, v51, v86, v78
	v_pk_fma_f16 v51, v51, v75, v80
	v_mul_u32_u24_sdwa v75, v76, v73 dst_sel:DWORD dst_unused:UNUSED_PAD src0_sel:WORD_0 src1_sel:DWORD
	v_mul_u32_u24_sdwa v76, v76, v73 dst_sel:DWORD dst_unused:UNUSED_PAD src0_sel:WORD_1 src1_sel:DWORD
	v_mul_u32_u24_sdwa v80, v77, v73 dst_sel:DWORD dst_unused:UNUSED_PAD src0_sel:WORD_0 src1_sel:DWORD
	v_mul_u32_u24_sdwa v77, v77, v73 dst_sel:DWORD dst_unused:UNUSED_PAD src0_sel:WORD_1 src1_sel:DWORD
	v_pk_fma_f16 v79, v52, v75, v79
	v_pk_fma_f16 v81, v52, v76, v81
	v_pk_fma_f16 v82, v52, v80, v82
	v_pk_fma_f16 v83, v52, v77, v50
	v_pk_fma_f16 v54, v53, v75, v54
	v_pk_fma_f16 v84, v53, v76, v74
	v_pk_fma_f16 v78, v53, v80, v78
	v_pk_fma_f16 v80, v53, v77, v51
	ds_read2_b64 v[50:53], v49 offset0:128 offset1:160
	;; [unrolled: 27-line block ×3, first 2 shown]
	ds_read_b128 v[74:77], v41 offset:880
	s_waitcnt lgkmcnt(0)
	v_mul_u32_u24_sdwa v80, v74, v73 dst_sel:DWORD dst_unused:UNUSED_PAD src0_sel:WORD_0 src1_sel:DWORD
	v_mul_u32_u24_sdwa v74, v74, v73 dst_sel:DWORD dst_unused:UNUSED_PAD src0_sel:WORD_1 src1_sel:DWORD
	v_mul_u32_u24_sdwa v85, v75, v73 dst_sel:DWORD dst_unused:UNUSED_PAD src0_sel:WORD_0 src1_sel:DWORD
	v_mul_u32_u24_sdwa v75, v75, v73 dst_sel:DWORD dst_unused:UNUSED_PAD src0_sel:WORD_1 src1_sel:DWORD
	v_pk_fma_f16 v79, v49, v80, v79
	v_pk_fma_f16 v81, v49, v74, v81
	;; [unrolled: 1-line block ×8, first 2 shown]
	v_mul_u32_u24_sdwa v53, v76, v73 dst_sel:DWORD dst_unused:UNUSED_PAD src0_sel:WORD_0 src1_sel:DWORD
	v_mul_u32_u24_sdwa v75, v76, v73 dst_sel:DWORD dst_unused:UNUSED_PAD src0_sel:WORD_1 src1_sel:DWORD
	v_mul_u32_u24_sdwa v76, v77, v73 dst_sel:DWORD dst_unused:UNUSED_PAD src0_sel:WORD_0 src1_sel:DWORD
	v_mul_u32_u24_sdwa v77, v77, v73 dst_sel:DWORD dst_unused:UNUSED_PAD src0_sel:WORD_1 src1_sel:DWORD
	v_pk_fma_f16 v79, v51, v53, v79
	v_pk_fma_f16 v80, v51, v75, v81
	;; [unrolled: 1-line block ×8, first 2 shown]
	ds_read2_b64 v[49:52], v48 offset1:32
	ds_read_b128 v[74:77], v41 offset:896
	s_waitcnt lgkmcnt(0)
	v_mul_u32_u24_sdwa v84, v74, v73 dst_sel:DWORD dst_unused:UNUSED_PAD src0_sel:WORD_0 src1_sel:DWORD
	v_mul_u32_u24_sdwa v74, v74, v73 dst_sel:DWORD dst_unused:UNUSED_PAD src0_sel:WORD_1 src1_sel:DWORD
	v_mul_u32_u24_sdwa v85, v75, v73 dst_sel:DWORD dst_unused:UNUSED_PAD src0_sel:WORD_0 src1_sel:DWORD
	v_mul_u32_u24_sdwa v75, v75, v73 dst_sel:DWORD dst_unused:UNUSED_PAD src0_sel:WORD_1 src1_sel:DWORD
	v_pk_fma_f16 v79, v49, v84, v79
	v_pk_fma_f16 v80, v49, v74, v80
	v_pk_fma_f16 v81, v49, v85, v81
	v_pk_fma_f16 v49, v49, v75, v82
	v_pk_fma_f16 v53, v50, v84, v53
	v_pk_fma_f16 v54, v50, v74, v54
	v_pk_fma_f16 v74, v50, v85, v78
	v_pk_fma_f16 v50, v50, v75, v83
	v_mul_u32_u24_sdwa v75, v76, v73 dst_sel:DWORD dst_unused:UNUSED_PAD src0_sel:WORD_0 src1_sel:DWORD
	v_mul_u32_u24_sdwa v76, v76, v73 dst_sel:DWORD dst_unused:UNUSED_PAD src0_sel:WORD_1 src1_sel:DWORD
	v_mul_u32_u24_sdwa v78, v77, v73 dst_sel:DWORD dst_unused:UNUSED_PAD src0_sel:WORD_0 src1_sel:DWORD
	v_mul_u32_u24_sdwa v77, v77, v73 dst_sel:DWORD dst_unused:UNUSED_PAD src0_sel:WORD_1 src1_sel:DWORD
	v_pk_fma_f16 v79, v51, v75, v79
	v_pk_fma_f16 v80, v51, v76, v80
	v_pk_fma_f16 v81, v51, v78, v81
	v_pk_fma_f16 v82, v51, v77, v49
	v_pk_fma_f16 v53, v52, v75, v53
	v_pk_fma_f16 v54, v52, v76, v54
	v_pk_fma_f16 v78, v52, v78, v74
	v_pk_fma_f16 v83, v52, v77, v50
	ds_read2_b64 v[49:52], v48 offset0:64 offset1:96
	ds_read_b128 v[74:77], v41 offset:912
	s_waitcnt lgkmcnt(0)
	v_mul_u32_u24_sdwa v84, v74, v73 dst_sel:DWORD dst_unused:UNUSED_PAD src0_sel:WORD_0 src1_sel:DWORD
	v_mul_u32_u24_sdwa v74, v74, v73 dst_sel:DWORD dst_unused:UNUSED_PAD src0_sel:WORD_1 src1_sel:DWORD
	v_mul_u32_u24_sdwa v85, v75, v73 dst_sel:DWORD dst_unused:UNUSED_PAD src0_sel:WORD_0 src1_sel:DWORD
	v_mul_u32_u24_sdwa v75, v75, v73 dst_sel:DWORD dst_unused:UNUSED_PAD src0_sel:WORD_1 src1_sel:DWORD
	v_pk_fma_f16 v79, v49, v84, v79
	v_pk_fma_f16 v80, v49, v74, v80
	v_pk_fma_f16 v81, v49, v85, v81
	v_pk_fma_f16 v49, v49, v75, v82
	v_pk_fma_f16 v53, v50, v84, v53
	v_pk_fma_f16 v54, v50, v74, v54
	v_pk_fma_f16 v74, v50, v85, v78
	v_pk_fma_f16 v50, v50, v75, v83
	v_mul_u32_u24_sdwa v75, v76, v73 dst_sel:DWORD dst_unused:UNUSED_PAD src0_sel:WORD_0 src1_sel:DWORD
	v_mul_u32_u24_sdwa v76, v76, v73 dst_sel:DWORD dst_unused:UNUSED_PAD src0_sel:WORD_1 src1_sel:DWORD
	v_mul_u32_u24_sdwa v78, v77, v73 dst_sel:DWORD dst_unused:UNUSED_PAD src0_sel:WORD_0 src1_sel:DWORD
	v_mul_u32_u24_sdwa v77, v77, v73 dst_sel:DWORD dst_unused:UNUSED_PAD src0_sel:WORD_1 src1_sel:DWORD
	v_pk_fma_f16 v79, v51, v75, v79
	v_pk_fma_f16 v80, v51, v76, v80
	v_pk_fma_f16 v81, v51, v78, v81
	v_pk_fma_f16 v82, v51, v77, v49
	v_pk_fma_f16 v53, v52, v75, v53
	v_pk_fma_f16 v54, v52, v76, v54
	v_pk_fma_f16 v78, v52, v78, v74
	v_pk_fma_f16 v83, v52, v77, v50
	ds_read2_b64 v[49:52], v48 offset0:128 offset1:160
	;; [unrolled: 27-line block ×3, first 2 shown]
	ds_read_b128 v[74:77], v41 offset:944
	s_waitcnt lgkmcnt(0)
	v_mul_u32_u24_sdwa v83, v74, v73 dst_sel:DWORD dst_unused:UNUSED_PAD src0_sel:WORD_0 src1_sel:DWORD
	v_mul_u32_u24_sdwa v74, v74, v73 dst_sel:DWORD dst_unused:UNUSED_PAD src0_sel:WORD_1 src1_sel:DWORD
	v_mul_u32_u24_sdwa v84, v75, v73 dst_sel:DWORD dst_unused:UNUSED_PAD src0_sel:WORD_0 src1_sel:DWORD
	v_mul_u32_u24_sdwa v75, v75, v73 dst_sel:DWORD dst_unused:UNUSED_PAD src0_sel:WORD_1 src1_sel:DWORD
	v_pk_fma_f16 v79, v48, v83, v79
	v_pk_fma_f16 v80, v48, v74, v80
	;; [unrolled: 1-line block ×8, first 2 shown]
	v_mul_u32_u24_sdwa v52, v76, v73 dst_sel:DWORD dst_unused:UNUSED_PAD src0_sel:WORD_0 src1_sel:DWORD
	v_mul_u32_u24_sdwa v75, v76, v73 dst_sel:DWORD dst_unused:UNUSED_PAD src0_sel:WORD_1 src1_sel:DWORD
	v_mul_u32_u24_sdwa v76, v77, v73 dst_sel:DWORD dst_unused:UNUSED_PAD src0_sel:WORD_0 src1_sel:DWORD
	v_mul_u32_u24_sdwa v77, v77, v73 dst_sel:DWORD dst_unused:UNUSED_PAD src0_sel:WORD_1 src1_sel:DWORD
	v_pk_fma_f16 v78, v50, v52, v79
	v_pk_fma_f16 v79, v50, v75, v80
	;; [unrolled: 1-line block ×8, first 2 shown]
	ds_read2_b64 v[48:51], v47 offset1:32
	ds_read_b128 v[74:77], v41 offset:960
	s_waitcnt lgkmcnt(0)
	v_mul_u32_u24_sdwa v83, v74, v73 dst_sel:DWORD dst_unused:UNUSED_PAD src0_sel:WORD_0 src1_sel:DWORD
	v_mul_u32_u24_sdwa v74, v74, v73 dst_sel:DWORD dst_unused:UNUSED_PAD src0_sel:WORD_1 src1_sel:DWORD
	v_mul_u32_u24_sdwa v84, v75, v73 dst_sel:DWORD dst_unused:UNUSED_PAD src0_sel:WORD_0 src1_sel:DWORD
	v_mul_u32_u24_sdwa v75, v75, v73 dst_sel:DWORD dst_unused:UNUSED_PAD src0_sel:WORD_1 src1_sel:DWORD
	v_pk_fma_f16 v78, v48, v83, v78
	v_pk_fma_f16 v79, v48, v74, v79
	v_pk_fma_f16 v80, v48, v84, v80
	v_pk_fma_f16 v48, v48, v75, v81
	v_pk_fma_f16 v52, v49, v83, v52
	v_pk_fma_f16 v53, v49, v74, v53
	v_pk_fma_f16 v54, v49, v84, v54
	v_pk_fma_f16 v49, v49, v75, v82
	v_mul_u32_u24_sdwa v74, v76, v73 dst_sel:DWORD dst_unused:UNUSED_PAD src0_sel:WORD_0 src1_sel:DWORD
	v_mul_u32_u24_sdwa v75, v76, v73 dst_sel:DWORD dst_unused:UNUSED_PAD src0_sel:WORD_1 src1_sel:DWORD
	v_mul_u32_u24_sdwa v76, v77, v73 dst_sel:DWORD dst_unused:UNUSED_PAD src0_sel:WORD_0 src1_sel:DWORD
	v_mul_u32_u24_sdwa v77, v77, v73 dst_sel:DWORD dst_unused:UNUSED_PAD src0_sel:WORD_1 src1_sel:DWORD
	v_pk_fma_f16 v78, v50, v74, v78
	v_pk_fma_f16 v79, v50, v75, v79
	v_pk_fma_f16 v80, v50, v76, v80
	v_pk_fma_f16 v81, v50, v77, v48
	v_pk_fma_f16 v52, v51, v74, v52
	v_pk_fma_f16 v53, v51, v75, v53
	v_pk_fma_f16 v54, v51, v76, v54
	v_pk_fma_f16 v82, v51, v77, v49
	ds_read2_b64 v[48:51], v47 offset0:64 offset1:96
	ds_read_b128 v[74:77], v41 offset:976
	s_waitcnt lgkmcnt(0)
	v_mul_u32_u24_sdwa v83, v74, v73 dst_sel:DWORD dst_unused:UNUSED_PAD src0_sel:WORD_0 src1_sel:DWORD
	v_mul_u32_u24_sdwa v74, v74, v73 dst_sel:DWORD dst_unused:UNUSED_PAD src0_sel:WORD_1 src1_sel:DWORD
	v_mul_u32_u24_sdwa v84, v75, v73 dst_sel:DWORD dst_unused:UNUSED_PAD src0_sel:WORD_0 src1_sel:DWORD
	v_mul_u32_u24_sdwa v75, v75, v73 dst_sel:DWORD dst_unused:UNUSED_PAD src0_sel:WORD_1 src1_sel:DWORD
	v_pk_fma_f16 v78, v48, v83, v78
	v_pk_fma_f16 v79, v48, v74, v79
	v_pk_fma_f16 v80, v48, v84, v80
	v_pk_fma_f16 v48, v48, v75, v81
	v_pk_fma_f16 v52, v49, v83, v52
	v_pk_fma_f16 v53, v49, v74, v53
	v_pk_fma_f16 v54, v49, v84, v54
	v_pk_fma_f16 v49, v49, v75, v82
	v_mul_u32_u24_sdwa v74, v76, v73 dst_sel:DWORD dst_unused:UNUSED_PAD src0_sel:WORD_0 src1_sel:DWORD
	v_mul_u32_u24_sdwa v75, v76, v73 dst_sel:DWORD dst_unused:UNUSED_PAD src0_sel:WORD_1 src1_sel:DWORD
	v_mul_u32_u24_sdwa v76, v77, v73 dst_sel:DWORD dst_unused:UNUSED_PAD src0_sel:WORD_0 src1_sel:DWORD
	v_mul_u32_u24_sdwa v77, v77, v73 dst_sel:DWORD dst_unused:UNUSED_PAD src0_sel:WORD_1 src1_sel:DWORD
	v_pk_fma_f16 v78, v50, v74, v78
	v_pk_fma_f16 v79, v50, v75, v79
	v_pk_fma_f16 v80, v50, v76, v80
	v_pk_fma_f16 v81, v50, v77, v48
	v_pk_fma_f16 v52, v51, v74, v52
	v_pk_fma_f16 v53, v51, v75, v53
	v_pk_fma_f16 v54, v51, v76, v54
	v_pk_fma_f16 v82, v51, v77, v49
	ds_read2_b64 v[48:51], v47 offset0:128 offset1:160
	;; [unrolled: 27-line block ×3, first 2 shown]
	ds_read_b128 v[47:50], v41 offset:1008
	s_waitcnt lgkmcnt(0)
	s_barrier
	buffer_gl0_inv
	s_load_dword s16, s[6:7], 0x4
	v_mul_u32_u24_sdwa v82, v47, v73 dst_sel:DWORD dst_unused:UNUSED_PAD src0_sel:WORD_0 src1_sel:DWORD
	v_mul_u32_u24_sdwa v47, v47, v73 dst_sel:DWORD dst_unused:UNUSED_PAD src0_sel:WORD_1 src1_sel:DWORD
	v_mul_u32_u24_sdwa v83, v48, v73 dst_sel:DWORD dst_unused:UNUSED_PAD src0_sel:WORD_0 src1_sel:DWORD
	v_mul_u32_u24_sdwa v48, v48, v73 dst_sel:DWORD dst_unused:UNUSED_PAD src0_sel:WORD_1 src1_sel:DWORD
	s_waitcnt lgkmcnt(0)
	s_lshl_b32 s16, s16, 7
	v_pk_fma_f16 v78, v74, v82, v78
	v_pk_fma_f16 v79, v74, v47, v79
	;; [unrolled: 1-line block ×8, first 2 shown]
	v_mul_u32_u24_sdwa v54, v49, v73 dst_sel:DWORD dst_unused:UNUSED_PAD src0_sel:WORD_0 src1_sel:DWORD
	v_mul_u32_u24_sdwa v82, v49, v73 dst_sel:DWORD dst_unused:UNUSED_PAD src0_sel:WORD_1 src1_sel:DWORD
	v_mul_u32_u24_sdwa v83, v50, v73 dst_sel:DWORD dst_unused:UNUSED_PAD src0_sel:WORD_0 src1_sel:DWORD
	v_mul_u32_u24_sdwa v50, v50, v73 dst_sel:DWORD dst_unused:UNUSED_PAD src0_sel:WORD_1 src1_sel:DWORD
	s_add_i32 s10, s16, s10
	v_pk_fma_f16 v49, v76, v54, v78
	v_pk_fma_f16 v48, v76, v82, v79
	;; [unrolled: 1-line block ×8, first 2 shown]
	s_cmp_lt_i32 s10, s12
	s_cbranch_scc0 .LBB87_111
; %bb.105:                              ;   in Loop: Header=BB87_8 Depth=1
	v_mov_b32_e32 v81, v2
	v_mov_b32_e32 v79, v3
	;; [unrolled: 1-line block ×8, first 2 shown]
	s_branch .LBB87_8
.LBB87_106:                             ;   in Loop: Header=BB87_8 Depth=1
	v_mov_b32_e32 v22, 0
	v_cmp_ngt_f32_e64 s16, 0x3f200000, |v95|
                                        ; implicit-def: $vgpr98
	s_and_saveexec_b32 s17, s16
	s_xor_b32 s16, exec_lo, s17
	s_cbranch_execz .LBB87_15
	s_branch .LBB87_14
.LBB87_107:                             ;   in Loop: Header=BB87_8 Depth=1
	v_mov_b32_e32 v94, 0
	v_cmp_ngt_f32_e64 s16, 0x3f200000, |v91|
                                        ; implicit-def: $vgpr105
	s_and_saveexec_b32 s17, s16
	s_xor_b32 s16, exec_lo, s17
	s_cbranch_execz .LBB87_39
	s_branch .LBB87_38
.LBB87_108:                             ;   in Loop: Header=BB87_8 Depth=1
	v_mov_b32_e32 v90, 0
	v_cmp_ngt_f32_e64 s16, 0x3f200000, |v87|
                                        ; implicit-def: $vgpr107
	s_and_saveexec_b32 s17, s16
	s_xor_b32 s16, exec_lo, s17
	s_cbranch_execz .LBB87_63
	s_branch .LBB87_62
.LBB87_109:                             ;   in Loop: Header=BB87_8 Depth=1
	v_mov_b32_e32 v86, 0
	v_cmp_ngt_f32_e64 s16, 0x3f200000, |v83|
                                        ; implicit-def: $vgpr4
	s_and_saveexec_b32 s17, s16
	s_xor_b32 s16, exec_lo, s17
	s_cbranch_execz .LBB87_87
	s_branch .LBB87_86
.LBB87_110:
	v_mov_b32_e32 v2, 0xfeffffff
	v_mov_b32_e32 v49, 0
	;; [unrolled: 1-line block ×15, first 2 shown]
.LBB87_111:
	s_cmp_gt_i32 s48, s10
	s_cbranch_scc1 .LBB87_114
; %bb.112:
	v_mbcnt_lo_u32_b32 v6, -1, 0
	v_mov_b32_e32 v14, 32
	v_xor_b32_e32 v19, 16, v6
	v_xor_b32_e32 v18, 8, v6
	;; [unrolled: 1-line block ×5, first 2 shown]
	s_cbranch_execz .LBB87_115
; %bb.113:
	v_mov_b32_e32 v35, v6
	s_branch .LBB87_260
.LBB87_114:
                                        ; implicit-def: $vgpr6
                                        ; implicit-def: $vgpr14
                                        ; implicit-def: $vgpr19
                                        ; implicit-def: $vgpr18
                                        ; implicit-def: $vgpr17
                                        ; implicit-def: $vgpr16
                                        ; implicit-def: $vgpr15
.LBB87_115:
	v_add_nc_u32_e32 v20, v56, v31
	s_mul_hi_i32 s7, s10, s35
	s_mul_i32 s6, s10, s35
	s_mov_b64 s[12:13], src_private_base
	s_lshl_b64 s[6:7], s[6:7], 2
	v_mul_lo_u32 v6, s35, v20
	s_sub_i32 s12, s48, s10
	s_add_u32 s15, s8, s6
	v_lshlrev_b32_e32 v21, 2, v55
	s_addc_u32 s9, s9, s7
	v_cmp_gt_i32_e64 s8, s12, v20
	s_lshl_b32 s7, s35, 5
	v_add_nc_u32_e32 v15, 32, v20
	v_ashrrev_i32_e32 v7, 31, v6
	v_add_nc_u32_e32 v16, s7, v6
	v_mov_b32_e32 v62, 0
	v_mov_b32_e32 v58, 0
	;; [unrolled: 1-line block ×3, first 2 shown]
	v_lshlrev_b64 v[7:8], 2, v[6:7]
	v_ashrrev_i32_e32 v17, 31, v16
	v_mov_b32_e32 v57, 0
	v_mov_b32_e32 v60, 0
	;; [unrolled: 1-line block ×4, first 2 shown]
	v_add_co_u32 v7, vcc_lo, s15, v7
	v_add_co_ci_u32_e64 v8, null, s9, v8, vcc_lo
	v_mov_b32_e32 v55, 0
	v_add_co_u32 v63, vcc_lo, v7, v21
	v_add_co_ci_u32_e64 v64, null, 0, v8, vcc_lo
	v_mov_b32_e32 v7, 0
	v_cndmask_b32_e64 v8, 0, v63, s8
	buffer_store_dword v7, off, s[0:3], 0
	buffer_store_dword v7, off, s[0:3], 0 offset:4
	buffer_store_dword v7, off, s[0:3], 0 offset:8
	;; [unrolled: 1-line block ×3, first 2 shown]
	v_cndmask_b32_e64 v9, s13, v64, s8
	flat_load_dwordx4 v[11:14], v[8:9]
	v_lshlrev_b64 v[8:9], 2, v[16:17]
	buffer_store_dword v7, off, s[0:3], 0
	buffer_store_dword v7, off, s[0:3], 0 offset:4
	buffer_store_dword v7, off, s[0:3], 0 offset:8
	;; [unrolled: 1-line block ×3, first 2 shown]
	v_add_nc_u32_e32 v16, s7, v16
	v_add_co_u32 v6, vcc_lo, s15, v8
	v_add_co_ci_u32_e64 v8, null, s9, v9, vcc_lo
	v_add_co_u32 v9, vcc_lo, v6, v21
	v_add_co_ci_u32_e64 v10, null, 0, v8, vcc_lo
	v_cmp_gt_i32_e32 vcc_lo, s12, v15
	v_mad_u32_u24 v8, 0x90, v20, v21
	v_cndmask_b32_e32 v18, s13, v10, vcc_lo
	v_cndmask_b32_e32 v17, 0, v9, vcc_lo
	s_waitcnt vmcnt(0) lgkmcnt(0)
	ds_write_b128 v8, v[11:14]
	flat_load_dwordx4 v[12:15], v[17:18]
	v_ashrrev_i32_e32 v17, 31, v16
	buffer_store_dword v7, off, s[0:3], 0
	buffer_store_dword v7, off, s[0:3], 0 offset:4
	buffer_store_dword v7, off, s[0:3], 0 offset:8
	buffer_store_dword v7, off, s[0:3], 0 offset:12
	v_lshlrev_b64 v[17:18], 2, v[16:17]
	v_add_co_u32 v6, s6, s15, v17
	v_add_co_ci_u32_e64 v17, null, s9, v18, s6
	v_add_nc_u32_e32 v18, 64, v20
	v_add_co_u32 v11, s6, v6, v21
	v_add_co_ci_u32_e64 v17, null, 0, v17, s6
	v_cmp_gt_i32_e64 s6, s12, v18
	v_add_nc_u32_e32 v20, 0x60, v20
	v_cndmask_b32_e64 v19, s13, v17, s6
	v_cndmask_b32_e64 v18, 0, v11, s6
	s_waitcnt vmcnt(0) lgkmcnt(0)
	ds_write_b128 v8, v[12:15] offset:4608
	flat_load_dwordx4 v[12:15], v[18:19]
	v_add_nc_u32_e32 v18, s7, v16
	buffer_store_dword v7, off, s[0:3], 0
	buffer_store_dword v7, off, s[0:3], 0 offset:4
	buffer_store_dword v7, off, s[0:3], 0 offset:8
	;; [unrolled: 1-line block ×3, first 2 shown]
	v_ashrrev_i32_e32 v19, 31, v18
	v_lshlrev_b64 v[18:19], 2, v[18:19]
	v_add_co_u32 v6, s7, s15, v18
	v_add_co_ci_u32_e64 v16, null, s9, v19, s7
	v_add_co_u32 v63, s9, 0x80, v63
	v_add_co_u32 v18, s7, v6, v21
	v_add_co_ci_u32_e64 v19, null, 0, v16, s7
	v_cmp_gt_i32_e64 s7, s12, v20
	v_mov_b32_e32 v6, 0
	v_mov_b32_e32 v16, 0
	v_add_co_ci_u32_e64 v64, null, 0, v64, s9
	v_cndmask_b32_e64 v21, s13, v19, s7
	v_cndmask_b32_e64 v20, 0, v18, s7
	;; [unrolled: 1-line block ×4, first 2 shown]
	v_add_co_u32 v9, s8, 0x80, v9
	v_add_co_ci_u32_e64 v10, null, 0, v10, s8
	v_cndmask_b32_e32 v9, 0, v9, vcc_lo
	v_cndmask_b32_e32 v10, s13, v10, vcc_lo
	s_waitcnt vmcnt(0) lgkmcnt(0)
	ds_write_b128 v8, v[12:15] offset:9216
	flat_load_dwordx4 v[12:15], v[20:21]
	v_mov_b32_e32 v21, 0
	v_mov_b32_e32 v20, 0
	s_waitcnt vmcnt(0) lgkmcnt(0)
	ds_write_b128 v8, v[12:15] offset:13824
	s_waitcnt lgkmcnt(0)
	s_waitcnt_vscnt null, 0x0
	s_barrier
	buffer_gl0_inv
	ds_read_b128 v[65:68], v46
	ds_read_b128 v[69:72], v36 offset:26624
	ds_read_b128 v[73:76], v36 offset:26880
	;; [unrolled: 1-line block ×7, first 2 shown]
	v_mov_b32_e32 v15, 0
	v_mov_b32_e32 v13, 0
	;; [unrolled: 1-line block ×4, first 2 shown]
	s_waitcnt lgkmcnt(6)
	;;#ASMSTART
	v_dot2_f32_f16 v6, v65, v69, v6
	;;#ASMEND
	;;#ASMSTART
	v_dot2_f32_f16 v6, v66, v70, v6
	;;#ASMEND
	;;#ASMSTART
	v_dot2_f32_f16 v6, v67, v71, v6
	;;#ASMEND
	;;#ASMSTART
	v_dot2_f32_f16 v6, v68, v72, v6
	;;#ASMEND
	s_waitcnt lgkmcnt(5)
	;;#ASMSTART
	v_dot2_f32_f16 v62, v65, v73, v62
	;;#ASMEND
	;;#ASMSTART
	v_dot2_f32_f16 v62, v66, v74, v62
	;;#ASMEND
	;;#ASMSTART
	v_dot2_f32_f16 v62, v67, v75, v62
	;;#ASMEND
	;;#ASMSTART
	v_dot2_f32_f16 v62, v68, v76, v62
	;;#ASMEND
	;; [unrolled: 13-line block ×5, first 2 shown]
	;;#ASMSTART
	v_dot2_f32_f16 v61, v85, v73, v61
	;;#ASMEND
	;;#ASMSTART
	v_dot2_f32_f16 v61, v86, v74, v61
	;;#ASMEND
	;; [unrolled: 3-line block ×12, first 2 shown]
	s_waitcnt lgkmcnt(1)
	;;#ASMSTART
	v_dot2_f32_f16 v15, v89, v69, v15
	;;#ASMEND
	;;#ASMSTART
	v_dot2_f32_f16 v15, v90, v70, v15
	;;#ASMEND
	;; [unrolled: 3-line block ×16, first 2 shown]
	s_waitcnt lgkmcnt(0)
	;;#ASMSTART
	v_dot2_f32_f16 v14, v93, v69, v14
	;;#ASMEND
	;;#ASMSTART
	v_dot2_f32_f16 v14, v94, v70, v14
	;;#ASMEND
	;; [unrolled: 3-line block ×16, first 2 shown]
	ds_read_b128 v[65:68], v46 offset:16
	ds_read_b128 v[69:72], v36 offset:26640
	;; [unrolled: 1-line block ×8, first 2 shown]
	s_waitcnt lgkmcnt(6)
	;;#ASMSTART
	v_dot2_f32_f16 v6, v65, v69, v6
	;;#ASMEND
	;;#ASMSTART
	v_dot2_f32_f16 v6, v66, v70, v6
	;;#ASMEND
	;;#ASMSTART
	v_dot2_f32_f16 v6, v67, v71, v6
	;;#ASMEND
	;;#ASMSTART
	v_dot2_f32_f16 v6, v68, v72, v6
	;;#ASMEND
	s_waitcnt lgkmcnt(5)
	;;#ASMSTART
	v_dot2_f32_f16 v62, v65, v73, v62
	;;#ASMEND
	;;#ASMSTART
	v_dot2_f32_f16 v62, v66, v74, v62
	;;#ASMEND
	;;#ASMSTART
	v_dot2_f32_f16 v62, v67, v75, v62
	;;#ASMEND
	;;#ASMSTART
	v_dot2_f32_f16 v62, v68, v76, v62
	;;#ASMEND
	;; [unrolled: 13-line block ×5, first 2 shown]
	;;#ASMSTART
	v_dot2_f32_f16 v61, v85, v73, v61
	;;#ASMEND
	;;#ASMSTART
	v_dot2_f32_f16 v61, v86, v74, v61
	;;#ASMEND
	;; [unrolled: 3-line block ×12, first 2 shown]
	s_waitcnt lgkmcnt(1)
	;;#ASMSTART
	v_dot2_f32_f16 v15, v89, v69, v15
	;;#ASMEND
	;;#ASMSTART
	v_dot2_f32_f16 v15, v90, v70, v15
	;;#ASMEND
	;; [unrolled: 3-line block ×16, first 2 shown]
	s_waitcnt lgkmcnt(0)
	;;#ASMSTART
	v_dot2_f32_f16 v14, v93, v69, v14
	;;#ASMEND
	;;#ASMSTART
	v_dot2_f32_f16 v14, v94, v70, v14
	;;#ASMEND
	;; [unrolled: 3-line block ×16, first 2 shown]
	ds_read_b128 v[65:68], v46 offset:32
	ds_read_b128 v[69:72], v36 offset:26656
	;; [unrolled: 1-line block ×8, first 2 shown]
	s_waitcnt lgkmcnt(6)
	;;#ASMSTART
	v_dot2_f32_f16 v6, v65, v69, v6
	;;#ASMEND
	;;#ASMSTART
	v_dot2_f32_f16 v6, v66, v70, v6
	;;#ASMEND
	;;#ASMSTART
	v_dot2_f32_f16 v6, v67, v71, v6
	;;#ASMEND
	;;#ASMSTART
	v_dot2_f32_f16 v6, v68, v72, v6
	;;#ASMEND
	s_waitcnt lgkmcnt(5)
	;;#ASMSTART
	v_dot2_f32_f16 v62, v65, v73, v62
	;;#ASMEND
	;;#ASMSTART
	v_dot2_f32_f16 v62, v66, v74, v62
	;;#ASMEND
	;;#ASMSTART
	v_dot2_f32_f16 v62, v67, v75, v62
	;;#ASMEND
	;;#ASMSTART
	v_dot2_f32_f16 v62, v68, v76, v62
	;;#ASMEND
	;; [unrolled: 13-line block ×5, first 2 shown]
	;;#ASMSTART
	v_dot2_f32_f16 v61, v85, v73, v61
	;;#ASMEND
	;;#ASMSTART
	v_dot2_f32_f16 v61, v86, v74, v61
	;;#ASMEND
	;; [unrolled: 3-line block ×12, first 2 shown]
	s_waitcnt lgkmcnt(1)
	;;#ASMSTART
	v_dot2_f32_f16 v15, v89, v69, v15
	;;#ASMEND
	;;#ASMSTART
	v_dot2_f32_f16 v15, v90, v70, v15
	;;#ASMEND
	;; [unrolled: 3-line block ×16, first 2 shown]
	s_waitcnt lgkmcnt(0)
	;;#ASMSTART
	v_dot2_f32_f16 v14, v93, v69, v14
	;;#ASMEND
	;;#ASMSTART
	v_dot2_f32_f16 v14, v94, v70, v14
	;;#ASMEND
	;; [unrolled: 3-line block ×16, first 2 shown]
	ds_read_b128 v[65:68], v46 offset:48
	ds_read_b128 v[69:72], v36 offset:26672
	;; [unrolled: 1-line block ×8, first 2 shown]
	s_waitcnt lgkmcnt(6)
	;;#ASMSTART
	v_dot2_f32_f16 v6, v65, v69, v6
	;;#ASMEND
	;;#ASMSTART
	v_dot2_f32_f16 v6, v66, v70, v6
	;;#ASMEND
	;;#ASMSTART
	v_dot2_f32_f16 v6, v67, v71, v6
	;;#ASMEND
	;;#ASMSTART
	v_dot2_f32_f16 v6, v68, v72, v6
	;;#ASMEND
	s_waitcnt lgkmcnt(5)
	;;#ASMSTART
	v_dot2_f32_f16 v62, v65, v73, v62
	;;#ASMEND
	;;#ASMSTART
	v_dot2_f32_f16 v62, v66, v74, v62
	;;#ASMEND
	;;#ASMSTART
	v_dot2_f32_f16 v62, v67, v75, v62
	;;#ASMEND
	;;#ASMSTART
	v_dot2_f32_f16 v62, v68, v76, v62
	;;#ASMEND
	;; [unrolled: 13-line block ×5, first 2 shown]
	;;#ASMSTART
	v_dot2_f32_f16 v61, v85, v73, v61
	;;#ASMEND
	;;#ASMSTART
	v_dot2_f32_f16 v61, v86, v74, v61
	;;#ASMEND
	;; [unrolled: 3-line block ×12, first 2 shown]
	s_waitcnt lgkmcnt(1)
	;;#ASMSTART
	v_dot2_f32_f16 v15, v89, v69, v15
	;;#ASMEND
	;;#ASMSTART
	v_dot2_f32_f16 v15, v90, v70, v15
	;;#ASMEND
	;; [unrolled: 3-line block ×16, first 2 shown]
	s_waitcnt lgkmcnt(0)
	;;#ASMSTART
	v_dot2_f32_f16 v14, v93, v69, v14
	;;#ASMEND
	;;#ASMSTART
	v_dot2_f32_f16 v14, v94, v70, v14
	;;#ASMEND
	;; [unrolled: 3-line block ×16, first 2 shown]
	ds_read_b128 v[65:68], v46 offset:64
	ds_read_b128 v[69:72], v36 offset:26688
	;; [unrolled: 1-line block ×8, first 2 shown]
	s_waitcnt lgkmcnt(6)
	;;#ASMSTART
	v_dot2_f32_f16 v6, v65, v69, v6
	;;#ASMEND
	;;#ASMSTART
	v_dot2_f32_f16 v6, v66, v70, v6
	;;#ASMEND
	;;#ASMSTART
	v_dot2_f32_f16 v6, v67, v71, v6
	;;#ASMEND
	;;#ASMSTART
	v_dot2_f32_f16 v6, v68, v72, v6
	;;#ASMEND
	s_waitcnt lgkmcnt(5)
	;;#ASMSTART
	v_dot2_f32_f16 v62, v65, v73, v62
	;;#ASMEND
	;;#ASMSTART
	v_dot2_f32_f16 v62, v66, v74, v62
	;;#ASMEND
	;;#ASMSTART
	v_dot2_f32_f16 v62, v67, v75, v62
	;;#ASMEND
	;;#ASMSTART
	v_dot2_f32_f16 v62, v68, v76, v62
	;;#ASMEND
	;; [unrolled: 13-line block ×5, first 2 shown]
	;;#ASMSTART
	v_dot2_f32_f16 v61, v85, v73, v61
	;;#ASMEND
	;;#ASMSTART
	v_dot2_f32_f16 v61, v86, v74, v61
	;;#ASMEND
	;; [unrolled: 3-line block ×12, first 2 shown]
	s_waitcnt lgkmcnt(1)
	;;#ASMSTART
	v_dot2_f32_f16 v15, v89, v69, v15
	;;#ASMEND
	;;#ASMSTART
	v_dot2_f32_f16 v15, v90, v70, v15
	;;#ASMEND
	;; [unrolled: 3-line block ×16, first 2 shown]
	s_waitcnt lgkmcnt(0)
	;;#ASMSTART
	v_dot2_f32_f16 v14, v93, v69, v14
	;;#ASMEND
	;;#ASMSTART
	v_dot2_f32_f16 v14, v94, v70, v14
	;;#ASMEND
	;;#ASMSTART
	v_dot2_f32_f16 v14, v95, v71, v14
	;;#ASMEND
	;;#ASMSTART
	v_dot2_f32_f16 v14, v96, v72, v14
	;;#ASMEND
	;;#ASMSTART
	v_dot2_f32_f16 v59, v93, v73, v59
	;;#ASMEND
	;;#ASMSTART
	v_dot2_f32_f16 v59, v94, v74, v59
	;;#ASMEND
	;;#ASMSTART
	v_dot2_f32_f16 v59, v95, v75, v59
	;;#ASMEND
	;;#ASMSTART
	v_dot2_f32_f16 v59, v96, v76, v59
	;;#ASMEND
	;;#ASMSTART
	v_dot2_f32_f16 v55, v93, v77, v55
	;;#ASMEND
	;;#ASMSTART
	v_dot2_f32_f16 v55, v94, v78, v55
	;;#ASMEND
	;;#ASMSTART
	v_dot2_f32_f16 v55, v95, v79, v55
	;;#ASMEND
	;;#ASMSTART
	v_dot2_f32_f16 v55, v96, v80, v55
	;;#ASMEND
	;;#ASMSTART
	v_dot2_f32_f16 v12, v93, v81, v12
	;;#ASMEND
	;;#ASMSTART
	v_dot2_f32_f16 v12, v94, v82, v12
	;;#ASMEND
	;;#ASMSTART
	v_dot2_f32_f16 v12, v95, v83, v12
	;;#ASMEND
	;;#ASMSTART
	v_dot2_f32_f16 v12, v96, v84, v12
	;;#ASMEND
	ds_read_b128 v[65:68], v46 offset:80
	ds_read_b128 v[69:72], v36 offset:26704
	;; [unrolled: 1-line block ×8, first 2 shown]
	s_waitcnt lgkmcnt(6)
	;;#ASMSTART
	v_dot2_f32_f16 v6, v65, v69, v6
	;;#ASMEND
	;;#ASMSTART
	v_dot2_f32_f16 v6, v66, v70, v6
	;;#ASMEND
	;;#ASMSTART
	v_dot2_f32_f16 v6, v67, v71, v6
	;;#ASMEND
	;;#ASMSTART
	v_dot2_f32_f16 v6, v68, v72, v6
	;;#ASMEND
	s_waitcnt lgkmcnt(5)
	;;#ASMSTART
	v_dot2_f32_f16 v62, v65, v73, v62
	;;#ASMEND
	;;#ASMSTART
	v_dot2_f32_f16 v62, v66, v74, v62
	;;#ASMEND
	;;#ASMSTART
	v_dot2_f32_f16 v62, v67, v75, v62
	;;#ASMEND
	;;#ASMSTART
	v_dot2_f32_f16 v62, v68, v76, v62
	;;#ASMEND
	s_waitcnt lgkmcnt(4)
	;;#ASMSTART
	v_dot2_f32_f16 v58, v65, v77, v58
	;;#ASMEND
	;;#ASMSTART
	v_dot2_f32_f16 v58, v66, v78, v58
	;;#ASMEND
	;;#ASMSTART
	v_dot2_f32_f16 v58, v67, v79, v58
	;;#ASMEND
	;;#ASMSTART
	v_dot2_f32_f16 v58, v68, v80, v58
	;;#ASMEND
	s_waitcnt lgkmcnt(3)
	;;#ASMSTART
	v_dot2_f32_f16 v21, v65, v81, v21
	;;#ASMEND
	;;#ASMSTART
	v_dot2_f32_f16 v21, v66, v82, v21
	;;#ASMEND
	;;#ASMSTART
	v_dot2_f32_f16 v21, v67, v83, v21
	;;#ASMEND
	;;#ASMSTART
	v_dot2_f32_f16 v21, v68, v84, v21
	;;#ASMEND
	s_waitcnt lgkmcnt(2)
	;;#ASMSTART
	v_dot2_f32_f16 v16, v85, v69, v16
	;;#ASMEND
	;;#ASMSTART
	v_dot2_f32_f16 v16, v86, v70, v16
	;;#ASMEND
	;;#ASMSTART
	v_dot2_f32_f16 v16, v87, v71, v16
	;;#ASMEND
	;;#ASMSTART
	v_dot2_f32_f16 v16, v88, v72, v16
	;;#ASMEND
	;;#ASMSTART
	v_dot2_f32_f16 v61, v85, v73, v61
	;;#ASMEND
	;;#ASMSTART
	v_dot2_f32_f16 v61, v86, v74, v61
	;;#ASMEND
	;;#ASMSTART
	v_dot2_f32_f16 v61, v87, v75, v61
	;;#ASMEND
	;;#ASMSTART
	v_dot2_f32_f16 v61, v88, v76, v61
	;;#ASMEND
	;;#ASMSTART
	v_dot2_f32_f16 v57, v85, v77, v57
	;;#ASMEND
	;;#ASMSTART
	v_dot2_f32_f16 v57, v86, v78, v57
	;;#ASMEND
	;;#ASMSTART
	v_dot2_f32_f16 v57, v87, v79, v57
	;;#ASMEND
	;;#ASMSTART
	v_dot2_f32_f16 v57, v88, v80, v57
	;;#ASMEND
	;;#ASMSTART
	v_dot2_f32_f16 v20, v85, v81, v20
	;;#ASMEND
	;;#ASMSTART
	v_dot2_f32_f16 v20, v86, v82, v20
	;;#ASMEND
	;;#ASMSTART
	v_dot2_f32_f16 v20, v87, v83, v20
	;;#ASMEND
	;;#ASMSTART
	v_dot2_f32_f16 v20, v88, v84, v20
	;;#ASMEND
	s_waitcnt lgkmcnt(1)
	;;#ASMSTART
	v_dot2_f32_f16 v15, v89, v69, v15
	;;#ASMEND
	;;#ASMSTART
	v_dot2_f32_f16 v15, v90, v70, v15
	;;#ASMEND
	;;#ASMSTART
	v_dot2_f32_f16 v15, v91, v71, v15
	;;#ASMEND
	;;#ASMSTART
	v_dot2_f32_f16 v15, v92, v72, v15
	;;#ASMEND
	;;#ASMSTART
	v_dot2_f32_f16 v60, v89, v73, v60
	;;#ASMEND
	;;#ASMSTART
	v_dot2_f32_f16 v60, v90, v74, v60
	;;#ASMEND
	;;#ASMSTART
	v_dot2_f32_f16 v60, v91, v75, v60
	;;#ASMEND
	;;#ASMSTART
	v_dot2_f32_f16 v60, v92, v76, v60
	;;#ASMEND
	;;#ASMSTART
	v_dot2_f32_f16 v56, v89, v77, v56
	;;#ASMEND
	;;#ASMSTART
	v_dot2_f32_f16 v56, v90, v78, v56
	;;#ASMEND
	;;#ASMSTART
	v_dot2_f32_f16 v56, v91, v79, v56
	;;#ASMEND
	;;#ASMSTART
	v_dot2_f32_f16 v56, v92, v80, v56
	;;#ASMEND
	;;#ASMSTART
	v_dot2_f32_f16 v13, v89, v81, v13
	;;#ASMEND
	;;#ASMSTART
	v_dot2_f32_f16 v13, v90, v82, v13
	;;#ASMEND
	;;#ASMSTART
	v_dot2_f32_f16 v13, v91, v83, v13
	;;#ASMEND
	;;#ASMSTART
	v_dot2_f32_f16 v13, v92, v84, v13
	;;#ASMEND
	s_waitcnt lgkmcnt(0)
	;;#ASMSTART
	v_dot2_f32_f16 v14, v93, v69, v14
	;;#ASMEND
	;;#ASMSTART
	v_dot2_f32_f16 v14, v94, v70, v14
	;;#ASMEND
	;; [unrolled: 3-line block ×16, first 2 shown]
	ds_read_b128 v[65:68], v46 offset:96
	ds_read_b128 v[69:72], v36 offset:26720
	;; [unrolled: 1-line block ×8, first 2 shown]
	s_waitcnt lgkmcnt(6)
	;;#ASMSTART
	v_dot2_f32_f16 v6, v65, v69, v6
	;;#ASMEND
	;;#ASMSTART
	v_dot2_f32_f16 v6, v66, v70, v6
	;;#ASMEND
	;;#ASMSTART
	v_dot2_f32_f16 v6, v67, v71, v6
	;;#ASMEND
	;;#ASMSTART
	v_dot2_f32_f16 v6, v68, v72, v6
	;;#ASMEND
	s_waitcnt lgkmcnt(5)
	;;#ASMSTART
	v_dot2_f32_f16 v62, v65, v73, v62
	;;#ASMEND
	;;#ASMSTART
	v_dot2_f32_f16 v62, v66, v74, v62
	;;#ASMEND
	;;#ASMSTART
	v_dot2_f32_f16 v62, v67, v75, v62
	;;#ASMEND
	;;#ASMSTART
	v_dot2_f32_f16 v62, v68, v76, v62
	;;#ASMEND
	;; [unrolled: 13-line block ×5, first 2 shown]
	;;#ASMSTART
	v_dot2_f32_f16 v61, v85, v73, v61
	;;#ASMEND
	;;#ASMSTART
	v_dot2_f32_f16 v61, v86, v74, v61
	;;#ASMEND
	;;#ASMSTART
	v_dot2_f32_f16 v61, v87, v75, v61
	;;#ASMEND
	;;#ASMSTART
	v_dot2_f32_f16 v61, v88, v76, v61
	;;#ASMEND
	;;#ASMSTART
	v_dot2_f32_f16 v57, v85, v77, v57
	;;#ASMEND
	;;#ASMSTART
	v_dot2_f32_f16 v57, v86, v78, v57
	;;#ASMEND
	;;#ASMSTART
	v_dot2_f32_f16 v57, v87, v79, v57
	;;#ASMEND
	;;#ASMSTART
	v_dot2_f32_f16 v57, v88, v80, v57
	;;#ASMEND
	;;#ASMSTART
	v_dot2_f32_f16 v20, v85, v81, v20
	;;#ASMEND
	;;#ASMSTART
	v_dot2_f32_f16 v20, v86, v82, v20
	;;#ASMEND
	;;#ASMSTART
	v_dot2_f32_f16 v20, v87, v83, v20
	;;#ASMEND
	;;#ASMSTART
	v_dot2_f32_f16 v20, v88, v84, v20
	;;#ASMEND
	s_waitcnt lgkmcnt(1)
	;;#ASMSTART
	v_dot2_f32_f16 v15, v89, v69, v15
	;;#ASMEND
	;;#ASMSTART
	v_dot2_f32_f16 v15, v90, v70, v15
	;;#ASMEND
	;; [unrolled: 3-line block ×16, first 2 shown]
	s_waitcnt lgkmcnt(0)
	;;#ASMSTART
	v_dot2_f32_f16 v14, v93, v69, v14
	;;#ASMEND
	;;#ASMSTART
	v_dot2_f32_f16 v14, v94, v70, v14
	;;#ASMEND
	;; [unrolled: 3-line block ×16, first 2 shown]
	ds_read_b128 v[65:68], v46 offset:112
	ds_read_b128 v[69:72], v36 offset:26736
	;; [unrolled: 1-line block ×8, first 2 shown]
	s_waitcnt lgkmcnt(6)
	;;#ASMSTART
	v_dot2_f32_f16 v6, v65, v69, v6
	;;#ASMEND
	;;#ASMSTART
	v_dot2_f32_f16 v6, v66, v70, v6
	;;#ASMEND
	;;#ASMSTART
	v_dot2_f32_f16 v6, v67, v71, v6
	;;#ASMEND
	;;#ASMSTART
	v_dot2_f32_f16 v6, v68, v72, v6
	;;#ASMEND
	s_waitcnt lgkmcnt(5)
	;;#ASMSTART
	v_dot2_f32_f16 v62, v65, v73, v62
	;;#ASMEND
	;;#ASMSTART
	v_dot2_f32_f16 v62, v66, v74, v62
	;;#ASMEND
	;;#ASMSTART
	v_dot2_f32_f16 v62, v67, v75, v62
	;;#ASMEND
	;;#ASMSTART
	v_dot2_f32_f16 v62, v68, v76, v62
	;;#ASMEND
	;; [unrolled: 13-line block ×5, first 2 shown]
	;;#ASMSTART
	v_dot2_f32_f16 v61, v85, v73, v61
	;;#ASMEND
	;;#ASMSTART
	v_dot2_f32_f16 v61, v86, v74, v61
	;;#ASMEND
	;; [unrolled: 3-line block ×12, first 2 shown]
	s_waitcnt lgkmcnt(1)
	;;#ASMSTART
	v_dot2_f32_f16 v15, v89, v69, v15
	;;#ASMEND
	;;#ASMSTART
	v_dot2_f32_f16 v15, v90, v70, v15
	;;#ASMEND
	;; [unrolled: 3-line block ×16, first 2 shown]
	s_waitcnt lgkmcnt(0)
	;;#ASMSTART
	v_dot2_f32_f16 v14, v93, v69, v14
	;;#ASMEND
	;;#ASMSTART
	v_dot2_f32_f16 v14, v94, v70, v14
	;;#ASMEND
	;;#ASMSTART
	v_dot2_f32_f16 v14, v95, v71, v14
	;;#ASMEND
	;;#ASMSTART
	v_dot2_f32_f16 v14, v96, v72, v14
	;;#ASMEND
	;;#ASMSTART
	v_dot2_f32_f16 v59, v93, v73, v59
	;;#ASMEND
	;;#ASMSTART
	v_dot2_f32_f16 v59, v94, v74, v59
	;;#ASMEND
	;;#ASMSTART
	v_dot2_f32_f16 v59, v95, v75, v59
	;;#ASMEND
	;;#ASMSTART
	v_dot2_f32_f16 v59, v96, v76, v59
	;;#ASMEND
	;;#ASMSTART
	v_dot2_f32_f16 v55, v93, v77, v55
	;;#ASMEND
	;;#ASMSTART
	v_dot2_f32_f16 v55, v94, v78, v55
	;;#ASMEND
	;;#ASMSTART
	v_dot2_f32_f16 v55, v95, v79, v55
	;;#ASMEND
	;;#ASMSTART
	v_dot2_f32_f16 v55, v96, v80, v55
	;;#ASMEND
	;;#ASMSTART
	v_dot2_f32_f16 v12, v93, v81, v12
	;;#ASMEND
	;;#ASMSTART
	v_dot2_f32_f16 v12, v94, v82, v12
	;;#ASMEND
	;;#ASMSTART
	v_dot2_f32_f16 v12, v95, v83, v12
	;;#ASMEND
	;;#ASMSTART
	v_dot2_f32_f16 v12, v96, v84, v12
	;;#ASMEND
	s_barrier
	buffer_gl0_inv
	buffer_store_dword v7, off, s[0:3], 0
	buffer_store_dword v7, off, s[0:3], 0 offset:4
	buffer_store_dword v7, off, s[0:3], 0 offset:8
	;; [unrolled: 1-line block ×3, first 2 shown]
	flat_load_dwordx4 v[63:66], v[63:64]
	buffer_store_dword v7, off, s[0:3], 0
	buffer_store_dword v7, off, s[0:3], 0 offset:4
	buffer_store_dword v7, off, s[0:3], 0 offset:8
	;; [unrolled: 1-line block ×3, first 2 shown]
	s_waitcnt vmcnt(0) lgkmcnt(0)
	ds_write_b128 v8, v[63:66]
	flat_load_dwordx4 v[63:66], v[9:10]
	v_add_co_u32 v9, vcc_lo, 0x80, v11
	v_add_co_ci_u32_e64 v10, null, 0, v17, vcc_lo
	buffer_store_dword v7, off, s[0:3], 0
	buffer_store_dword v7, off, s[0:3], 0 offset:4
	buffer_store_dword v7, off, s[0:3], 0 offset:8
	;; [unrolled: 1-line block ×3, first 2 shown]
	v_cndmask_b32_e64 v9, 0, v9, s6
	v_cndmask_b32_e64 v10, s13, v10, s6
	s_waitcnt vmcnt(0) lgkmcnt(0)
	ds_write_b128 v8, v[63:66] offset:4608
	flat_load_dwordx4 v[63:66], v[9:10]
	v_add_co_u32 v9, vcc_lo, 0x80, v18
	v_add_co_ci_u32_e64 v10, null, 0, v19, vcc_lo
	buffer_store_dword v7, off, s[0:3], 0
	buffer_store_dword v7, off, s[0:3], 0 offset:4
	buffer_store_dword v7, off, s[0:3], 0 offset:8
	;; [unrolled: 1-line block ×3, first 2 shown]
	v_cndmask_b32_e64 v9, 0, v9, s7
	v_cndmask_b32_e64 v10, s13, v10, s7
	s_waitcnt vmcnt(0) lgkmcnt(0)
	ds_write_b128 v8, v[63:66] offset:9216
	flat_load_dwordx4 v[63:66], v[9:10]
	s_waitcnt vmcnt(0) lgkmcnt(0)
	ds_write_b128 v8, v[63:66] offset:13824
	s_waitcnt lgkmcnt(0)
	s_waitcnt_vscnt null, 0x0
	s_barrier
	buffer_gl0_inv
	ds_read_b128 v[7:10], v46
	ds_read_b128 v[63:66], v36 offset:26752
	ds_read_b128 v[67:70], v36 offset:27008
	;; [unrolled: 1-line block ×7, first 2 shown]
	s_waitcnt lgkmcnt(6)
	;;#ASMSTART
	v_dot2_f32_f16 v6, v7, v63, v6
	;;#ASMEND
	;;#ASMSTART
	v_dot2_f32_f16 v6, v8, v64, v6
	;;#ASMEND
	;;#ASMSTART
	v_dot2_f32_f16 v6, v9, v65, v6
	;;#ASMEND
	;;#ASMSTART
	v_dot2_f32_f16 v6, v10, v66, v6
	;;#ASMEND
	s_waitcnt lgkmcnt(5)
	;;#ASMSTART
	v_dot2_f32_f16 v62, v7, v67, v62
	;;#ASMEND
	;;#ASMSTART
	v_dot2_f32_f16 v62, v8, v68, v62
	;;#ASMEND
	;;#ASMSTART
	v_dot2_f32_f16 v62, v9, v69, v62
	;;#ASMEND
	;;#ASMSTART
	v_dot2_f32_f16 v62, v10, v70, v62
	;;#ASMEND
	;; [unrolled: 13-line block ×5, first 2 shown]
	;;#ASMSTART
	v_dot2_f32_f16 v61, v79, v67, v61
	;;#ASMEND
	;;#ASMSTART
	v_dot2_f32_f16 v61, v80, v68, v61
	;;#ASMEND
	;; [unrolled: 3-line block ×12, first 2 shown]
	s_waitcnt lgkmcnt(1)
	;;#ASMSTART
	v_dot2_f32_f16 v15, v83, v63, v15
	;;#ASMEND
	;;#ASMSTART
	v_dot2_f32_f16 v15, v84, v64, v15
	;;#ASMEND
	;; [unrolled: 3-line block ×16, first 2 shown]
	s_waitcnt lgkmcnt(0)
	;;#ASMSTART
	v_dot2_f32_f16 v14, v87, v63, v14
	;;#ASMEND
	;;#ASMSTART
	v_dot2_f32_f16 v14, v88, v64, v14
	;;#ASMEND
	;; [unrolled: 3-line block ×16, first 2 shown]
	ds_read_b128 v[7:10], v46 offset:16
	ds_read_b128 v[63:66], v36 offset:26768
	;; [unrolled: 1-line block ×8, first 2 shown]
	s_waitcnt lgkmcnt(6)
	;;#ASMSTART
	v_dot2_f32_f16 v6, v7, v63, v6
	;;#ASMEND
	;;#ASMSTART
	v_dot2_f32_f16 v6, v8, v64, v6
	;;#ASMEND
	;;#ASMSTART
	v_dot2_f32_f16 v6, v9, v65, v6
	;;#ASMEND
	;;#ASMSTART
	v_dot2_f32_f16 v6, v10, v66, v6
	;;#ASMEND
	s_waitcnt lgkmcnt(5)
	;;#ASMSTART
	v_dot2_f32_f16 v62, v7, v67, v62
	;;#ASMEND
	;;#ASMSTART
	v_dot2_f32_f16 v62, v8, v68, v62
	;;#ASMEND
	;;#ASMSTART
	v_dot2_f32_f16 v62, v9, v69, v62
	;;#ASMEND
	;;#ASMSTART
	v_dot2_f32_f16 v62, v10, v70, v62
	;;#ASMEND
	;; [unrolled: 13-line block ×5, first 2 shown]
	;;#ASMSTART
	v_dot2_f32_f16 v61, v79, v67, v61
	;;#ASMEND
	;;#ASMSTART
	v_dot2_f32_f16 v61, v80, v68, v61
	;;#ASMEND
	;;#ASMSTART
	v_dot2_f32_f16 v61, v81, v69, v61
	;;#ASMEND
	;;#ASMSTART
	v_dot2_f32_f16 v61, v82, v70, v61
	;;#ASMEND
	;;#ASMSTART
	v_dot2_f32_f16 v57, v79, v71, v57
	;;#ASMEND
	;;#ASMSTART
	v_dot2_f32_f16 v57, v80, v72, v57
	;;#ASMEND
	;;#ASMSTART
	v_dot2_f32_f16 v57, v81, v73, v57
	;;#ASMEND
	;;#ASMSTART
	v_dot2_f32_f16 v57, v82, v74, v57
	;;#ASMEND
	;;#ASMSTART
	v_dot2_f32_f16 v20, v79, v75, v20
	;;#ASMEND
	;;#ASMSTART
	v_dot2_f32_f16 v20, v80, v76, v20
	;;#ASMEND
	;;#ASMSTART
	v_dot2_f32_f16 v20, v81, v77, v20
	;;#ASMEND
	;;#ASMSTART
	v_dot2_f32_f16 v20, v82, v78, v20
	;;#ASMEND
	s_waitcnt lgkmcnt(1)
	;;#ASMSTART
	v_dot2_f32_f16 v15, v83, v63, v15
	;;#ASMEND
	;;#ASMSTART
	v_dot2_f32_f16 v15, v84, v64, v15
	;;#ASMEND
	;; [unrolled: 3-line block ×16, first 2 shown]
	s_waitcnt lgkmcnt(0)
	;;#ASMSTART
	v_dot2_f32_f16 v14, v87, v63, v14
	;;#ASMEND
	;;#ASMSTART
	v_dot2_f32_f16 v14, v88, v64, v14
	;;#ASMEND
	;; [unrolled: 3-line block ×16, first 2 shown]
	ds_read_b128 v[7:10], v46 offset:32
	ds_read_b128 v[63:66], v36 offset:26784
	;; [unrolled: 1-line block ×8, first 2 shown]
	s_waitcnt lgkmcnt(6)
	;;#ASMSTART
	v_dot2_f32_f16 v6, v7, v63, v6
	;;#ASMEND
	;;#ASMSTART
	v_dot2_f32_f16 v6, v8, v64, v6
	;;#ASMEND
	;;#ASMSTART
	v_dot2_f32_f16 v6, v9, v65, v6
	;;#ASMEND
	;;#ASMSTART
	v_dot2_f32_f16 v6, v10, v66, v6
	;;#ASMEND
	s_waitcnt lgkmcnt(5)
	;;#ASMSTART
	v_dot2_f32_f16 v62, v7, v67, v62
	;;#ASMEND
	;;#ASMSTART
	v_dot2_f32_f16 v62, v8, v68, v62
	;;#ASMEND
	;;#ASMSTART
	v_dot2_f32_f16 v62, v9, v69, v62
	;;#ASMEND
	;;#ASMSTART
	v_dot2_f32_f16 v62, v10, v70, v62
	;;#ASMEND
	;; [unrolled: 13-line block ×5, first 2 shown]
	;;#ASMSTART
	v_dot2_f32_f16 v61, v79, v67, v61
	;;#ASMEND
	;;#ASMSTART
	v_dot2_f32_f16 v61, v80, v68, v61
	;;#ASMEND
	;; [unrolled: 3-line block ×12, first 2 shown]
	s_waitcnt lgkmcnt(1)
	;;#ASMSTART
	v_dot2_f32_f16 v15, v83, v63, v15
	;;#ASMEND
	;;#ASMSTART
	v_dot2_f32_f16 v15, v84, v64, v15
	;;#ASMEND
	;;#ASMSTART
	v_dot2_f32_f16 v15, v85, v65, v15
	;;#ASMEND
	;;#ASMSTART
	v_dot2_f32_f16 v15, v86, v66, v15
	;;#ASMEND
	;;#ASMSTART
	v_dot2_f32_f16 v60, v83, v67, v60
	;;#ASMEND
	;;#ASMSTART
	v_dot2_f32_f16 v60, v84, v68, v60
	;;#ASMEND
	;;#ASMSTART
	v_dot2_f32_f16 v60, v85, v69, v60
	;;#ASMEND
	;;#ASMSTART
	v_dot2_f32_f16 v60, v86, v70, v60
	;;#ASMEND
	;;#ASMSTART
	v_dot2_f32_f16 v56, v83, v71, v56
	;;#ASMEND
	;;#ASMSTART
	v_dot2_f32_f16 v56, v84, v72, v56
	;;#ASMEND
	;;#ASMSTART
	v_dot2_f32_f16 v56, v85, v73, v56
	;;#ASMEND
	;;#ASMSTART
	v_dot2_f32_f16 v56, v86, v74, v56
	;;#ASMEND
	;;#ASMSTART
	v_dot2_f32_f16 v13, v83, v75, v13
	;;#ASMEND
	;;#ASMSTART
	v_dot2_f32_f16 v13, v84, v76, v13
	;;#ASMEND
	;;#ASMSTART
	v_dot2_f32_f16 v13, v85, v77, v13
	;;#ASMEND
	;;#ASMSTART
	v_dot2_f32_f16 v13, v86, v78, v13
	;;#ASMEND
	s_waitcnt lgkmcnt(0)
	;;#ASMSTART
	v_dot2_f32_f16 v14, v87, v63, v14
	;;#ASMEND
	;;#ASMSTART
	v_dot2_f32_f16 v14, v88, v64, v14
	;;#ASMEND
	;; [unrolled: 3-line block ×16, first 2 shown]
	ds_read_b128 v[7:10], v46 offset:48
	ds_read_b128 v[63:66], v36 offset:26800
	;; [unrolled: 1-line block ×8, first 2 shown]
	s_waitcnt lgkmcnt(6)
	;;#ASMSTART
	v_dot2_f32_f16 v6, v7, v63, v6
	;;#ASMEND
	;;#ASMSTART
	v_dot2_f32_f16 v6, v8, v64, v6
	;;#ASMEND
	;;#ASMSTART
	v_dot2_f32_f16 v6, v9, v65, v6
	;;#ASMEND
	;;#ASMSTART
	v_dot2_f32_f16 v6, v10, v66, v6
	;;#ASMEND
	s_waitcnt lgkmcnt(5)
	;;#ASMSTART
	v_dot2_f32_f16 v62, v7, v67, v62
	;;#ASMEND
	;;#ASMSTART
	v_dot2_f32_f16 v62, v8, v68, v62
	;;#ASMEND
	;;#ASMSTART
	v_dot2_f32_f16 v62, v9, v69, v62
	;;#ASMEND
	;;#ASMSTART
	v_dot2_f32_f16 v62, v10, v70, v62
	;;#ASMEND
	;; [unrolled: 13-line block ×5, first 2 shown]
	;;#ASMSTART
	v_dot2_f32_f16 v61, v79, v67, v61
	;;#ASMEND
	;;#ASMSTART
	v_dot2_f32_f16 v61, v80, v68, v61
	;;#ASMEND
	;; [unrolled: 3-line block ×12, first 2 shown]
	s_waitcnt lgkmcnt(1)
	;;#ASMSTART
	v_dot2_f32_f16 v15, v83, v63, v15
	;;#ASMEND
	;;#ASMSTART
	v_dot2_f32_f16 v15, v84, v64, v15
	;;#ASMEND
	;; [unrolled: 3-line block ×16, first 2 shown]
	s_waitcnt lgkmcnt(0)
	;;#ASMSTART
	v_dot2_f32_f16 v14, v87, v63, v14
	;;#ASMEND
	;;#ASMSTART
	v_dot2_f32_f16 v14, v88, v64, v14
	;;#ASMEND
	;; [unrolled: 3-line block ×16, first 2 shown]
	ds_read_b128 v[7:10], v46 offset:64
	ds_read_b128 v[63:66], v36 offset:26816
	;; [unrolled: 1-line block ×8, first 2 shown]
	s_waitcnt lgkmcnt(6)
	;;#ASMSTART
	v_dot2_f32_f16 v6, v7, v63, v6
	;;#ASMEND
	;;#ASMSTART
	v_dot2_f32_f16 v6, v8, v64, v6
	;;#ASMEND
	;;#ASMSTART
	v_dot2_f32_f16 v6, v9, v65, v6
	;;#ASMEND
	;;#ASMSTART
	v_dot2_f32_f16 v6, v10, v66, v6
	;;#ASMEND
	s_waitcnt lgkmcnt(5)
	;;#ASMSTART
	v_dot2_f32_f16 v62, v7, v67, v62
	;;#ASMEND
	;;#ASMSTART
	v_dot2_f32_f16 v62, v8, v68, v62
	;;#ASMEND
	;;#ASMSTART
	v_dot2_f32_f16 v62, v9, v69, v62
	;;#ASMEND
	;;#ASMSTART
	v_dot2_f32_f16 v62, v10, v70, v62
	;;#ASMEND
	;; [unrolled: 13-line block ×5, first 2 shown]
	;;#ASMSTART
	v_dot2_f32_f16 v61, v79, v67, v61
	;;#ASMEND
	;;#ASMSTART
	v_dot2_f32_f16 v61, v80, v68, v61
	;;#ASMEND
	;; [unrolled: 3-line block ×12, first 2 shown]
	s_waitcnt lgkmcnt(1)
	;;#ASMSTART
	v_dot2_f32_f16 v15, v83, v63, v15
	;;#ASMEND
	;;#ASMSTART
	v_dot2_f32_f16 v15, v84, v64, v15
	;;#ASMEND
	;; [unrolled: 3-line block ×16, first 2 shown]
	s_waitcnt lgkmcnt(0)
	;;#ASMSTART
	v_dot2_f32_f16 v14, v87, v63, v14
	;;#ASMEND
	;;#ASMSTART
	v_dot2_f32_f16 v14, v88, v64, v14
	;;#ASMEND
	;; [unrolled: 3-line block ×16, first 2 shown]
	ds_read_b128 v[7:10], v46 offset:80
	ds_read_b128 v[63:66], v36 offset:26832
	;; [unrolled: 1-line block ×8, first 2 shown]
	s_waitcnt lgkmcnt(6)
	;;#ASMSTART
	v_dot2_f32_f16 v6, v7, v63, v6
	;;#ASMEND
	;;#ASMSTART
	v_dot2_f32_f16 v6, v8, v64, v6
	;;#ASMEND
	;;#ASMSTART
	v_dot2_f32_f16 v6, v9, v65, v6
	;;#ASMEND
	;;#ASMSTART
	v_dot2_f32_f16 v6, v10, v66, v6
	;;#ASMEND
	s_waitcnt lgkmcnt(5)
	;;#ASMSTART
	v_dot2_f32_f16 v62, v7, v67, v62
	;;#ASMEND
	;;#ASMSTART
	v_dot2_f32_f16 v62, v8, v68, v62
	;;#ASMEND
	;;#ASMSTART
	v_dot2_f32_f16 v62, v9, v69, v62
	;;#ASMEND
	;;#ASMSTART
	v_dot2_f32_f16 v62, v10, v70, v62
	;;#ASMEND
	;; [unrolled: 13-line block ×5, first 2 shown]
	;;#ASMSTART
	v_dot2_f32_f16 v61, v79, v67, v61
	;;#ASMEND
	;;#ASMSTART
	v_dot2_f32_f16 v61, v80, v68, v61
	;;#ASMEND
	;; [unrolled: 3-line block ×12, first 2 shown]
	s_waitcnt lgkmcnt(1)
	;;#ASMSTART
	v_dot2_f32_f16 v15, v83, v63, v15
	;;#ASMEND
	;;#ASMSTART
	v_dot2_f32_f16 v15, v84, v64, v15
	;;#ASMEND
	;; [unrolled: 3-line block ×16, first 2 shown]
	s_waitcnt lgkmcnt(0)
	;;#ASMSTART
	v_dot2_f32_f16 v14, v87, v63, v14
	;;#ASMEND
	;;#ASMSTART
	v_dot2_f32_f16 v14, v88, v64, v14
	;;#ASMEND
	;; [unrolled: 3-line block ×16, first 2 shown]
	ds_read_b128 v[7:10], v46 offset:96
	ds_read_b128 v[63:66], v36 offset:26848
	;; [unrolled: 1-line block ×8, first 2 shown]
	s_waitcnt lgkmcnt(6)
	;;#ASMSTART
	v_dot2_f32_f16 v6, v7, v63, v6
	;;#ASMEND
	;;#ASMSTART
	v_dot2_f32_f16 v6, v8, v64, v6
	;;#ASMEND
	;;#ASMSTART
	v_dot2_f32_f16 v6, v9, v65, v6
	;;#ASMEND
	;;#ASMSTART
	v_dot2_f32_f16 v6, v10, v66, v6
	;;#ASMEND
	s_waitcnt lgkmcnt(5)
	;;#ASMSTART
	v_dot2_f32_f16 v62, v7, v67, v62
	;;#ASMEND
	;;#ASMSTART
	v_dot2_f32_f16 v62, v8, v68, v62
	;;#ASMEND
	;;#ASMSTART
	v_dot2_f32_f16 v62, v9, v69, v62
	;;#ASMEND
	;;#ASMSTART
	v_dot2_f32_f16 v62, v10, v70, v62
	;;#ASMEND
	;; [unrolled: 13-line block ×5, first 2 shown]
	;;#ASMSTART
	v_dot2_f32_f16 v61, v79, v67, v61
	;;#ASMEND
	;;#ASMSTART
	v_dot2_f32_f16 v61, v80, v68, v61
	;;#ASMEND
	;; [unrolled: 3-line block ×12, first 2 shown]
	s_waitcnt lgkmcnt(1)
	;;#ASMSTART
	v_dot2_f32_f16 v15, v83, v63, v15
	;;#ASMEND
	;;#ASMSTART
	v_dot2_f32_f16 v15, v84, v64, v15
	;;#ASMEND
	;;#ASMSTART
	v_dot2_f32_f16 v15, v85, v65, v15
	;;#ASMEND
	;;#ASMSTART
	v_dot2_f32_f16 v15, v86, v66, v15
	;;#ASMEND
	;;#ASMSTART
	v_dot2_f32_f16 v60, v83, v67, v60
	;;#ASMEND
	;;#ASMSTART
	v_dot2_f32_f16 v60, v84, v68, v60
	;;#ASMEND
	;;#ASMSTART
	v_dot2_f32_f16 v60, v85, v69, v60
	;;#ASMEND
	;;#ASMSTART
	v_dot2_f32_f16 v60, v86, v70, v60
	;;#ASMEND
	;;#ASMSTART
	v_dot2_f32_f16 v56, v83, v71, v56
	;;#ASMEND
	;;#ASMSTART
	v_dot2_f32_f16 v56, v84, v72, v56
	;;#ASMEND
	;;#ASMSTART
	v_dot2_f32_f16 v56, v85, v73, v56
	;;#ASMEND
	;;#ASMSTART
	v_dot2_f32_f16 v56, v86, v74, v56
	;;#ASMEND
	;;#ASMSTART
	v_dot2_f32_f16 v13, v83, v75, v13
	;;#ASMEND
	;;#ASMSTART
	v_dot2_f32_f16 v13, v84, v76, v13
	;;#ASMEND
	;;#ASMSTART
	v_dot2_f32_f16 v13, v85, v77, v13
	;;#ASMEND
	;;#ASMSTART
	v_dot2_f32_f16 v13, v86, v78, v13
	;;#ASMEND
	s_waitcnt lgkmcnt(0)
	;;#ASMSTART
	v_dot2_f32_f16 v14, v87, v63, v14
	;;#ASMEND
	;;#ASMSTART
	v_dot2_f32_f16 v14, v88, v64, v14
	;;#ASMEND
	;; [unrolled: 3-line block ×16, first 2 shown]
	ds_read_b128 v[7:10], v46 offset:112
	ds_read_b128 v[63:66], v36 offset:26864
	;; [unrolled: 1-line block ×8, first 2 shown]
	s_waitcnt lgkmcnt(6)
	;;#ASMSTART
	v_dot2_f32_f16 v6, v7, v63, v6
	;;#ASMEND
	;;#ASMSTART
	v_dot2_f32_f16 v6, v8, v64, v6
	;;#ASMEND
	;;#ASMSTART
	v_dot2_f32_f16 v6, v9, v65, v6
	;;#ASMEND
	;;#ASMSTART
	v_dot2_f32_f16 v6, v10, v66, v6
	;;#ASMEND
	s_waitcnt lgkmcnt(5)
	;;#ASMSTART
	v_dot2_f32_f16 v62, v7, v67, v62
	;;#ASMEND
	;;#ASMSTART
	v_dot2_f32_f16 v62, v8, v68, v62
	;;#ASMEND
	;;#ASMSTART
	v_dot2_f32_f16 v62, v9, v69, v62
	;;#ASMEND
	;;#ASMSTART
	v_dot2_f32_f16 v62, v10, v70, v62
	;;#ASMEND
	;; [unrolled: 13-line block ×5, first 2 shown]
	;;#ASMSTART
	v_dot2_f32_f16 v61, v79, v67, v61
	;;#ASMEND
	;;#ASMSTART
	v_dot2_f32_f16 v61, v80, v68, v61
	;;#ASMEND
	;; [unrolled: 3-line block ×12, first 2 shown]
	s_waitcnt lgkmcnt(1)
	;;#ASMSTART
	v_dot2_f32_f16 v15, v83, v63, v15
	;;#ASMEND
	;;#ASMSTART
	v_dot2_f32_f16 v15, v84, v64, v15
	;;#ASMEND
	;; [unrolled: 3-line block ×16, first 2 shown]
	s_waitcnt lgkmcnt(0)
	;;#ASMSTART
	v_dot2_f32_f16 v14, v87, v63, v14
	;;#ASMEND
	;;#ASMSTART
	v_dot2_f32_f16 v14, v88, v64, v14
	;;#ASMEND
	;; [unrolled: 3-line block ×9, first 2 shown]
	v_cmp_ngt_f32_e64 s6, 0x3f200000, |v6|
	;;#ASMSTART
	v_dot2_f32_f16 v55, v88, v72, v55
	;;#ASMEND
	;;#ASMSTART
	v_dot2_f32_f16 v55, v89, v73, v55
	;;#ASMEND
	;; [unrolled: 3-line block ×7, first 2 shown]
                                        ; implicit-def: $vgpr7
	s_and_saveexec_b32 s7, s6
	s_xor_b32 s6, exec_lo, s7
	s_cbranch_execz .LBB87_117
; %bb.116:
	v_add_f32_e64 v7, |v6|, |v6|
	v_mul_f32_e32 v8, 0x3fb8aa3b, v7
	v_cmp_ngt_f32_e32 vcc_lo, 0xc2ce8ed0, v7
	v_rndne_f32_e32 v9, v8
	v_fma_f32 v10, 0x3fb8aa3b, v7, -v8
	v_sub_f32_e32 v8, v8, v9
	v_fmamk_f32 v10, v7, 0x32a5705f, v10
	v_cvt_i32_f32_e32 v9, v9
	v_add_f32_e32 v8, v8, v10
	v_exp_f32_e32 v8, v8
	v_ldexp_f32 v8, v8, v9
	v_cndmask_b32_e32 v8, 0, v8, vcc_lo
	v_cmp_nlt_f32_e32 vcc_lo, 0x42b17218, v7
	v_cndmask_b32_e32 v7, 0x7f800000, v8, vcc_lo
	v_add_f32_e32 v7, 1.0, v7
	v_rcp_f32_e32 v7, v7
	v_fma_f32 v7, v7, -2.0, 1.0
.LBB87_117:
	s_andn2_saveexec_b32 s6, s6
	s_cbranch_execz .LBB87_119
; %bb.118:
	v_mul_f32_e32 v7, v6, v6
	s_mov_b32 s7, 0xbbbac73d
	v_fmaak_f32 v8, s7, v7, 0x3ca908c9
	v_fmaak_f32 v8, v7, v8, 0xbd5c1c4e
	;; [unrolled: 1-line block ×4, first 2 shown]
	v_mul_f32_e64 v8, |v6|, v8
	v_fma_f32 v7, v7, v8, |v6|
.LBB87_119:
	s_or_b32 exec_lo, exec_lo, s6
	v_bfi_b32 v6, 0x7fffffff, v7, v6
	s_cmp_lg_u64 s[46:47], 0
	v_mad_u64_u32 v[10:11], null, v45, s23, s[10:11]
	s_cselect_b32 s8, -1, 0
	v_mul_f32_e32 v64, s19, v6
	v_mov_b32_e32 v9, v5
	v_cmp_gt_i32_e64 s6, s12, v0
	v_cndmask_b32_e64 v65, 0, 1, s8
	v_mov_b32_e32 v8, v4
	v_mov_b32_e32 v7, v3
	;; [unrolled: 1-line block ×3, first 2 shown]
	s_and_saveexec_b32 s7, s6
	s_cbranch_execz .LBB87_124
; %bb.120:
	s_andn2_b32 vcc_lo, exec_lo, s8
	s_cbranch_vccnz .LBB87_122
; %bb.121:
	v_add_nc_u32_e32 v6, v10, v0
	v_ashrrev_i32_e32 v7, 31, v6
	v_lshlrev_b64 v[6:7], 1, v[6:7]
	v_add_co_u32 v6, vcc_lo, s46, v6
	v_add_co_ci_u32_e64 v7, null, s47, v7, vcc_lo
	global_load_ushort v6, v[6:7], off
	s_waitcnt vmcnt(0)
	v_cvt_f32_f16_e32 v6, v6
	v_mul_f32_e32 v6, v40, v6
	s_branch .LBB87_123
.LBB87_122:
	v_mov_b32_e32 v6, 0
.LBB87_123:
	v_add_f32_e32 v64, v64, v6
	v_max_f32_e32 v7, v2, v2
	v_add_f32_e32 v6, 0x40051340, v64
	v_max_f32_e32 v11, v7, v6
	v_mov_b32_e32 v9, v5
	v_mov_b32_e32 v6, v2
	;; [unrolled: 1-line block ×5, first 2 shown]
.LBB87_124:
	s_or_b32 exec_lo, exec_lo, s7
	v_cmp_ngt_f32_e64 s7, 0x3f200000, |v16|
                                        ; implicit-def: $vgpr11
	s_and_saveexec_b32 s8, s7
	s_xor_b32 s7, exec_lo, s8
	s_cbranch_execz .LBB87_126
; %bb.125:
	v_add_f32_e64 v11, |v16|, |v16|
	v_mul_f32_e32 v17, 0x3fb8aa3b, v11
	v_cmp_ngt_f32_e32 vcc_lo, 0xc2ce8ed0, v11
	v_rndne_f32_e32 v18, v17
	v_fma_f32 v19, 0x3fb8aa3b, v11, -v17
	v_sub_f32_e32 v17, v17, v18
	v_fmamk_f32 v19, v11, 0x32a5705f, v19
	v_cvt_i32_f32_e32 v18, v18
	v_add_f32_e32 v17, v17, v19
	v_exp_f32_e32 v17, v17
	v_ldexp_f32 v17, v17, v18
	v_cndmask_b32_e32 v17, 0, v17, vcc_lo
	v_cmp_nlt_f32_e32 vcc_lo, 0x42b17218, v11
	v_cndmask_b32_e32 v11, 0x7f800000, v17, vcc_lo
	v_add_f32_e32 v11, 1.0, v11
	v_rcp_f32_e32 v11, v11
	v_fma_f32 v11, v11, -2.0, 1.0
.LBB87_126:
	s_andn2_saveexec_b32 s7, s7
	s_cbranch_execz .LBB87_128
; %bb.127:
	v_mul_f32_e32 v11, v16, v16
	s_mov_b32 s8, 0xbbbac73d
	v_fmaak_f32 v17, s8, v11, 0x3ca908c9
	v_fmaak_f32 v17, v11, v17, 0xbd5c1c4e
	;; [unrolled: 1-line block ×4, first 2 shown]
	v_mul_f32_e64 v17, |v16|, v17
	v_fma_f32 v11, v11, v17, |v16|
.LBB87_128:
	s_or_b32 exec_lo, exec_lo, s7
	v_bfi_b32 v11, 0x7fffffff, v11, v16
	v_add_nc_u32_e32 v45, 32, v0
	v_mul_f32_e32 v66, s19, v11
	v_cmp_gt_i32_e64 s7, s12, v45
	s_and_saveexec_b32 s8, s7
	s_cbranch_execz .LBB87_133
; %bb.129:
	v_cmp_ne_u32_e32 vcc_lo, 1, v65
	s_cbranch_vccnz .LBB87_131
; %bb.130:
	v_ashrrev_i32_e32 v11, 31, v10
	v_add_co_u32 v16, vcc_lo, v10, v0
	v_add_co_ci_u32_e64 v17, null, 0, v11, vcc_lo
	v_lshlrev_b64 v[16:17], 1, v[16:17]
	v_add_co_u32 v16, vcc_lo, s46, v16
	v_add_co_ci_u32_e64 v17, null, s47, v17, vcc_lo
	global_load_ushort v11, v[16:17], off offset:64
	s_waitcnt vmcnt(0)
	v_cvt_f32_f16_e32 v11, v11
	v_mul_f32_e32 v11, v40, v11
	s_branch .LBB87_132
.LBB87_131:
	v_mov_b32_e32 v11, 0
.LBB87_132:
	v_add_f32_e32 v66, v66, v11
	v_max_f32_e32 v6, v6, v6
	v_add_f32_e32 v11, 0x40051340, v66
	v_max_f32_e32 v6, v6, v11
.LBB87_133:
	s_or_b32 exec_lo, exec_lo, s8
	v_cmp_ngt_f32_e64 s8, 0x3f200000, |v15|
                                        ; implicit-def: $vgpr11
	s_and_saveexec_b32 s9, s8
	s_xor_b32 s8, exec_lo, s9
	s_cbranch_execz .LBB87_135
; %bb.134:
	v_add_f32_e64 v11, |v15|, |v15|
	v_mul_f32_e32 v16, 0x3fb8aa3b, v11
	v_cmp_ngt_f32_e32 vcc_lo, 0xc2ce8ed0, v11
	v_rndne_f32_e32 v17, v16
	v_fma_f32 v18, 0x3fb8aa3b, v11, -v16
	v_sub_f32_e32 v16, v16, v17
	v_fmamk_f32 v18, v11, 0x32a5705f, v18
	v_cvt_i32_f32_e32 v17, v17
	v_add_f32_e32 v16, v16, v18
	v_exp_f32_e32 v16, v16
	v_ldexp_f32 v16, v16, v17
	v_cndmask_b32_e32 v16, 0, v16, vcc_lo
	v_cmp_nlt_f32_e32 vcc_lo, 0x42b17218, v11
	v_cndmask_b32_e32 v11, 0x7f800000, v16, vcc_lo
	v_add_f32_e32 v11, 1.0, v11
	v_rcp_f32_e32 v11, v11
	v_fma_f32 v11, v11, -2.0, 1.0
.LBB87_135:
	s_andn2_saveexec_b32 s8, s8
	s_cbranch_execz .LBB87_137
; %bb.136:
	v_mul_f32_e32 v11, v15, v15
	s_mov_b32 s9, 0xbbbac73d
	v_fmaak_f32 v16, s9, v11, 0x3ca908c9
	v_fmaak_f32 v16, v11, v16, 0xbd5c1c4e
	;; [unrolled: 1-line block ×4, first 2 shown]
	v_mul_f32_e64 v16, |v15|, v16
	v_fma_f32 v11, v11, v16, |v15|
.LBB87_137:
	s_or_b32 exec_lo, exec_lo, s8
	v_bfi_b32 v11, 0x7fffffff, v11, v15
	v_add_nc_u32_e32 v46, 64, v0
	v_mul_f32_e32 v67, s19, v11
	v_cmp_gt_i32_e64 s8, s12, v46
	s_and_saveexec_b32 s9, s8
	s_cbranch_execz .LBB87_142
; %bb.138:
	v_cmp_ne_u32_e32 vcc_lo, 1, v65
	s_cbranch_vccnz .LBB87_140
; %bb.139:
	v_ashrrev_i32_e32 v11, 31, v10
	v_add_co_u32 v15, vcc_lo, v10, v0
	v_add_co_ci_u32_e64 v16, null, 0, v11, vcc_lo
	v_lshlrev_b64 v[15:16], 1, v[15:16]
	v_add_co_u32 v15, vcc_lo, s46, v15
	v_add_co_ci_u32_e64 v16, null, s47, v16, vcc_lo
	global_load_ushort v11, v[15:16], off offset:128
	s_waitcnt vmcnt(0)
	v_cvt_f32_f16_e32 v11, v11
	v_mul_f32_e32 v11, v40, v11
	s_branch .LBB87_141
.LBB87_140:
	v_mov_b32_e32 v11, 0
.LBB87_141:
	v_add_f32_e32 v67, v67, v11
	v_max_f32_e32 v6, v6, v6
	v_add_f32_e32 v11, 0x40051340, v67
	v_max_f32_e32 v6, v6, v11
.LBB87_142:
	s_or_b32 exec_lo, exec_lo, s9
	v_cmp_ngt_f32_e64 s9, 0x3f200000, |v14|
                                        ; implicit-def: $vgpr11
	s_and_saveexec_b32 s13, s9
	s_xor_b32 s9, exec_lo, s13
	s_cbranch_execz .LBB87_144
; %bb.143:
	v_add_f32_e64 v11, |v14|, |v14|
	v_mul_f32_e32 v15, 0x3fb8aa3b, v11
	v_cmp_ngt_f32_e32 vcc_lo, 0xc2ce8ed0, v11
	v_rndne_f32_e32 v16, v15
	v_fma_f32 v17, 0x3fb8aa3b, v11, -v15
	v_sub_f32_e32 v15, v15, v16
	v_fmamk_f32 v17, v11, 0x32a5705f, v17
	v_cvt_i32_f32_e32 v16, v16
	v_add_f32_e32 v15, v15, v17
	v_exp_f32_e32 v15, v15
	v_ldexp_f32 v15, v15, v16
	v_cndmask_b32_e32 v15, 0, v15, vcc_lo
	v_cmp_nlt_f32_e32 vcc_lo, 0x42b17218, v11
	v_cndmask_b32_e32 v11, 0x7f800000, v15, vcc_lo
	v_add_f32_e32 v11, 1.0, v11
	v_rcp_f32_e32 v11, v11
	v_fma_f32 v11, v11, -2.0, 1.0
.LBB87_144:
	s_andn2_saveexec_b32 s9, s9
	s_cbranch_execz .LBB87_146
; %bb.145:
	v_mul_f32_e32 v11, v14, v14
	s_mov_b32 s13, 0xbbbac73d
	v_fmaak_f32 v15, s13, v11, 0x3ca908c9
	v_fmaak_f32 v15, v11, v15, 0xbd5c1c4e
	;; [unrolled: 1-line block ×4, first 2 shown]
	v_mul_f32_e64 v15, |v14|, v15
	v_fma_f32 v11, v11, v15, |v14|
.LBB87_146:
	s_or_b32 exec_lo, exec_lo, s9
	v_bfi_b32 v11, 0x7fffffff, v11, v14
	v_add_nc_u32_e32 v63, 0x60, v0
	v_mul_f32_e32 v68, s19, v11
	v_cmp_gt_i32_e64 s9, s12, v63
	s_and_saveexec_b32 s13, s9
	s_cbranch_execz .LBB87_151
; %bb.147:
	v_cmp_ne_u32_e32 vcc_lo, 1, v65
	s_cbranch_vccnz .LBB87_149
; %bb.148:
	v_ashrrev_i32_e32 v11, 31, v10
	v_add_co_u32 v10, vcc_lo, v10, v0
	v_add_co_ci_u32_e64 v11, null, 0, v11, vcc_lo
	v_lshlrev_b64 v[10:11], 1, v[10:11]
	v_add_co_u32 v10, vcc_lo, s46, v10
	v_add_co_ci_u32_e64 v11, null, s47, v11, vcc_lo
	global_load_ushort v10, v[10:11], off offset:192
	s_waitcnt vmcnt(0)
	v_cvt_f32_f16_e32 v10, v10
	v_mul_f32_e32 v10, v40, v10
	s_branch .LBB87_150
.LBB87_149:
	v_mov_b32_e32 v10, 0
.LBB87_150:
	v_add_f32_e32 v68, v68, v10
	v_max_f32_e32 v6, v6, v6
	v_add_f32_e32 v10, 0x40051340, v68
	v_max_f32_e32 v6, v6, v10
.LBB87_151:
	s_or_b32 exec_lo, exec_lo, s13
	v_xor_b32_e32 v19, 16, v35
	v_xor_b32_e32 v18, 8, v35
	;; [unrolled: 1-line block ×5, first 2 shown]
	v_cmp_gt_i32_e32 vcc_lo, 32, v19
	v_mov_b32_e32 v14, 32
	v_cmp_ngt_f32_e64 s13, 0x3f200000, |v62|
	v_cndmask_b32_e32 v10, v35, v19, vcc_lo
	v_cmp_gt_i32_e32 vcc_lo, 32, v18
	v_lshlrev_b32_e32 v69, 2, v10
	v_cndmask_b32_e32 v11, v35, v18, vcc_lo
	v_cmp_gt_i32_e32 vcc_lo, 32, v17
	ds_bpermute_b32 v10, v69, v6
	v_max_f32_e32 v6, v6, v6
	v_lshlrev_b32_e32 v70, 2, v11
	v_cndmask_b32_e32 v11, v35, v17, vcc_lo
	v_cmp_gt_i32_e32 vcc_lo, 32, v16
	v_lshlrev_b32_e32 v71, 2, v11
	v_cndmask_b32_e32 v11, v35, v16, vcc_lo
	v_cmp_gt_i32_e32 vcc_lo, 32, v15
	v_lshlrev_b32_e32 v72, 2, v11
	v_cndmask_b32_e32 v11, v35, v15, vcc_lo
	v_lshlrev_b32_e32 v73, 2, v11
	s_waitcnt lgkmcnt(0)
	v_max_f32_e32 v10, v10, v10
                                        ; implicit-def: $vgpr11
	v_max_f32_e32 v6, v6, v10
	ds_bpermute_b32 v10, v70, v6
	s_waitcnt lgkmcnt(0)
	v_max_f32_e32 v10, v10, v10
	v_max_f32_e32 v6, v6, v10
	ds_bpermute_b32 v10, v71, v6
	s_waitcnt lgkmcnt(0)
	v_max_f32_e32 v10, v10, v10
	;; [unrolled: 4-line block ×3, first 2 shown]
	v_max_f32_e32 v6, v6, v10
	ds_bpermute_b32 v10, v73, v6
	s_and_saveexec_b32 s15, s13
	s_xor_b32 s13, exec_lo, s15
	s_cbranch_execz .LBB87_153
; %bb.152:
	v_add_f32_e64 v11, |v62|, |v62|
	v_mul_f32_e32 v74, 0x3fb8aa3b, v11
	v_cmp_ngt_f32_e32 vcc_lo, 0xc2ce8ed0, v11
	v_rndne_f32_e32 v75, v74
	v_fma_f32 v76, 0x3fb8aa3b, v11, -v74
	v_sub_f32_e32 v74, v74, v75
	v_fmamk_f32 v76, v11, 0x32a5705f, v76
	v_cvt_i32_f32_e32 v75, v75
	v_add_f32_e32 v74, v74, v76
	v_exp_f32_e32 v74, v74
	v_ldexp_f32 v74, v74, v75
	v_cndmask_b32_e32 v74, 0, v74, vcc_lo
	v_cmp_nlt_f32_e32 vcc_lo, 0x42b17218, v11
	v_cndmask_b32_e32 v11, 0x7f800000, v74, vcc_lo
	v_add_f32_e32 v11, 1.0, v11
	v_rcp_f32_e32 v11, v11
	v_fma_f32 v11, v11, -2.0, 1.0
.LBB87_153:
	s_andn2_saveexec_b32 s13, s13
	s_cbranch_execz .LBB87_155
; %bb.154:
	v_mul_f32_e32 v11, v62, v62
	s_mov_b32 s15, 0xbbbac73d
	v_fmaak_f32 v74, s15, v11, 0x3ca908c9
	v_fmaak_f32 v74, v11, v74, 0xbd5c1c4e
	;; [unrolled: 1-line block ×4, first 2 shown]
	v_mul_f32_e64 v74, |v62|, v74
	v_fma_f32 v11, v11, v74, |v62|
.LBB87_155:
	s_or_b32 exec_lo, exec_lo, s13
	v_mul_hi_u32 v74, s28, v44
	v_max_f32_e32 v6, v6, v6
	v_bfi_b32 v62, 0x7fffffff, v11, v62
	v_add_nc_u32_e32 v74, v44, v74
	v_lshrrev_b32_e32 v74, s29, v74
	v_mul_lo_u32 v74, v74, s30
	v_sub_nc_u32_e32 v44, v44, v74
	s_waitcnt lgkmcnt(0)
	v_max_f32_e32 v74, v10, v10
	v_mad_u64_u32 v[10:11], null, v44, s23, s[10:11]
	v_max_f32_e32 v6, v6, v74
	v_mul_f32_e32 v44, s19, v62
	s_and_saveexec_b32 s13, s6
	s_cbranch_execz .LBB87_160
; %bb.156:
	v_cmp_ne_u32_e32 vcc_lo, 1, v65
	s_cbranch_vccnz .LBB87_158
; %bb.157:
	v_add_nc_u32_e32 v74, v10, v0
	v_ashrrev_i32_e32 v75, 31, v74
	v_lshlrev_b64 v[74:75], 1, v[74:75]
	v_add_co_u32 v74, vcc_lo, s46, v74
	v_add_co_ci_u32_e64 v75, null, s47, v75, vcc_lo
	global_load_ushort v11, v[74:75], off
	s_waitcnt vmcnt(0)
	v_cvt_f32_f16_e32 v11, v11
	v_mul_f32_e32 v11, v40, v11
	s_branch .LBB87_159
.LBB87_158:
	v_mov_b32_e32 v11, 0
.LBB87_159:
	v_add_f32_e32 v44, v44, v11
	v_max_f32_e32 v7, v7, v7
	v_add_f32_e32 v11, 0x40051340, v44
	v_max_f32_e32 v7, v7, v11
.LBB87_160:
	s_or_b32 exec_lo, exec_lo, s13
	v_cmp_ngt_f32_e64 s13, 0x3f200000, |v61|
                                        ; implicit-def: $vgpr11
	s_and_saveexec_b32 s15, s13
	s_xor_b32 s13, exec_lo, s15
	s_cbranch_execz .LBB87_162
; %bb.161:
	v_add_f32_e64 v11, |v61|, |v61|
	v_mul_f32_e32 v62, 0x3fb8aa3b, v11
	v_cmp_ngt_f32_e32 vcc_lo, 0xc2ce8ed0, v11
	v_rndne_f32_e32 v74, v62
	v_fma_f32 v75, 0x3fb8aa3b, v11, -v62
	v_sub_f32_e32 v62, v62, v74
	v_fmamk_f32 v75, v11, 0x32a5705f, v75
	v_cvt_i32_f32_e32 v74, v74
	v_add_f32_e32 v62, v62, v75
	v_exp_f32_e32 v62, v62
	v_ldexp_f32 v62, v62, v74
	v_cndmask_b32_e32 v62, 0, v62, vcc_lo
	v_cmp_nlt_f32_e32 vcc_lo, 0x42b17218, v11
	v_cndmask_b32_e32 v11, 0x7f800000, v62, vcc_lo
	v_add_f32_e32 v11, 1.0, v11
	v_rcp_f32_e32 v11, v11
	v_fma_f32 v11, v11, -2.0, 1.0
.LBB87_162:
	s_andn2_saveexec_b32 s13, s13
	s_cbranch_execz .LBB87_164
; %bb.163:
	v_mul_f32_e32 v11, v61, v61
	s_mov_b32 s15, 0xbbbac73d
	v_fmaak_f32 v62, s15, v11, 0x3ca908c9
	v_fmaak_f32 v62, v11, v62, 0xbd5c1c4e
	;; [unrolled: 1-line block ×4, first 2 shown]
	v_mul_f32_e64 v62, |v61|, v62
	v_fma_f32 v11, v11, v62, |v61|
.LBB87_164:
	s_or_b32 exec_lo, exec_lo, s13
	v_bfi_b32 v11, 0x7fffffff, v11, v61
	v_mul_f32_e32 v61, s19, v11
	s_and_saveexec_b32 s13, s7
	s_cbranch_execz .LBB87_169
; %bb.165:
	v_cmp_ne_u32_e32 vcc_lo, 1, v65
	s_cbranch_vccnz .LBB87_167
; %bb.166:
	v_ashrrev_i32_e32 v11, 31, v10
	v_add_co_u32 v74, vcc_lo, v10, v0
	v_add_co_ci_u32_e64 v75, null, 0, v11, vcc_lo
	v_lshlrev_b64 v[74:75], 1, v[74:75]
	v_add_co_u32 v74, vcc_lo, s46, v74
	v_add_co_ci_u32_e64 v75, null, s47, v75, vcc_lo
	global_load_ushort v11, v[74:75], off offset:64
	s_waitcnt vmcnt(0)
	v_cvt_f32_f16_e32 v11, v11
	v_mul_f32_e32 v11, v40, v11
	s_branch .LBB87_168
.LBB87_167:
	v_mov_b32_e32 v11, 0
.LBB87_168:
	v_add_f32_e32 v61, v61, v11
	v_max_f32_e32 v7, v7, v7
	v_add_f32_e32 v11, 0x40051340, v61
	v_max_f32_e32 v7, v7, v11
.LBB87_169:
	s_or_b32 exec_lo, exec_lo, s13
	v_cmp_ngt_f32_e64 s13, 0x3f200000, |v60|
                                        ; implicit-def: $vgpr11
	s_and_saveexec_b32 s15, s13
	s_xor_b32 s13, exec_lo, s15
	s_cbranch_execz .LBB87_171
; %bb.170:
	v_add_f32_e64 v11, |v60|, |v60|
	v_mul_f32_e32 v62, 0x3fb8aa3b, v11
	v_cmp_ngt_f32_e32 vcc_lo, 0xc2ce8ed0, v11
	v_rndne_f32_e32 v74, v62
	v_fma_f32 v75, 0x3fb8aa3b, v11, -v62
	v_sub_f32_e32 v62, v62, v74
	v_fmamk_f32 v75, v11, 0x32a5705f, v75
	v_cvt_i32_f32_e32 v74, v74
	v_add_f32_e32 v62, v62, v75
	v_exp_f32_e32 v62, v62
	v_ldexp_f32 v62, v62, v74
	v_cndmask_b32_e32 v62, 0, v62, vcc_lo
	v_cmp_nlt_f32_e32 vcc_lo, 0x42b17218, v11
	v_cndmask_b32_e32 v11, 0x7f800000, v62, vcc_lo
	v_add_f32_e32 v11, 1.0, v11
	v_rcp_f32_e32 v11, v11
	v_fma_f32 v11, v11, -2.0, 1.0
.LBB87_171:
	s_andn2_saveexec_b32 s13, s13
	s_cbranch_execz .LBB87_173
; %bb.172:
	v_mul_f32_e32 v11, v60, v60
	s_mov_b32 s15, 0xbbbac73d
	v_fmaak_f32 v62, s15, v11, 0x3ca908c9
	v_fmaak_f32 v62, v11, v62, 0xbd5c1c4e
	;; [unrolled: 1-line block ×4, first 2 shown]
	v_mul_f32_e64 v62, |v60|, v62
	v_fma_f32 v11, v11, v62, |v60|
.LBB87_173:
	s_or_b32 exec_lo, exec_lo, s13
	v_bfi_b32 v11, 0x7fffffff, v11, v60
	v_mul_f32_e32 v60, s19, v11
	s_and_saveexec_b32 s13, s8
	s_cbranch_execz .LBB87_178
; %bb.174:
	v_cmp_ne_u32_e32 vcc_lo, 1, v65
	s_cbranch_vccnz .LBB87_176
; %bb.175:
	v_ashrrev_i32_e32 v11, 31, v10
	v_add_co_u32 v74, vcc_lo, v10, v0
	v_add_co_ci_u32_e64 v75, null, 0, v11, vcc_lo
	v_lshlrev_b64 v[74:75], 1, v[74:75]
	v_add_co_u32 v74, vcc_lo, s46, v74
	v_add_co_ci_u32_e64 v75, null, s47, v75, vcc_lo
	global_load_ushort v11, v[74:75], off offset:128
	s_waitcnt vmcnt(0)
	v_cvt_f32_f16_e32 v11, v11
	v_mul_f32_e32 v11, v40, v11
	s_branch .LBB87_177
.LBB87_176:
	v_mov_b32_e32 v11, 0
.LBB87_177:
	v_add_f32_e32 v60, v60, v11
	v_max_f32_e32 v7, v7, v7
	v_add_f32_e32 v11, 0x40051340, v60
	v_max_f32_e32 v7, v7, v11
.LBB87_178:
	s_or_b32 exec_lo, exec_lo, s13
	v_cmp_ngt_f32_e64 s13, 0x3f200000, |v59|
                                        ; implicit-def: $vgpr11
	s_and_saveexec_b32 s15, s13
	s_xor_b32 s13, exec_lo, s15
	s_cbranch_execz .LBB87_180
; %bb.179:
	v_add_f32_e64 v11, |v59|, |v59|
	v_mul_f32_e32 v62, 0x3fb8aa3b, v11
	v_cmp_ngt_f32_e32 vcc_lo, 0xc2ce8ed0, v11
	v_rndne_f32_e32 v74, v62
	v_fma_f32 v75, 0x3fb8aa3b, v11, -v62
	v_sub_f32_e32 v62, v62, v74
	v_fmamk_f32 v75, v11, 0x32a5705f, v75
	v_cvt_i32_f32_e32 v74, v74
	v_add_f32_e32 v62, v62, v75
	v_exp_f32_e32 v62, v62
	v_ldexp_f32 v62, v62, v74
	v_cndmask_b32_e32 v62, 0, v62, vcc_lo
	v_cmp_nlt_f32_e32 vcc_lo, 0x42b17218, v11
	v_cndmask_b32_e32 v11, 0x7f800000, v62, vcc_lo
	v_add_f32_e32 v11, 1.0, v11
	v_rcp_f32_e32 v11, v11
	v_fma_f32 v11, v11, -2.0, 1.0
.LBB87_180:
	s_andn2_saveexec_b32 s13, s13
	s_cbranch_execz .LBB87_182
; %bb.181:
	v_mul_f32_e32 v11, v59, v59
	s_mov_b32 s15, 0xbbbac73d
	v_fmaak_f32 v62, s15, v11, 0x3ca908c9
	v_fmaak_f32 v62, v11, v62, 0xbd5c1c4e
	;; [unrolled: 1-line block ×4, first 2 shown]
	v_mul_f32_e64 v62, |v59|, v62
	v_fma_f32 v11, v11, v62, |v59|
.LBB87_182:
	s_or_b32 exec_lo, exec_lo, s13
	v_bfi_b32 v11, 0x7fffffff, v11, v59
	v_mul_f32_e32 v59, s19, v11
	s_and_saveexec_b32 s13, s9
	s_cbranch_execz .LBB87_187
; %bb.183:
	v_cmp_ne_u32_e32 vcc_lo, 1, v65
	s_cbranch_vccnz .LBB87_185
; %bb.184:
	v_ashrrev_i32_e32 v11, 31, v10
	v_add_co_u32 v10, vcc_lo, v10, v0
	v_add_co_ci_u32_e64 v11, null, 0, v11, vcc_lo
	v_lshlrev_b64 v[10:11], 1, v[10:11]
	v_add_co_u32 v10, vcc_lo, s46, v10
	v_add_co_ci_u32_e64 v11, null, s47, v11, vcc_lo
	global_load_ushort v10, v[10:11], off offset:192
	s_waitcnt vmcnt(0)
	v_cvt_f32_f16_e32 v10, v10
	v_mul_f32_e32 v10, v40, v10
	s_branch .LBB87_186
.LBB87_185:
	v_mov_b32_e32 v10, 0
.LBB87_186:
	v_add_f32_e32 v59, v59, v10
	v_max_f32_e32 v7, v7, v7
	v_add_f32_e32 v10, 0x40051340, v59
	v_max_f32_e32 v7, v7, v10
.LBB87_187:
	s_or_b32 exec_lo, exec_lo, s13
	ds_bpermute_b32 v10, v69, v7
	v_max_f32_e32 v7, v7, v7
	v_cmp_ngt_f32_e64 s13, 0x3f200000, |v58|
                                        ; implicit-def: $vgpr11
	s_waitcnt lgkmcnt(0)
	v_max_f32_e32 v10, v10, v10
	v_max_f32_e32 v7, v7, v10
	ds_bpermute_b32 v10, v70, v7
	s_waitcnt lgkmcnt(0)
	v_max_f32_e32 v10, v10, v10
	v_max_f32_e32 v7, v7, v10
	ds_bpermute_b32 v10, v71, v7
	;; [unrolled: 4-line block ×4, first 2 shown]
	s_and_saveexec_b32 s15, s13
	s_xor_b32 s13, exec_lo, s15
	s_cbranch_execz .LBB87_189
; %bb.188:
	v_add_f32_e64 v11, |v58|, |v58|
	v_mul_f32_e32 v62, 0x3fb8aa3b, v11
	v_cmp_ngt_f32_e32 vcc_lo, 0xc2ce8ed0, v11
	v_rndne_f32_e32 v74, v62
	v_fma_f32 v75, 0x3fb8aa3b, v11, -v62
	v_sub_f32_e32 v62, v62, v74
	v_fmamk_f32 v75, v11, 0x32a5705f, v75
	v_cvt_i32_f32_e32 v74, v74
	v_add_f32_e32 v62, v62, v75
	v_exp_f32_e32 v62, v62
	v_ldexp_f32 v62, v62, v74
	v_cndmask_b32_e32 v62, 0, v62, vcc_lo
	v_cmp_nlt_f32_e32 vcc_lo, 0x42b17218, v11
	v_cndmask_b32_e32 v11, 0x7f800000, v62, vcc_lo
	v_add_f32_e32 v11, 1.0, v11
	v_rcp_f32_e32 v11, v11
	v_fma_f32 v11, v11, -2.0, 1.0
.LBB87_189:
	s_andn2_saveexec_b32 s13, s13
	s_cbranch_execz .LBB87_191
; %bb.190:
	v_mul_f32_e32 v11, v58, v58
	s_mov_b32 s15, 0xbbbac73d
	v_fmaak_f32 v62, s15, v11, 0x3ca908c9
	v_fmaak_f32 v62, v11, v62, 0xbd5c1c4e
	;; [unrolled: 1-line block ×4, first 2 shown]
	v_mul_f32_e64 v62, |v58|, v62
	v_fma_f32 v11, v11, v62, |v58|
.LBB87_191:
	s_or_b32 exec_lo, exec_lo, s13
	v_mul_hi_u32 v62, s28, v43
	v_max_f32_e32 v7, v7, v7
	v_bfi_b32 v58, 0x7fffffff, v11, v58
	v_mul_f32_e32 v58, s19, v58
	v_add_nc_u32_e32 v62, v43, v62
	v_lshrrev_b32_e32 v62, s29, v62
	v_mul_lo_u32 v62, v62, s30
	v_sub_nc_u32_e32 v43, v43, v62
	s_waitcnt lgkmcnt(0)
	v_max_f32_e32 v62, v10, v10
	v_mad_u64_u32 v[10:11], null, v43, s23, s[10:11]
	v_max_f32_e32 v7, v7, v62
	s_and_saveexec_b32 s13, s6
	s_cbranch_execz .LBB87_196
; %bb.192:
	v_cmp_ne_u32_e32 vcc_lo, 1, v65
	s_cbranch_vccnz .LBB87_194
; %bb.193:
	v_add_nc_u32_e32 v74, v10, v0
	v_ashrrev_i32_e32 v75, 31, v74
	v_lshlrev_b64 v[74:75], 1, v[74:75]
	v_add_co_u32 v74, vcc_lo, s46, v74
	v_add_co_ci_u32_e64 v75, null, s47, v75, vcc_lo
	global_load_ushort v11, v[74:75], off
	s_waitcnt vmcnt(0)
	v_cvt_f32_f16_e32 v11, v11
	v_mul_f32_e32 v11, v40, v11
	s_branch .LBB87_195
.LBB87_194:
	v_mov_b32_e32 v11, 0
.LBB87_195:
	v_add_f32_e32 v58, v58, v11
	v_max_f32_e32 v8, v8, v8
	v_add_f32_e32 v11, 0x40051340, v58
	v_max_f32_e32 v8, v8, v11
.LBB87_196:
	s_or_b32 exec_lo, exec_lo, s13
	v_cmp_ngt_f32_e64 s13, 0x3f200000, |v57|
                                        ; implicit-def: $vgpr11
	s_and_saveexec_b32 s15, s13
	s_xor_b32 s13, exec_lo, s15
	s_cbranch_execz .LBB87_198
; %bb.197:
	v_add_f32_e64 v11, |v57|, |v57|
	v_mul_f32_e32 v43, 0x3fb8aa3b, v11
	v_cmp_ngt_f32_e32 vcc_lo, 0xc2ce8ed0, v11
	v_rndne_f32_e32 v62, v43
	v_fma_f32 v74, 0x3fb8aa3b, v11, -v43
	v_sub_f32_e32 v43, v43, v62
	v_fmamk_f32 v74, v11, 0x32a5705f, v74
	v_cvt_i32_f32_e32 v62, v62
	v_add_f32_e32 v43, v43, v74
	v_exp_f32_e32 v43, v43
	v_ldexp_f32 v43, v43, v62
	v_cndmask_b32_e32 v43, 0, v43, vcc_lo
	v_cmp_nlt_f32_e32 vcc_lo, 0x42b17218, v11
	v_cndmask_b32_e32 v11, 0x7f800000, v43, vcc_lo
	v_add_f32_e32 v11, 1.0, v11
	v_rcp_f32_e32 v11, v11
	v_fma_f32 v11, v11, -2.0, 1.0
.LBB87_198:
	s_andn2_saveexec_b32 s13, s13
	s_cbranch_execz .LBB87_200
; %bb.199:
	v_mul_f32_e32 v11, v57, v57
	s_mov_b32 s15, 0xbbbac73d
	v_fmaak_f32 v43, s15, v11, 0x3ca908c9
	v_fmaak_f32 v43, v11, v43, 0xbd5c1c4e
	;; [unrolled: 1-line block ×4, first 2 shown]
	v_mul_f32_e64 v43, |v57|, v43
	v_fma_f32 v11, v11, v43, |v57|
.LBB87_200:
	s_or_b32 exec_lo, exec_lo, s13
	v_bfi_b32 v11, 0x7fffffff, v11, v57
	v_mul_f32_e32 v57, s19, v11
	s_and_saveexec_b32 s13, s7
	s_cbranch_execz .LBB87_205
; %bb.201:
	v_cmp_ne_u32_e32 vcc_lo, 1, v65
	s_cbranch_vccnz .LBB87_203
; %bb.202:
	v_ashrrev_i32_e32 v11, 31, v10
	v_add_co_u32 v74, vcc_lo, v10, v0
	v_add_co_ci_u32_e64 v75, null, 0, v11, vcc_lo
	v_lshlrev_b64 v[74:75], 1, v[74:75]
	v_add_co_u32 v74, vcc_lo, s46, v74
	v_add_co_ci_u32_e64 v75, null, s47, v75, vcc_lo
	global_load_ushort v11, v[74:75], off offset:64
	s_waitcnt vmcnt(0)
	v_cvt_f32_f16_e32 v11, v11
	v_mul_f32_e32 v11, v40, v11
	s_branch .LBB87_204
.LBB87_203:
	v_mov_b32_e32 v11, 0
.LBB87_204:
	v_add_f32_e32 v57, v57, v11
	v_max_f32_e32 v8, v8, v8
	v_add_f32_e32 v11, 0x40051340, v57
	v_max_f32_e32 v8, v8, v11
.LBB87_205:
	s_or_b32 exec_lo, exec_lo, s13
	v_cmp_ngt_f32_e64 s13, 0x3f200000, |v56|
                                        ; implicit-def: $vgpr11
	s_and_saveexec_b32 s15, s13
	s_xor_b32 s13, exec_lo, s15
	s_cbranch_execz .LBB87_207
; %bb.206:
	v_add_f32_e64 v11, |v56|, |v56|
	v_mul_f32_e32 v43, 0x3fb8aa3b, v11
	v_cmp_ngt_f32_e32 vcc_lo, 0xc2ce8ed0, v11
	v_rndne_f32_e32 v62, v43
	v_fma_f32 v74, 0x3fb8aa3b, v11, -v43
	v_sub_f32_e32 v43, v43, v62
	v_fmamk_f32 v74, v11, 0x32a5705f, v74
	v_cvt_i32_f32_e32 v62, v62
	v_add_f32_e32 v43, v43, v74
	v_exp_f32_e32 v43, v43
	v_ldexp_f32 v43, v43, v62
	v_cndmask_b32_e32 v43, 0, v43, vcc_lo
	v_cmp_nlt_f32_e32 vcc_lo, 0x42b17218, v11
	v_cndmask_b32_e32 v11, 0x7f800000, v43, vcc_lo
	v_add_f32_e32 v11, 1.0, v11
	v_rcp_f32_e32 v11, v11
	v_fma_f32 v11, v11, -2.0, 1.0
.LBB87_207:
	s_andn2_saveexec_b32 s13, s13
	s_cbranch_execz .LBB87_209
; %bb.208:
	v_mul_f32_e32 v11, v56, v56
	s_mov_b32 s15, 0xbbbac73d
	v_fmaak_f32 v43, s15, v11, 0x3ca908c9
	v_fmaak_f32 v43, v11, v43, 0xbd5c1c4e
	;; [unrolled: 1-line block ×4, first 2 shown]
	v_mul_f32_e64 v43, |v56|, v43
	v_fma_f32 v11, v11, v43, |v56|
.LBB87_209:
	s_or_b32 exec_lo, exec_lo, s13
	v_bfi_b32 v11, 0x7fffffff, v11, v56
	v_mul_f32_e32 v62, s19, v11
	s_and_saveexec_b32 s13, s8
	s_cbranch_execz .LBB87_214
; %bb.210:
	v_cmp_ne_u32_e32 vcc_lo, 1, v65
	s_cbranch_vccnz .LBB87_212
; %bb.211:
	v_ashrrev_i32_e32 v11, 31, v10
	v_add_co_u32 v74, vcc_lo, v10, v0
	v_add_co_ci_u32_e64 v75, null, 0, v11, vcc_lo
	v_lshlrev_b64 v[74:75], 1, v[74:75]
	v_add_co_u32 v74, vcc_lo, s46, v74
	v_add_co_ci_u32_e64 v75, null, s47, v75, vcc_lo
	global_load_ushort v11, v[74:75], off offset:128
	s_waitcnt vmcnt(0)
	v_cvt_f32_f16_e32 v11, v11
	v_mul_f32_e32 v11, v40, v11
	s_branch .LBB87_213
.LBB87_212:
	v_mov_b32_e32 v11, 0
.LBB87_213:
	v_add_f32_e32 v62, v62, v11
	v_max_f32_e32 v8, v8, v8
	v_add_f32_e32 v11, 0x40051340, v62
	v_max_f32_e32 v8, v8, v11
.LBB87_214:
	s_or_b32 exec_lo, exec_lo, s13
	v_cmp_ngt_f32_e64 s13, 0x3f200000, |v55|
                                        ; implicit-def: $vgpr11
	s_and_saveexec_b32 s15, s13
	s_xor_b32 s13, exec_lo, s15
	s_cbranch_execz .LBB87_216
; %bb.215:
	v_add_f32_e64 v11, |v55|, |v55|
	v_mul_f32_e32 v43, 0x3fb8aa3b, v11
	v_cmp_ngt_f32_e32 vcc_lo, 0xc2ce8ed0, v11
	v_rndne_f32_e32 v56, v43
	v_fma_f32 v74, 0x3fb8aa3b, v11, -v43
	v_sub_f32_e32 v43, v43, v56
	v_fmamk_f32 v74, v11, 0x32a5705f, v74
	v_cvt_i32_f32_e32 v56, v56
	v_add_f32_e32 v43, v43, v74
	v_exp_f32_e32 v43, v43
	v_ldexp_f32 v43, v43, v56
	v_cndmask_b32_e32 v43, 0, v43, vcc_lo
	v_cmp_nlt_f32_e32 vcc_lo, 0x42b17218, v11
	v_cndmask_b32_e32 v11, 0x7f800000, v43, vcc_lo
	v_add_f32_e32 v11, 1.0, v11
	v_rcp_f32_e32 v11, v11
	v_fma_f32 v11, v11, -2.0, 1.0
.LBB87_216:
	s_andn2_saveexec_b32 s13, s13
	s_cbranch_execz .LBB87_218
; %bb.217:
	v_mul_f32_e32 v11, v55, v55
	s_mov_b32 s15, 0xbbbac73d
	v_fmaak_f32 v43, s15, v11, 0x3ca908c9
	v_fmaak_f32 v43, v11, v43, 0xbd5c1c4e
	;; [unrolled: 1-line block ×4, first 2 shown]
	v_mul_f32_e64 v43, |v55|, v43
	v_fma_f32 v11, v11, v43, |v55|
.LBB87_218:
	s_or_b32 exec_lo, exec_lo, s13
	v_bfi_b32 v11, 0x7fffffff, v11, v55
	v_mul_f32_e32 v55, s19, v11
	s_and_saveexec_b32 s13, s9
	s_cbranch_execz .LBB87_223
; %bb.219:
	v_cmp_ne_u32_e32 vcc_lo, 1, v65
	s_cbranch_vccnz .LBB87_221
; %bb.220:
	v_ashrrev_i32_e32 v11, 31, v10
	v_add_co_u32 v10, vcc_lo, v10, v0
	v_add_co_ci_u32_e64 v11, null, 0, v11, vcc_lo
	v_lshlrev_b64 v[10:11], 1, v[10:11]
	v_add_co_u32 v10, vcc_lo, s46, v10
	v_add_co_ci_u32_e64 v11, null, s47, v11, vcc_lo
	global_load_ushort v10, v[10:11], off offset:192
	s_waitcnt vmcnt(0)
	v_cvt_f32_f16_e32 v10, v10
	v_mul_f32_e32 v10, v40, v10
	s_branch .LBB87_222
.LBB87_221:
	v_mov_b32_e32 v10, 0
.LBB87_222:
	v_add_f32_e32 v55, v55, v10
	v_max_f32_e32 v8, v8, v8
	v_add_f32_e32 v10, 0x40051340, v55
	v_max_f32_e32 v8, v8, v10
.LBB87_223:
	s_or_b32 exec_lo, exec_lo, s13
	ds_bpermute_b32 v10, v69, v8
	v_max_f32_e32 v8, v8, v8
	v_cmp_ngt_f32_e64 s13, 0x3f200000, |v21|
                                        ; implicit-def: $vgpr11
	s_waitcnt lgkmcnt(0)
	v_max_f32_e32 v10, v10, v10
	v_max_f32_e32 v8, v8, v10
	ds_bpermute_b32 v10, v70, v8
	s_waitcnt lgkmcnt(0)
	v_max_f32_e32 v10, v10, v10
	v_max_f32_e32 v8, v8, v10
	ds_bpermute_b32 v10, v71, v8
	;; [unrolled: 4-line block ×4, first 2 shown]
	s_and_saveexec_b32 s15, s13
	s_xor_b32 s13, exec_lo, s15
	s_cbranch_execz .LBB87_225
; %bb.224:
	v_add_f32_e64 v11, |v21|, |v21|
	v_mul_f32_e32 v43, 0x3fb8aa3b, v11
	v_cmp_ngt_f32_e32 vcc_lo, 0xc2ce8ed0, v11
	v_rndne_f32_e32 v56, v43
	v_fma_f32 v74, 0x3fb8aa3b, v11, -v43
	v_sub_f32_e32 v43, v43, v56
	v_fmamk_f32 v74, v11, 0x32a5705f, v74
	v_cvt_i32_f32_e32 v56, v56
	v_add_f32_e32 v43, v43, v74
	v_exp_f32_e32 v43, v43
	v_ldexp_f32 v43, v43, v56
	v_cndmask_b32_e32 v43, 0, v43, vcc_lo
	v_cmp_nlt_f32_e32 vcc_lo, 0x42b17218, v11
	v_cndmask_b32_e32 v11, 0x7f800000, v43, vcc_lo
	v_add_f32_e32 v11, 1.0, v11
	v_rcp_f32_e32 v11, v11
	v_fma_f32 v11, v11, -2.0, 1.0
.LBB87_225:
	s_andn2_saveexec_b32 s13, s13
	s_cbranch_execz .LBB87_227
; %bb.226:
	v_mul_f32_e32 v11, v21, v21
	s_mov_b32 s15, 0xbbbac73d
	v_fmaak_f32 v43, s15, v11, 0x3ca908c9
	v_fmaak_f32 v43, v11, v43, 0xbd5c1c4e
	;; [unrolled: 1-line block ×4, first 2 shown]
	v_mul_f32_e64 v43, |v21|, v43
	v_fma_f32 v11, v11, v43, |v21|
.LBB87_227:
	s_or_b32 exec_lo, exec_lo, s13
	v_mul_hi_u32 v43, s28, v42
	v_max_f32_e32 v8, v8, v8
	v_bfi_b32 v21, 0x7fffffff, v11, v21
	v_add_nc_u32_e32 v43, v42, v43
	v_lshrrev_b32_e32 v43, s29, v43
	v_mul_lo_u32 v43, v43, s30
	v_sub_nc_u32_e32 v42, v42, v43
	s_waitcnt lgkmcnt(0)
	v_max_f32_e32 v43, v10, v10
	v_mad_u64_u32 v[10:11], null, v42, s23, s[10:11]
	v_max_f32_e32 v8, v8, v43
	v_mul_f32_e32 v11, s19, v21
	s_and_saveexec_b32 s13, s6
	s_cbranch_execz .LBB87_232
; %bb.228:
	v_cmp_ne_u32_e32 vcc_lo, 1, v65
	s_cbranch_vccnz .LBB87_230
; %bb.229:
	v_add_nc_u32_e32 v42, v10, v0
	v_ashrrev_i32_e32 v43, 31, v42
	v_lshlrev_b64 v[42:43], 1, v[42:43]
	v_add_co_u32 v42, vcc_lo, s46, v42
	v_add_co_ci_u32_e64 v43, null, s47, v43, vcc_lo
	global_load_ushort v21, v[42:43], off
	s_waitcnt vmcnt(0)
	v_cvt_f32_f16_e32 v21, v21
	v_mul_f32_e32 v21, v40, v21
	s_branch .LBB87_231
.LBB87_230:
	v_mov_b32_e32 v21, 0
.LBB87_231:
	v_add_f32_e32 v11, v11, v21
	v_max_f32_e32 v9, v9, v9
	v_add_f32_e32 v21, 0x40051340, v11
	v_max_f32_e32 v9, v9, v21
.LBB87_232:
	s_or_b32 exec_lo, exec_lo, s13
	v_cmp_ngt_f32_e64 s6, 0x3f200000, |v20|
                                        ; implicit-def: $vgpr21
	s_and_saveexec_b32 s13, s6
	s_xor_b32 s6, exec_lo, s13
	s_cbranch_execz .LBB87_234
; %bb.233:
	v_add_f32_e64 v21, |v20|, |v20|
	v_mul_f32_e32 v42, 0x3fb8aa3b, v21
	v_cmp_ngt_f32_e32 vcc_lo, 0xc2ce8ed0, v21
	v_rndne_f32_e32 v43, v42
	v_fma_f32 v56, 0x3fb8aa3b, v21, -v42
	v_sub_f32_e32 v42, v42, v43
	v_fmamk_f32 v56, v21, 0x32a5705f, v56
	v_cvt_i32_f32_e32 v43, v43
	v_add_f32_e32 v42, v42, v56
	v_exp_f32_e32 v42, v42
	v_ldexp_f32 v42, v42, v43
	v_cndmask_b32_e32 v42, 0, v42, vcc_lo
	v_cmp_nlt_f32_e32 vcc_lo, 0x42b17218, v21
	v_cndmask_b32_e32 v21, 0x7f800000, v42, vcc_lo
	v_add_f32_e32 v21, 1.0, v21
	v_rcp_f32_e32 v21, v21
	v_fma_f32 v21, v21, -2.0, 1.0
.LBB87_234:
	s_andn2_saveexec_b32 s6, s6
	s_cbranch_execz .LBB87_236
; %bb.235:
	v_mul_f32_e32 v21, v20, v20
	s_mov_b32 s13, 0xbbbac73d
	v_fmaak_f32 v42, s13, v21, 0x3ca908c9
	v_fmaak_f32 v42, v21, v42, 0xbd5c1c4e
	;; [unrolled: 1-line block ×4, first 2 shown]
	v_mul_f32_e64 v42, |v20|, v42
	v_fma_f32 v21, v21, v42, |v20|
.LBB87_236:
	s_or_b32 exec_lo, exec_lo, s6
	v_bfi_b32 v20, 0x7fffffff, v21, v20
	v_mul_f32_e32 v74, s19, v20
	s_and_saveexec_b32 s6, s7
	s_cbranch_execz .LBB87_241
; %bb.237:
	v_cmp_ne_u32_e32 vcc_lo, 1, v65
	s_cbranch_vccnz .LBB87_239
; %bb.238:
	v_ashrrev_i32_e32 v21, 31, v10
	v_add_co_u32 v20, vcc_lo, v10, v0
	v_add_co_ci_u32_e64 v21, null, 0, v21, vcc_lo
	v_lshlrev_b64 v[20:21], 1, v[20:21]
	v_add_co_u32 v20, vcc_lo, s46, v20
	v_add_co_ci_u32_e64 v21, null, s47, v21, vcc_lo
	global_load_ushort v20, v[20:21], off offset:64
	s_waitcnt vmcnt(0)
	v_cvt_f32_f16_e32 v20, v20
	v_mul_f32_e32 v20, v40, v20
	s_branch .LBB87_240
.LBB87_239:
	v_mov_b32_e32 v20, 0
.LBB87_240:
	v_add_f32_e32 v74, v74, v20
	v_max_f32_e32 v9, v9, v9
	v_add_f32_e32 v20, 0x40051340, v74
	v_max_f32_e32 v9, v9, v20
.LBB87_241:
	s_or_b32 exec_lo, exec_lo, s6
	v_cmp_ngt_f32_e64 s6, 0x3f200000, |v13|
                                        ; implicit-def: $vgpr20
	s_and_saveexec_b32 s7, s6
	s_xor_b32 s6, exec_lo, s7
	s_cbranch_execz .LBB87_243
; %bb.242:
	v_add_f32_e64 v20, |v13|, |v13|
	v_mul_f32_e32 v21, 0x3fb8aa3b, v20
	v_cmp_ngt_f32_e32 vcc_lo, 0xc2ce8ed0, v20
	v_rndne_f32_e32 v42, v21
	v_fma_f32 v43, 0x3fb8aa3b, v20, -v21
	v_sub_f32_e32 v21, v21, v42
	v_fmamk_f32 v43, v20, 0x32a5705f, v43
	v_cvt_i32_f32_e32 v42, v42
	v_add_f32_e32 v21, v21, v43
	v_exp_f32_e32 v21, v21
	v_ldexp_f32 v21, v21, v42
	v_cndmask_b32_e32 v21, 0, v21, vcc_lo
	v_cmp_nlt_f32_e32 vcc_lo, 0x42b17218, v20
	v_cndmask_b32_e32 v20, 0x7f800000, v21, vcc_lo
	v_add_f32_e32 v20, 1.0, v20
	v_rcp_f32_e32 v20, v20
	v_fma_f32 v20, v20, -2.0, 1.0
.LBB87_243:
	s_andn2_saveexec_b32 s6, s6
	s_cbranch_execz .LBB87_245
; %bb.244:
	v_mul_f32_e32 v20, v13, v13
	s_mov_b32 s7, 0xbbbac73d
	v_fmaak_f32 v21, s7, v20, 0x3ca908c9
	v_fmaak_f32 v21, v20, v21, 0xbd5c1c4e
	;; [unrolled: 1-line block ×4, first 2 shown]
	v_mul_f32_e64 v21, |v13|, v21
	v_fma_f32 v20, v20, v21, |v13|
.LBB87_245:
	s_or_b32 exec_lo, exec_lo, s6
	v_bfi_b32 v13, 0x7fffffff, v20, v13
	v_mul_f32_e32 v13, s19, v13
	s_and_saveexec_b32 s6, s8
	s_cbranch_execz .LBB87_250
; %bb.246:
	v_cmp_ne_u32_e32 vcc_lo, 1, v65
	s_cbranch_vccnz .LBB87_248
; %bb.247:
	v_ashrrev_i32_e32 v21, 31, v10
	v_add_co_u32 v20, vcc_lo, v10, v0
	v_add_co_ci_u32_e64 v21, null, 0, v21, vcc_lo
	v_lshlrev_b64 v[20:21], 1, v[20:21]
	v_add_co_u32 v20, vcc_lo, s46, v20
	v_add_co_ci_u32_e64 v21, null, s47, v21, vcc_lo
	global_load_ushort v20, v[20:21], off offset:128
	s_waitcnt vmcnt(0)
	v_cvt_f32_f16_e32 v20, v20
	v_mul_f32_e32 v20, v40, v20
	s_branch .LBB87_249
.LBB87_248:
	v_mov_b32_e32 v20, 0
.LBB87_249:
	v_add_f32_e32 v13, v13, v20
	v_max_f32_e32 v9, v9, v9
	v_add_f32_e32 v20, 0x40051340, v13
	v_max_f32_e32 v9, v9, v20
.LBB87_250:
	s_or_b32 exec_lo, exec_lo, s6
	v_cmp_ngt_f32_e64 s6, 0x3f200000, |v12|
                                        ; implicit-def: $vgpr20
	s_and_saveexec_b32 s7, s6
	s_xor_b32 s6, exec_lo, s7
	s_cbranch_execz .LBB87_252
; %bb.251:
	v_add_f32_e64 v20, |v12|, |v12|
	v_mul_f32_e32 v21, 0x3fb8aa3b, v20
	v_cmp_ngt_f32_e32 vcc_lo, 0xc2ce8ed0, v20
	v_rndne_f32_e32 v42, v21
	v_fma_f32 v43, 0x3fb8aa3b, v20, -v21
	v_sub_f32_e32 v21, v21, v42
	v_fmamk_f32 v43, v20, 0x32a5705f, v43
	v_cvt_i32_f32_e32 v42, v42
	v_add_f32_e32 v21, v21, v43
	v_exp_f32_e32 v21, v21
	v_ldexp_f32 v21, v21, v42
	v_cndmask_b32_e32 v21, 0, v21, vcc_lo
	v_cmp_nlt_f32_e32 vcc_lo, 0x42b17218, v20
	v_cndmask_b32_e32 v20, 0x7f800000, v21, vcc_lo
	v_add_f32_e32 v20, 1.0, v20
	v_rcp_f32_e32 v20, v20
	v_fma_f32 v20, v20, -2.0, 1.0
.LBB87_252:
	s_andn2_saveexec_b32 s6, s6
	s_cbranch_execz .LBB87_254
; %bb.253:
	v_mul_f32_e32 v20, v12, v12
	s_mov_b32 s7, 0xbbbac73d
	v_fmaak_f32 v21, s7, v20, 0x3ca908c9
	v_fmaak_f32 v21, v20, v21, 0xbd5c1c4e
	;; [unrolled: 1-line block ×4, first 2 shown]
	v_mul_f32_e64 v21, |v12|, v21
	v_fma_f32 v20, v20, v21, |v12|
.LBB87_254:
	s_or_b32 exec_lo, exec_lo, s6
	v_bfi_b32 v12, 0x7fffffff, v20, v12
	v_mul_f32_e32 v12, s19, v12
	s_and_saveexec_b32 s6, s9
	s_cbranch_execz .LBB87_259
; %bb.255:
	v_cmp_ne_u32_e32 vcc_lo, 1, v65
	s_cbranch_vccnz .LBB87_257
; %bb.256:
	v_ashrrev_i32_e32 v21, 31, v10
	v_add_co_u32 v20, vcc_lo, v10, v0
	v_add_co_ci_u32_e64 v21, null, 0, v21, vcc_lo
	v_lshlrev_b64 v[20:21], 1, v[20:21]
	v_add_co_u32 v20, vcc_lo, s46, v20
	v_add_co_ci_u32_e64 v21, null, s47, v21, vcc_lo
	global_load_ushort v10, v[20:21], off offset:192
	s_waitcnt vmcnt(0)
	v_cvt_f32_f16_e32 v10, v10
	v_mul_f32_e32 v10, v40, v10
	s_branch .LBB87_258
.LBB87_257:
	v_mov_b32_e32 v10, 0
.LBB87_258:
	v_add_f32_e32 v12, v12, v10
	v_max_f32_e32 v9, v9, v9
	v_add_f32_e32 v10, 0x40051340, v12
	v_max_f32_e32 v9, v9, v10
.LBB87_259:
	s_or_b32 exec_lo, exec_lo, s6
	ds_bpermute_b32 v10, v69, v9
	v_max_f32_e32 v9, v9, v9
	v_cmp_gt_u32_e32 vcc_lo, s12, v0
	v_sub_f32_e32 v2, v2, v6
	s_waitcnt lgkmcnt(0)
	s_barrier
	buffer_gl0_inv
	v_max_f32_e32 v10, v10, v10
	v_max_f32_e32 v9, v9, v10
	ds_bpermute_b32 v10, v70, v9
	s_waitcnt lgkmcnt(0)
	v_max_f32_e32 v10, v10, v10
	v_max_f32_e32 v9, v9, v10
	ds_bpermute_b32 v10, v71, v9
	s_waitcnt lgkmcnt(0)
	v_max_f32_e32 v10, v10, v10
	v_max_f32_e32 v9, v9, v10
	ds_bpermute_b32 v10, v72, v9
	s_waitcnt lgkmcnt(0)
	v_max_f32_e32 v10, v10, v10
	v_max_f32_e32 v9, v9, v10
	ds_bpermute_b32 v10, v73, v9
	s_waitcnt lgkmcnt(0)
	v_max_f32_e32 v10, v10, v10
	v_max_f32_e32 v9, v9, v10
	v_sub_f32_e32 v10, v64, v6
	v_mul_f32_e32 v20, 0x3fb8aa3b, v10
	v_cmp_ngt_f32_e64 s6, 0xc2ce8ed0, v10
	v_fma_f32 v21, 0x3fb8aa3b, v10, -v20
	v_rndne_f32_e32 v40, v20
	v_fmac_f32_e32 v21, 0x32a5705f, v10
	v_sub_f32_e32 v20, v20, v40
	v_add_f32_e32 v20, v20, v21
	v_cvt_i32_f32_e32 v21, v40
	v_exp_f32_e32 v20, v20
	v_ldexp_f32 v20, v20, v21
	v_cndmask_b32_e64 v20, 0, v20, s6
	v_cmp_nlt_f32_e64 s6, 0x42b17218, v10
	v_cndmask_b32_e64 v10, 0x7f800000, v20, s6
	v_sub_f32_e32 v20, v66, v6
	v_cmp_gt_u32_e64 s6, s12, v45
	v_cndmask_b32_e32 v10, 0, v10, vcc_lo
	v_mul_f32_e32 v21, 0x3fb8aa3b, v20
	v_cmp_ngt_f32_e64 s7, 0xc2ce8ed0, v20
	v_cvt_f16_f32_e32 v64, v10
	v_fma_f32 v40, 0x3fb8aa3b, v20, -v21
	v_rndne_f32_e32 v42, v21
	v_fmac_f32_e32 v40, 0x32a5705f, v20
	v_sub_f32_e32 v21, v21, v42
	v_add_f32_e32 v21, v21, v40
	v_cvt_i32_f32_e32 v40, v42
	v_exp_f32_e32 v21, v21
	v_ldexp_f32 v21, v21, v40
	v_cndmask_b32_e64 v21, 0, v21, s7
	v_cmp_nlt_f32_e64 s7, 0x42b17218, v20
	v_cndmask_b32_e64 v20, 0x7f800000, v21, s7
	v_cmp_gt_u32_e64 s7, s12, v46
	v_cndmask_b32_e64 v20, 0, v20, s6
	v_add_f32_e32 v10, v10, v20
	v_cvt_f16_f32_e32 v65, v20
	v_sub_f32_e32 v20, v67, v6
	v_mul_f32_e32 v21, 0x3fb8aa3b, v20
	v_cmp_ngt_f32_e64 s8, 0xc2ce8ed0, v20
	v_fma_f32 v40, 0x3fb8aa3b, v20, -v21
	v_rndne_f32_e32 v42, v21
	v_fmac_f32_e32 v40, 0x32a5705f, v20
	v_sub_f32_e32 v21, v21, v42
	v_add_f32_e32 v21, v21, v40
	v_cvt_i32_f32_e32 v40, v42
	v_exp_f32_e32 v21, v21
	v_ldexp_f32 v21, v21, v40
	v_cndmask_b32_e64 v21, 0, v21, s8
	v_cmp_nlt_f32_e64 s8, 0x42b17218, v20
	v_cndmask_b32_e64 v20, 0x7f800000, v21, s8
	v_cmp_gt_u32_e64 s8, s12, v63
	v_cndmask_b32_e64 v20, 0, v20, s7
	v_add_f32_e32 v10, v20, v10
	v_cvt_f16_f32_e32 v66, v20
	v_sub_f32_e32 v20, v68, v6
	v_mul_f32_e32 v21, 0x3fb8aa3b, v20
	v_cmp_ngt_f32_e64 s9, 0xc2ce8ed0, v20
	v_fma_f32 v40, 0x3fb8aa3b, v20, -v21
	v_rndne_f32_e32 v42, v21
	v_fmac_f32_e32 v40, 0x32a5705f, v20
	v_sub_f32_e32 v21, v21, v42
	v_add_f32_e32 v21, v21, v40
	v_cvt_i32_f32_e32 v40, v42
	v_exp_f32_e32 v21, v21
	v_ldexp_f32 v21, v21, v40
	v_cndmask_b32_e64 v21, 0, v21, s9
	v_cmp_nlt_f32_e64 s9, 0x42b17218, v20
	v_cndmask_b32_e64 v20, 0x7f800000, v21, s9
	v_cmp_ngt_f32_e64 s9, 0xc2ce8ed0, v2
	v_cndmask_b32_e64 v21, 0, v20, s8
	v_add_f32_e32 v20, v21, v10
	v_cvt_f16_f32_e32 v10, v21
	v_mul_f32_e32 v21, 0x3fb8aa3b, v2
	v_fma_f32 v40, 0x3fb8aa3b, v2, -v21
	v_rndne_f32_e32 v42, v21
	v_fmac_f32_e32 v40, 0x32a5705f, v2
	v_sub_f32_e32 v21, v21, v42
	v_add_f32_e32 v21, v21, v40
	v_cvt_i32_f32_e32 v40, v42
	v_exp_f32_e32 v21, v21
	v_ldexp_f32 v21, v21, v40
	v_cndmask_b32_e64 v21, 0, v21, s9
	v_cmp_nlt_f32_e64 s9, 0x42b17218, v2
	v_cndmask_b32_e64 v2, 0x7f800000, v21, s9
	v_fmac_f32_e32 v20, v25, v2
	v_cvt_f16_f32_e32 v2, v2
	v_mov_b32_e32 v25, 0x10001
	v_mul_u32_u24_sdwa v42, v2, v25 dst_sel:DWORD dst_unused:UNUSED_PAD src0_sel:WORD_0 src1_sel:DWORD
	v_sub_f32_e32 v2, v3, v7
	v_sub_f32_e32 v3, v44, v7
	v_pk_mul_f16 v40, v54, v42
	v_mul_f32_e32 v21, 0x3fb8aa3b, v3
	v_cmp_ngt_f32_e64 s9, 0xc2ce8ed0, v3
	v_fma_f32 v43, 0x3fb8aa3b, v3, -v21
	v_rndne_f32_e32 v44, v21
	v_fmac_f32_e32 v43, 0x32a5705f, v3
	v_sub_f32_e32 v21, v21, v44
	v_add_f32_e32 v21, v21, v43
	v_cvt_i32_f32_e32 v43, v44
	v_exp_f32_e32 v21, v21
	v_ldexp_f32 v21, v21, v43
	v_cndmask_b32_e64 v21, 0, v21, s9
	v_cmp_nlt_f32_e64 s9, 0x42b17218, v3
	v_cndmask_b32_e64 v3, 0x7f800000, v21, s9
	v_sub_f32_e32 v21, v61, v7
	v_cndmask_b32_e32 v3, 0, v3, vcc_lo
	v_mul_f32_e32 v43, 0x3fb8aa3b, v21
	v_cmp_ngt_f32_e64 s9, 0xc2ce8ed0, v21
	v_cvt_f16_f32_e32 v44, v3
	v_fma_f32 v54, 0x3fb8aa3b, v21, -v43
	v_rndne_f32_e32 v56, v43
	v_fmac_f32_e32 v54, 0x32a5705f, v21
	v_sub_f32_e32 v43, v43, v56
	v_add_f32_e32 v43, v43, v54
	v_cvt_i32_f32_e32 v54, v56
	v_exp_f32_e32 v43, v43
	v_ldexp_f32 v43, v43, v54
	v_cndmask_b32_e64 v43, 0, v43, s9
	v_cmp_nlt_f32_e64 s9, 0x42b17218, v21
	v_cndmask_b32_e64 v21, 0x7f800000, v43, s9
	v_cndmask_b32_e64 v21, 0, v21, s6
	v_add_f32_e32 v3, v3, v21
	v_cvt_f16_f32_e32 v54, v21
	v_sub_f32_e32 v21, v60, v7
	v_mul_f32_e32 v43, 0x3fb8aa3b, v21
	v_cmp_ngt_f32_e64 s9, 0xc2ce8ed0, v21
	v_fma_f32 v56, 0x3fb8aa3b, v21, -v43
	v_rndne_f32_e32 v60, v43
	v_fmac_f32_e32 v56, 0x32a5705f, v21
	v_sub_f32_e32 v43, v43, v60
	v_add_f32_e32 v43, v43, v56
	v_cvt_i32_f32_e32 v56, v60
	v_exp_f32_e32 v43, v43
	v_ldexp_f32 v43, v43, v56
	v_cndmask_b32_e64 v43, 0, v43, s9
	v_cmp_nlt_f32_e64 s9, 0x42b17218, v21
	v_cndmask_b32_e64 v21, 0x7f800000, v43, s9
	v_cndmask_b32_e64 v21, 0, v21, s7
	v_add_f32_e32 v3, v21, v3
	v_cvt_f16_f32_e32 v60, v21
	v_sub_f32_e32 v21, v59, v7
	v_mul_f32_e32 v43, 0x3fb8aa3b, v21
	v_cmp_ngt_f32_e64 s9, 0xc2ce8ed0, v21
	v_fma_f32 v56, 0x3fb8aa3b, v21, -v43
	v_rndne_f32_e32 v59, v43
	v_fmac_f32_e32 v56, 0x32a5705f, v21
	v_sub_f32_e32 v43, v43, v59
	v_add_f32_e32 v43, v43, v56
	v_cvt_i32_f32_e32 v56, v59
	v_exp_f32_e32 v43, v43
	v_ldexp_f32 v43, v43, v56
	v_cndmask_b32_e64 v43, 0, v43, s9
	v_cmp_nlt_f32_e64 s9, 0x42b17218, v21
	v_cndmask_b32_e64 v21, 0x7f800000, v43, s9
	v_cmp_ngt_f32_e64 s9, 0xc2ce8ed0, v2
	v_cndmask_b32_e64 v43, 0, v21, s8
	v_add_f32_e32 v21, v43, v3
	v_mul_f32_e32 v3, 0x3fb8aa3b, v2
	v_cvt_f16_f32_e32 v59, v43
	v_fma_f32 v43, 0x3fb8aa3b, v2, -v3
	v_rndne_f32_e32 v56, v3
	v_fmac_f32_e32 v43, 0x32a5705f, v2
	v_sub_f32_e32 v3, v3, v56
	v_add_f32_e32 v3, v3, v43
	v_cvt_i32_f32_e32 v43, v56
	v_exp_f32_e32 v3, v3
	v_ldexp_f32 v3, v3, v43
	v_cndmask_b32_e64 v3, 0, v3, s9
	v_cmp_nlt_f32_e64 s9, 0x42b17218, v2
	v_cndmask_b32_e64 v2, 0x7f800000, v3, s9
	v_sub_f32_e32 v3, v58, v8
	v_fmac_f32_e32 v21, v24, v2
	v_cvt_f16_f32_e32 v2, v2
	v_cmp_ngt_f32_e64 s9, 0xc2ce8ed0, v3
	v_mul_u32_u24_sdwa v56, v2, v25 dst_sel:DWORD dst_unused:UNUSED_PAD src0_sel:WORD_0 src1_sel:DWORD
	v_sub_f32_e32 v2, v4, v8
	v_mul_f32_e32 v4, 0x3fb8aa3b, v3
	v_pk_mul_f16 v43, v53, v56
	v_fma_f32 v24, 0x3fb8aa3b, v3, -v4
	v_rndne_f32_e32 v53, v4
	v_fmac_f32_e32 v24, 0x32a5705f, v3
	v_sub_f32_e32 v4, v4, v53
	v_add_f32_e32 v4, v4, v24
	v_cvt_i32_f32_e32 v24, v53
	v_exp_f32_e32 v4, v4
	v_ldexp_f32 v4, v4, v24
	v_sub_f32_e32 v24, v57, v8
	v_cndmask_b32_e64 v4, 0, v4, s9
	v_mul_f32_e32 v53, 0x3fb8aa3b, v24
	v_cmp_nlt_f32_e64 s9, 0x42b17218, v3
	v_fma_f32 v57, 0x3fb8aa3b, v24, -v53
	v_rndne_f32_e32 v58, v53
	v_cndmask_b32_e64 v3, 0x7f800000, v4, s9
	v_cmp_ngt_f32_e64 s9, 0xc2ce8ed0, v24
	v_fmac_f32_e32 v57, 0x32a5705f, v24
	v_sub_f32_e32 v53, v53, v58
	v_cndmask_b32_e32 v3, 0, v3, vcc_lo
	v_add_f32_e32 v53, v53, v57
	v_cvt_i32_f32_e32 v57, v58
	v_cvt_f16_f32_e32 v4, v3
	v_exp_f32_e32 v53, v53
	v_ldexp_f32 v53, v53, v57
	v_cndmask_b32_e64 v53, 0, v53, s9
	v_cmp_nlt_f32_e64 s9, 0x42b17218, v24
	v_cndmask_b32_e64 v24, 0x7f800000, v53, s9
	v_cndmask_b32_e64 v24, 0, v24, s6
	v_add_f32_e32 v3, v3, v24
	v_cvt_f16_f32_e32 v53, v24
	v_sub_f32_e32 v24, v62, v8
	v_mul_f32_e32 v57, 0x3fb8aa3b, v24
	v_cmp_ngt_f32_e64 s9, 0xc2ce8ed0, v24
	v_fma_f32 v58, 0x3fb8aa3b, v24, -v57
	v_rndne_f32_e32 v61, v57
	v_fmac_f32_e32 v58, 0x32a5705f, v24
	v_sub_f32_e32 v57, v57, v61
	v_add_f32_e32 v57, v57, v58
	v_cvt_i32_f32_e32 v58, v61
	v_exp_f32_e32 v57, v57
	v_ldexp_f32 v57, v57, v58
	v_cndmask_b32_e64 v57, 0, v57, s9
	v_cmp_nlt_f32_e64 s9, 0x42b17218, v24
	v_cndmask_b32_e64 v24, 0x7f800000, v57, s9
	v_cndmask_b32_e64 v24, 0, v24, s7
	v_add_f32_e32 v3, v24, v3
	v_cvt_f16_f32_e32 v61, v24
	v_sub_f32_e32 v24, v55, v8
	v_mul_f32_e32 v55, 0x3fb8aa3b, v24
	v_cmp_ngt_f32_e64 s9, 0xc2ce8ed0, v24
	v_fma_f32 v57, 0x3fb8aa3b, v24, -v55
	v_rndne_f32_e32 v58, v55
	v_fmac_f32_e32 v57, 0x32a5705f, v24
	v_sub_f32_e32 v55, v55, v58
	v_add_f32_e32 v55, v55, v57
	v_cvt_i32_f32_e32 v57, v58
	v_exp_f32_e32 v55, v55
	v_ldexp_f32 v55, v55, v57
	v_cndmask_b32_e64 v55, 0, v55, s9
	v_cmp_nlt_f32_e64 s9, 0x42b17218, v24
	v_cndmask_b32_e64 v24, 0x7f800000, v55, s9
	v_cmp_ngt_f32_e64 s9, 0xc2ce8ed0, v2
	v_cndmask_b32_e64 v55, 0, v24, s8
	v_add_f32_e32 v24, v55, v3
	v_mul_f32_e32 v3, 0x3fb8aa3b, v2
	v_cvt_f16_f32_e32 v55, v55
	v_fma_f32 v57, 0x3fb8aa3b, v2, -v3
	v_rndne_f32_e32 v58, v3
	v_fmac_f32_e32 v57, 0x32a5705f, v2
	v_sub_f32_e32 v3, v3, v58
	v_add_f32_e32 v3, v3, v57
	v_cvt_i32_f32_e32 v57, v58
	v_exp_f32_e32 v3, v3
	v_ldexp_f32 v3, v3, v57
	v_cndmask_b32_e64 v3, 0, v3, s9
	v_cmp_nlt_f32_e64 s9, 0x42b17218, v2
	v_cndmask_b32_e64 v2, 0x7f800000, v3, s9
	v_sub_f32_e32 v3, v11, v9
	v_fmac_f32_e32 v24, v23, v2
	v_cvt_f16_f32_e32 v2, v2
	v_cmp_ngt_f32_e64 s9, 0xc2ce8ed0, v3
	v_mul_u32_u24_sdwa v57, v2, v25 dst_sel:DWORD dst_unused:UNUSED_PAD src0_sel:WORD_0 src1_sel:DWORD
	v_sub_f32_e32 v2, v5, v9
	v_mul_f32_e32 v5, 0x3fb8aa3b, v3
	v_pk_mul_f16 v23, v52, v57
	v_fma_f32 v11, 0x3fb8aa3b, v3, -v5
	v_rndne_f32_e32 v52, v5
	v_fmac_f32_e32 v11, 0x32a5705f, v3
	v_sub_f32_e32 v5, v5, v52
	v_add_f32_e32 v5, v5, v11
	v_cvt_i32_f32_e32 v11, v52
	v_exp_f32_e32 v5, v5
	v_ldexp_f32 v5, v5, v11
	v_cndmask_b32_e64 v5, 0, v5, s9
	v_cmp_nlt_f32_e64 s9, 0x42b17218, v3
	v_cndmask_b32_e64 v3, 0x7f800000, v5, s9
	v_sub_f32_e32 v5, v74, v9
	s_mul_hi_i32 s9, s10, s22
	v_cndmask_b32_e32 v3, 0, v3, vcc_lo
	v_mul_f32_e32 v52, 0x3fb8aa3b, v5
	v_cmp_ngt_f32_e32 vcc_lo, 0xc2ce8ed0, v5
	v_cvt_f16_f32_e32 v11, v3
	v_fma_f32 v58, 0x3fb8aa3b, v5, -v52
	v_rndne_f32_e32 v62, v52
	v_fmac_f32_e32 v58, 0x32a5705f, v5
	v_sub_f32_e32 v52, v52, v62
	v_add_f32_e32 v52, v52, v58
	v_cvt_i32_f32_e32 v58, v62
	v_exp_f32_e32 v52, v52
	v_ldexp_f32 v52, v52, v58
	v_cndmask_b32_e32 v52, 0, v52, vcc_lo
	v_cmp_nlt_f32_e32 vcc_lo, 0x42b17218, v5
	v_cndmask_b32_e32 v5, 0x7f800000, v52, vcc_lo
	v_cndmask_b32_e64 v5, 0, v5, s6
	v_add_f32_e32 v3, v3, v5
	v_cvt_f16_f32_e32 v52, v5
	v_sub_f32_e32 v5, v13, v9
	v_mul_f32_e32 v13, 0x3fb8aa3b, v5
	v_cmp_ngt_f32_e32 vcc_lo, 0xc2ce8ed0, v5
	v_fma_f32 v58, 0x3fb8aa3b, v5, -v13
	v_rndne_f32_e32 v62, v13
	v_fmac_f32_e32 v58, 0x32a5705f, v5
	v_sub_f32_e32 v13, v13, v62
	v_add_f32_e32 v13, v13, v58
	v_cvt_i32_f32_e32 v58, v62
	v_exp_f32_e32 v13, v13
	v_ldexp_f32 v13, v13, v58
	v_cndmask_b32_e32 v13, 0, v13, vcc_lo
	v_cmp_nlt_f32_e32 vcc_lo, 0x42b17218, v5
	v_cndmask_b32_e32 v5, 0x7f800000, v13, vcc_lo
	v_cndmask_b32_e64 v5, 0, v5, s7
	s_mov_b64 s[6:7], src_private_base
	s_lshl_b32 s6, s22, 4
	v_add_f32_e32 v3, v5, v3
	v_cvt_f16_f32_e32 v13, v5
	v_sub_f32_e32 v5, v12, v9
	v_mul_f32_e32 v12, 0x3fb8aa3b, v5
	v_cmp_ngt_f32_e32 vcc_lo, 0xc2ce8ed0, v5
	v_fma_f32 v58, 0x3fb8aa3b, v5, -v12
	v_rndne_f32_e32 v62, v12
	v_fmac_f32_e32 v58, 0x32a5705f, v5
	v_sub_f32_e32 v12, v12, v62
	v_add_f32_e32 v12, v12, v58
	v_cvt_i32_f32_e32 v58, v62
	v_exp_f32_e32 v12, v12
	v_ldexp_f32 v12, v12, v58
	v_cndmask_b32_e32 v12, 0, v12, vcc_lo
	v_cmp_nlt_f32_e32 vcc_lo, 0x42b17218, v5
	v_cndmask_b32_e32 v5, 0x7f800000, v12, vcc_lo
	v_cmp_ngt_f32_e32 vcc_lo, 0xc2ce8ed0, v2
	v_cndmask_b32_e64 v12, 0, v5, s8
	s_mul_i32 s8, s10, s22
	s_lshl_b64 s[8:9], s[8:9], 2
	v_add_f32_e32 v5, v12, v3
	v_mul_f32_e32 v3, 0x3fb8aa3b, v2
	v_cvt_f16_f32_e32 v12, v12
	s_add_u32 s8, s11, s8
	s_addc_u32 s9, s14, s9
	v_fma_f32 v58, 0x3fb8aa3b, v2, -v3
	v_rndne_f32_e32 v62, v3
	v_fmac_f32_e32 v58, 0x32a5705f, v2
	v_sub_f32_e32 v3, v3, v62
	v_add_f32_e32 v3, v3, v58
	v_cvt_i32_f32_e32 v58, v62
	v_exp_f32_e32 v3, v3
	v_ldexp_f32 v3, v3, v58
	v_cndmask_b32_e32 v3, 0, v3, vcc_lo
	v_cmp_nlt_f32_e32 vcc_lo, 0x42b17218, v2
	v_cndmask_b32_e32 v2, 0x7f800000, v3, vcc_lo
	v_pack_b32_f16 v3, v4, v11
	v_lshl_add_u32 v4, v45, 3, v41
	v_fmac_f32_e32 v5, v22, v2
	v_cvt_f16_f32_e32 v2, v2
	v_mul_u32_u24_sdwa v2, v2, v25 dst_sel:DWORD dst_unused:UNUSED_PAD src0_sel:WORD_0 src1_sel:DWORD
	v_pk_mul_f16 v58, v51, v2
	v_pk_mul_f16 v22, v50, v2
	v_add_nc_u32_e32 v50, v41, v37
	v_pack_b32_f16 v2, v64, v44
	v_lshlrev_b32_e32 v44, 2, v39
	ds_write_b64 v50, v[2:3]
	v_pack_b32_f16 v3, v53, v52
	v_pack_b32_f16 v2, v65, v54
	v_mov_b32_e32 v50, 0
	ds_write_b64 v4, v[2:3]
	v_lshl_add_u32 v4, v46, 3, v41
	v_pack_b32_f16 v3, v61, v13
	v_pack_b32_f16 v2, v66, v60
	ds_write_b64 v4, v[2:3]
	v_pack_b32_f16 v3, v55, v12
	v_lshl_add_u32 v55, v1, 1, v38
	v_lshl_add_u32 v4, v63, 3, v41
	v_pack_b32_f16 v2, v10, v59
	v_mul_lo_u32 v1, s22, v55
	v_cmp_gt_i32_e32 vcc_lo, s12, v55
	ds_write_b64 v4, v[2:3]
	buffer_store_dword v50, off, s[0:3], 0
	buffer_store_dword v50, off, s[0:3], 0 offset:4
	buffer_store_dword v50, off, s[0:3], 0 offset:8
	buffer_store_dword v50, off, s[0:3], 0 offset:12
	v_lshl_or_b32 v53, v55, 8, v44
	v_add_nc_u32_e32 v54, 16, v55
	v_add_nc_u32_e32 v51, 32, v55
	;; [unrolled: 1-line block ×3, first 2 shown]
	v_ashrrev_i32_e32 v2, 31, v1
	v_add_nc_u32_e32 v10, s6, v1
	v_lshl_or_b32 v52, v54, 8, v44
	v_lshl_or_b32 v46, v51, 8, v44
	;; [unrolled: 1-line block ×3, first 2 shown]
	v_lshlrev_b64 v[12:13], 2, v[1:2]
	v_add_nc_u32_e32 v38, s6, v10
	v_ashrrev_i32_e32 v11, 31, v10
	v_add_nc_u32_e32 v63, s6, v38
	v_add_co_u32 v1, s6, s8, v12
	v_add_co_ci_u32_e64 v2, null, s9, v13, s6
	v_ashrrev_i32_e32 v39, 31, v38
	v_add_co_u32 v1, s6, v1, v44
	v_add_co_ci_u32_e64 v2, null, 0, v2, s6
	v_ashrrev_i32_e32 v64, 31, v63
	v_cndmask_b32_e32 v1, 0, v1, vcc_lo
	v_cndmask_b32_e32 v2, s7, v2, vcc_lo
	v_cmp_gt_i32_e32 vcc_lo, s12, v54
	flat_load_dwordx4 v[1:4], v[1:2]
	s_waitcnt vmcnt(0) lgkmcnt(0)
	ds_write_b128 v53, v[1:4]
	v_lshlrev_b64 v[3:4], 2, v[10:11]
	buffer_store_dword v50, off, s[0:3], 0
	buffer_store_dword v50, off, s[0:3], 0 offset:4
	buffer_store_dword v50, off, s[0:3], 0 offset:8
	;; [unrolled: 1-line block ×3, first 2 shown]
	v_lshlrev_b64 v[10:11], 2, v[38:39]
	v_add_co_u32 v1, s6, s8, v3
	v_add_co_ci_u32_e64 v2, null, s9, v4, s6
	v_add_co_u32 v1, s6, v1, v44
	v_add_co_ci_u32_e64 v2, null, 0, v2, s6
	v_cndmask_b32_e32 v1, 0, v1, vcc_lo
	v_cndmask_b32_e32 v2, s7, v2, vcc_lo
	v_cmp_gt_i32_e32 vcc_lo, s12, v51
	flat_load_dwordx4 v[59:62], v[1:2]
	v_add_co_u32 v1, s6, s8, v10
	v_add_co_ci_u32_e64 v2, null, s9, v11, s6
	v_add_co_u32 v1, s6, v1, v44
	v_add_co_ci_u32_e64 v2, null, 0, v2, s6
	v_cndmask_b32_e32 v1, 0, v1, vcc_lo
	v_cndmask_b32_e32 v2, s7, v2, vcc_lo
	v_cmp_gt_i32_e32 vcc_lo, s12, v45
	s_waitcnt vmcnt(0) lgkmcnt(0)
	ds_write_b128 v52, v[59:62]
	buffer_store_dword v50, off, s[0:3], 0
	buffer_store_dword v50, off, s[0:3], 0 offset:4
	buffer_store_dword v50, off, s[0:3], 0 offset:8
	;; [unrolled: 1-line block ×3, first 2 shown]
	flat_load_dwordx4 v[59:62], v[1:2]
	v_lshlrev_b64 v[1:2], 2, v[63:64]
	v_add_co_u32 v38, s6, s8, v1
	v_add_co_ci_u32_e64 v39, null, s9, v2, s6
	v_add_co_u32 v38, s6, v38, v44
	v_add_co_ci_u32_e64 v39, null, 0, v39, s6
	s_or_b32 s6, s10, 64
	v_cndmask_b32_e32 v38, 0, v38, vcc_lo
	s_mul_hi_i32 s9, s6, s22
	v_cndmask_b32_e32 v39, s7, v39, vcc_lo
	s_mul_i32 s8, s6, s22
	s_lshl_b64 s[8:9], s[8:9], 2
	s_add_u32 s8, s11, s8
	s_addc_u32 s9, s14, s9
	v_add_co_u32 v12, s6, s8, v12
	v_add_co_ci_u32_e64 v13, null, s9, v13, s6
	s_sub_i32 s10, s12, 64
	v_add_co_u32 v12, s6, v12, v44
	v_cmp_gt_i32_e32 vcc_lo, s10, v55
	v_add_co_ci_u32_e64 v13, null, 0, v13, s6
	v_add_co_u32 v3, s6, s8, v3
	v_cndmask_b32_e32 v12, 0, v12, vcc_lo
	v_cndmask_b32_e32 v13, s7, v13, vcc_lo
	v_add_co_ci_u32_e64 v4, null, s9, v4, s6
	v_add_co_u32 v3, s6, v3, v44
	v_cmp_gt_i32_e32 vcc_lo, s10, v54
	v_add_co_ci_u32_e64 v4, null, 0, v4, s6
	v_cndmask_b32_e32 v3, 0, v3, vcc_lo
	v_cndmask_b32_e32 v4, s7, v4, vcc_lo
	v_cmp_gt_i32_e32 vcc_lo, s10, v51
	s_waitcnt vmcnt(0) lgkmcnt(0)
	ds_write_b128 v46, v[59:62]
	buffer_store_dword v50, off, s[0:3], 0
	buffer_store_dword v50, off, s[0:3], 0 offset:4
	buffer_store_dword v50, off, s[0:3], 0 offset:8
	;; [unrolled: 1-line block ×3, first 2 shown]
	flat_load_dwordx4 v[59:62], v[38:39]
	s_waitcnt vmcnt(0) lgkmcnt(0)
	ds_write_b128 v41, v[59:62]
	s_waitcnt lgkmcnt(0)
	s_waitcnt_vscnt null, 0x0
	s_barrier
	buffer_gl0_inv
	ds_read2_b64 v[59:62], v37 offset1:32
	ds_read_b128 v[63:66], v36 offset:18432
	ds_read_b128 v[67:70], v36 offset:18448
	;; [unrolled: 1-line block ×4, first 2 shown]
	s_waitcnt lgkmcnt(3)
	v_mul_u32_u24_sdwa v38, v63, v25 dst_sel:DWORD dst_unused:UNUSED_PAD src0_sel:WORD_0 src1_sel:DWORD
	v_mul_u32_u24_sdwa v39, v63, v25 dst_sel:DWORD dst_unused:UNUSED_PAD src0_sel:WORD_1 src1_sel:DWORD
	v_mul_u32_u24_sdwa v63, v64, v25 dst_sel:DWORD dst_unused:UNUSED_PAD src0_sel:WORD_0 src1_sel:DWORD
	v_mul_u32_u24_sdwa v64, v64, v25 dst_sel:DWORD dst_unused:UNUSED_PAD src0_sel:WORD_1 src1_sel:DWORD
	v_pk_mul_f16 v79, v59, v38
	v_pk_fma_f16 v38, v60, v38, v40
	v_pk_fma_f16 v23, v60, v63, v23
	;; [unrolled: 1-line block ×3, first 2 shown]
	v_mul_u32_u24_sdwa v40, v65, v25 dst_sel:DWORD dst_unused:UNUSED_PAD src0_sel:WORD_0 src1_sel:DWORD
	v_pk_fma_f16 v42, v49, v42, v79
	v_pk_mul_f16 v49, v59, v39
	v_pk_fma_f16 v39, v60, v39, v43
	v_mul_u32_u24_sdwa v43, v65, v25 dst_sel:DWORD dst_unused:UNUSED_PAD src0_sel:WORD_1 src1_sel:DWORD
	v_pk_fma_f16 v38, v62, v40, v38
	v_pk_fma_f16 v42, v61, v40, v42
	;; [unrolled: 1-line block ×3, first 2 shown]
	v_pk_mul_f16 v49, v59, v63
	v_mul_u32_u24_sdwa v56, v66, v25 dst_sel:DWORD dst_unused:UNUSED_PAD src0_sel:WORD_0 src1_sel:DWORD
	v_pk_fma_f16 v39, v62, v43, v39
	s_waitcnt lgkmcnt(2)
	v_mul_u32_u24_sdwa v40, v67, v25 dst_sel:DWORD dst_unused:UNUSED_PAD src0_sel:WORD_0 src1_sel:DWORD
	v_pk_fma_f16 v48, v61, v43, v48
	v_pk_fma_f16 v47, v47, v57, v49
	;; [unrolled: 1-line block ×3, first 2 shown]
	v_mul_u32_u24_sdwa v57, v66, v25 dst_sel:DWORD dst_unused:UNUSED_PAD src0_sel:WORD_1 src1_sel:DWORD
	v_pk_fma_f16 v23, v62, v56, v23
	v_mul_u32_u24_sdwa v43, v67, v25 dst_sel:DWORD dst_unused:UNUSED_PAD src0_sel:WORD_1 src1_sel:DWORD
	v_pk_fma_f16 v47, v61, v56, v47
	v_mul_u32_u24_sdwa v60, v68, v25 dst_sel:DWORD dst_unused:UNUSED_PAD src0_sel:WORD_0 src1_sel:DWORD
	v_pk_fma_f16 v49, v61, v57, v49
	v_pk_fma_f16 v22, v62, v57, v22
	ds_read2_b64 v[56:59], v37 offset0:64 offset1:96
	v_mul_u32_u24_sdwa v61, v68, v25 dst_sel:DWORD dst_unused:UNUSED_PAD src0_sel:WORD_1 src1_sel:DWORD
	s_waitcnt lgkmcnt(0)
	v_pk_fma_f16 v42, v56, v40, v42
	v_pk_fma_f16 v48, v56, v43, v48
	;; [unrolled: 1-line block ×8, first 2 shown]
	v_mul_u32_u24_sdwa v40, v69, v25 dst_sel:DWORD dst_unused:UNUSED_PAD src0_sel:WORD_0 src1_sel:DWORD
	v_mul_u32_u24_sdwa v43, v69, v25 dst_sel:DWORD dst_unused:UNUSED_PAD src0_sel:WORD_1 src1_sel:DWORD
	v_mul_u32_u24_sdwa v56, v70, v25 dst_sel:DWORD dst_unused:UNUSED_PAD src0_sel:WORD_0 src1_sel:DWORD
	v_mul_u32_u24_sdwa v57, v70, v25 dst_sel:DWORD dst_unused:UNUSED_PAD src0_sel:WORD_1 src1_sel:DWORD
	v_mul_u32_u24_sdwa v60, v72, v25 dst_sel:DWORD dst_unused:UNUSED_PAD src0_sel:WORD_0 src1_sel:DWORD
	v_pk_fma_f16 v42, v58, v40, v42
	v_pk_fma_f16 v48, v58, v43, v48
	;; [unrolled: 1-line block ×8, first 2 shown]
	ds_read2_b64 v[56:59], v37 offset0:128 offset1:160
	v_mul_u32_u24_sdwa v40, v71, v25 dst_sel:DWORD dst_unused:UNUSED_PAD src0_sel:WORD_0 src1_sel:DWORD
	v_mul_u32_u24_sdwa v43, v71, v25 dst_sel:DWORD dst_unused:UNUSED_PAD src0_sel:WORD_1 src1_sel:DWORD
	v_mul_u32_u24_sdwa v61, v72, v25 dst_sel:DWORD dst_unused:UNUSED_PAD src0_sel:WORD_1 src1_sel:DWORD
	s_waitcnt lgkmcnt(0)
	v_pk_fma_f16 v42, v56, v40, v42
	v_pk_fma_f16 v48, v56, v43, v48
	;; [unrolled: 1-line block ×8, first 2 shown]
	v_mul_u32_u24_sdwa v40, v73, v25 dst_sel:DWORD dst_unused:UNUSED_PAD src0_sel:WORD_0 src1_sel:DWORD
	v_mul_u32_u24_sdwa v43, v73, v25 dst_sel:DWORD dst_unused:UNUSED_PAD src0_sel:WORD_1 src1_sel:DWORD
	v_mul_u32_u24_sdwa v56, v74, v25 dst_sel:DWORD dst_unused:UNUSED_PAD src0_sel:WORD_0 src1_sel:DWORD
	v_mul_u32_u24_sdwa v57, v74, v25 dst_sel:DWORD dst_unused:UNUSED_PAD src0_sel:WORD_1 src1_sel:DWORD
	v_mul_u32_u24_sdwa v60, v76, v25 dst_sel:DWORD dst_unused:UNUSED_PAD src0_sel:WORD_0 src1_sel:DWORD
	v_pk_fma_f16 v42, v58, v40, v42
	v_pk_fma_f16 v48, v58, v43, v48
	;; [unrolled: 1-line block ×8, first 2 shown]
	ds_read2_b64 v[56:59], v37 offset0:192 offset1:224
	v_mul_u32_u24_sdwa v40, v75, v25 dst_sel:DWORD dst_unused:UNUSED_PAD src0_sel:WORD_0 src1_sel:DWORD
	v_mul_u32_u24_sdwa v43, v75, v25 dst_sel:DWORD dst_unused:UNUSED_PAD src0_sel:WORD_1 src1_sel:DWORD
	v_mul_u32_u24_sdwa v61, v76, v25 dst_sel:DWORD dst_unused:UNUSED_PAD src0_sel:WORD_1 src1_sel:DWORD
	s_waitcnt lgkmcnt(0)
	v_pk_fma_f16 v42, v56, v40, v42
	v_pk_fma_f16 v38, v57, v40, v38
	v_mul_u32_u24_sdwa v40, v77, v25 dst_sel:DWORD dst_unused:UNUSED_PAD src0_sel:WORD_0 src1_sel:DWORD
	v_pk_fma_f16 v48, v56, v43, v48
	v_pk_fma_f16 v47, v56, v60, v47
	;; [unrolled: 1-line block ×6, first 2 shown]
	v_mul_u32_u24_sdwa v43, v77, v25 dst_sel:DWORD dst_unused:UNUSED_PAD src0_sel:WORD_1 src1_sel:DWORD
	v_mul_u32_u24_sdwa v56, v78, v25 dst_sel:DWORD dst_unused:UNUSED_PAD src0_sel:WORD_0 src1_sel:DWORD
	v_mul_u32_u24_sdwa v57, v78, v25 dst_sel:DWORD dst_unused:UNUSED_PAD src0_sel:WORD_1 src1_sel:DWORD
	v_pk_fma_f16 v64, v58, v40, v42
	v_add_nc_u32_e32 v42, 0x800, v37
	v_pk_fma_f16 v48, v58, v43, v48
	v_pk_fma_f16 v47, v58, v56, v47
	;; [unrolled: 1-line block ×7, first 2 shown]
	ds_read2_b64 v[56:59], v42 offset1:32
	ds_read_b128 v[60:63], v36 offset:18496
	s_waitcnt lgkmcnt(0)
	v_mul_u32_u24_sdwa v40, v60, v25 dst_sel:DWORD dst_unused:UNUSED_PAD src0_sel:WORD_0 src1_sel:DWORD
	v_mul_u32_u24_sdwa v43, v60, v25 dst_sel:DWORD dst_unused:UNUSED_PAD src0_sel:WORD_1 src1_sel:DWORD
	v_mul_u32_u24_sdwa v60, v61, v25 dst_sel:DWORD dst_unused:UNUSED_PAD src0_sel:WORD_0 src1_sel:DWORD
	v_mul_u32_u24_sdwa v61, v61, v25 dst_sel:DWORD dst_unused:UNUSED_PAD src0_sel:WORD_1 src1_sel:DWORD
	v_pk_fma_f16 v64, v56, v40, v64
	v_pk_fma_f16 v48, v56, v43, v48
	v_pk_fma_f16 v47, v56, v60, v47
	v_pk_fma_f16 v49, v56, v61, v49
	v_pk_fma_f16 v38, v57, v40, v38
	v_pk_fma_f16 v39, v57, v43, v39
	v_pk_fma_f16 v23, v57, v60, v23
	v_pk_fma_f16 v22, v57, v61, v22
	v_mul_u32_u24_sdwa v40, v62, v25 dst_sel:DWORD dst_unused:UNUSED_PAD src0_sel:WORD_0 src1_sel:DWORD
	v_mul_u32_u24_sdwa v43, v62, v25 dst_sel:DWORD dst_unused:UNUSED_PAD src0_sel:WORD_1 src1_sel:DWORD
	v_mul_u32_u24_sdwa v56, v63, v25 dst_sel:DWORD dst_unused:UNUSED_PAD src0_sel:WORD_0 src1_sel:DWORD
	v_mul_u32_u24_sdwa v57, v63, v25 dst_sel:DWORD dst_unused:UNUSED_PAD src0_sel:WORD_1 src1_sel:DWORD
	v_pk_fma_f16 v64, v58, v40, v64
	v_pk_fma_f16 v48, v58, v43, v48
	v_pk_fma_f16 v47, v58, v56, v47
	v_pk_fma_f16 v49, v58, v57, v49
	v_pk_fma_f16 v38, v59, v40, v38
	v_pk_fma_f16 v39, v59, v43, v39
	v_pk_fma_f16 v23, v59, v56, v23
	v_pk_fma_f16 v22, v59, v57, v22
	ds_read2_b64 v[56:59], v42 offset0:64 offset1:96
	ds_read_b128 v[60:63], v36 offset:18512
	s_waitcnt lgkmcnt(0)
	v_mul_u32_u24_sdwa v40, v60, v25 dst_sel:DWORD dst_unused:UNUSED_PAD src0_sel:WORD_0 src1_sel:DWORD
	v_mul_u32_u24_sdwa v43, v60, v25 dst_sel:DWORD dst_unused:UNUSED_PAD src0_sel:WORD_1 src1_sel:DWORD
	v_mul_u32_u24_sdwa v60, v61, v25 dst_sel:DWORD dst_unused:UNUSED_PAD src0_sel:WORD_0 src1_sel:DWORD
	v_mul_u32_u24_sdwa v61, v61, v25 dst_sel:DWORD dst_unused:UNUSED_PAD src0_sel:WORD_1 src1_sel:DWORD
	v_pk_fma_f16 v64, v56, v40, v64
	v_pk_fma_f16 v48, v56, v43, v48
	v_pk_fma_f16 v47, v56, v60, v47
	v_pk_fma_f16 v49, v56, v61, v49
	v_pk_fma_f16 v38, v57, v40, v38
	v_pk_fma_f16 v39, v57, v43, v39
	v_pk_fma_f16 v23, v57, v60, v23
	v_pk_fma_f16 v22, v57, v61, v22
	v_mul_u32_u24_sdwa v40, v62, v25 dst_sel:DWORD dst_unused:UNUSED_PAD src0_sel:WORD_0 src1_sel:DWORD
	v_mul_u32_u24_sdwa v43, v62, v25 dst_sel:DWORD dst_unused:UNUSED_PAD src0_sel:WORD_1 src1_sel:DWORD
	v_mul_u32_u24_sdwa v56, v63, v25 dst_sel:DWORD dst_unused:UNUSED_PAD src0_sel:WORD_0 src1_sel:DWORD
	v_mul_u32_u24_sdwa v57, v63, v25 dst_sel:DWORD dst_unused:UNUSED_PAD src0_sel:WORD_1 src1_sel:DWORD
	v_pk_fma_f16 v64, v58, v40, v64
	v_pk_fma_f16 v48, v58, v43, v48
	v_pk_fma_f16 v47, v58, v56, v47
	v_pk_fma_f16 v49, v58, v57, v49
	v_pk_fma_f16 v38, v59, v40, v38
	v_pk_fma_f16 v39, v59, v43, v39
	v_pk_fma_f16 v23, v59, v56, v23
	v_pk_fma_f16 v22, v59, v57, v22
	ds_read2_b64 v[56:59], v42 offset0:128 offset1:160
	;; [unrolled: 27-line block ×3, first 2 shown]
	ds_read_b128 v[60:63], v36 offset:18544
	s_waitcnt lgkmcnt(0)
	v_mul_u32_u24_sdwa v43, v60, v25 dst_sel:DWORD dst_unused:UNUSED_PAD src0_sel:WORD_1 src1_sel:DWORD
	v_mul_u32_u24_sdwa v40, v60, v25 dst_sel:DWORD dst_unused:UNUSED_PAD src0_sel:WORD_0 src1_sel:DWORD
	v_mul_u32_u24_sdwa v60, v61, v25 dst_sel:DWORD dst_unused:UNUSED_PAD src0_sel:WORD_0 src1_sel:DWORD
	v_mul_u32_u24_sdwa v61, v61, v25 dst_sel:DWORD dst_unused:UNUSED_PAD src0_sel:WORD_1 src1_sel:DWORD
	v_pk_fma_f16 v48, v56, v43, v48
	v_pk_fma_f16 v39, v57, v43, v39
	v_mul_u32_u24_sdwa v43, v62, v25 dst_sel:DWORD dst_unused:UNUSED_PAD src0_sel:WORD_1 src1_sel:DWORD
	v_pk_fma_f16 v64, v56, v40, v64
	v_pk_fma_f16 v47, v56, v60, v47
	v_pk_fma_f16 v49, v56, v61, v49
	v_pk_fma_f16 v38, v57, v40, v38
	v_pk_fma_f16 v23, v57, v60, v23
	v_pk_fma_f16 v22, v57, v61, v22
	v_mul_u32_u24_sdwa v40, v62, v25 dst_sel:DWORD dst_unused:UNUSED_PAD src0_sel:WORD_0 src1_sel:DWORD
	v_mul_u32_u24_sdwa v56, v63, v25 dst_sel:DWORD dst_unused:UNUSED_PAD src0_sel:WORD_0 src1_sel:DWORD
	v_mul_u32_u24_sdwa v57, v63, v25 dst_sel:DWORD dst_unused:UNUSED_PAD src0_sel:WORD_1 src1_sel:DWORD
	v_pk_fma_f16 v48, v58, v43, v48
	v_pk_fma_f16 v39, v59, v43, v39
	v_add_nc_u32_e32 v43, 0x1000, v37
	v_pk_fma_f16 v64, v58, v40, v64
	v_pk_fma_f16 v47, v58, v56, v47
	;; [unrolled: 1-line block ×6, first 2 shown]
	ds_read2_b64 v[56:59], v43 offset1:32
	ds_read_b128 v[60:63], v36 offset:18560
	s_waitcnt lgkmcnt(0)
	v_mul_u32_u24_sdwa v40, v60, v25 dst_sel:DWORD dst_unused:UNUSED_PAD src0_sel:WORD_0 src1_sel:DWORD
	v_mul_u32_u24_sdwa v60, v60, v25 dst_sel:DWORD dst_unused:UNUSED_PAD src0_sel:WORD_1 src1_sel:DWORD
	v_mul_u32_u24_sdwa v65, v61, v25 dst_sel:DWORD dst_unused:UNUSED_PAD src0_sel:WORD_0 src1_sel:DWORD
	v_mul_u32_u24_sdwa v61, v61, v25 dst_sel:DWORD dst_unused:UNUSED_PAD src0_sel:WORD_1 src1_sel:DWORD
	v_pk_fma_f16 v64, v56, v40, v64
	v_pk_fma_f16 v48, v56, v60, v48
	v_pk_fma_f16 v47, v56, v65, v47
	v_pk_fma_f16 v49, v56, v61, v49
	v_pk_fma_f16 v38, v57, v40, v38
	v_pk_fma_f16 v39, v57, v60, v39
	v_pk_fma_f16 v23, v57, v65, v23
	v_pk_fma_f16 v22, v57, v61, v22
	v_mul_u32_u24_sdwa v40, v62, v25 dst_sel:DWORD dst_unused:UNUSED_PAD src0_sel:WORD_0 src1_sel:DWORD
	v_mul_u32_u24_sdwa v56, v62, v25 dst_sel:DWORD dst_unused:UNUSED_PAD src0_sel:WORD_1 src1_sel:DWORD
	v_mul_u32_u24_sdwa v57, v63, v25 dst_sel:DWORD dst_unused:UNUSED_PAD src0_sel:WORD_0 src1_sel:DWORD
	v_mul_u32_u24_sdwa v60, v63, v25 dst_sel:DWORD dst_unused:UNUSED_PAD src0_sel:WORD_1 src1_sel:DWORD
	v_pk_fma_f16 v64, v58, v40, v64
	v_pk_fma_f16 v48, v58, v56, v48
	v_pk_fma_f16 v47, v58, v57, v47
	v_pk_fma_f16 v49, v58, v60, v49
	v_pk_fma_f16 v38, v59, v40, v38
	v_pk_fma_f16 v39, v59, v56, v39
	v_pk_fma_f16 v23, v59, v57, v23
	v_pk_fma_f16 v22, v59, v60, v22
	ds_read2_b64 v[56:59], v43 offset0:64 offset1:96
	ds_read_b128 v[60:63], v36 offset:18576
	s_waitcnt lgkmcnt(0)
	v_mul_u32_u24_sdwa v40, v60, v25 dst_sel:DWORD dst_unused:UNUSED_PAD src0_sel:WORD_0 src1_sel:DWORD
	v_mul_u32_u24_sdwa v60, v60, v25 dst_sel:DWORD dst_unused:UNUSED_PAD src0_sel:WORD_1 src1_sel:DWORD
	v_mul_u32_u24_sdwa v65, v61, v25 dst_sel:DWORD dst_unused:UNUSED_PAD src0_sel:WORD_0 src1_sel:DWORD
	v_mul_u32_u24_sdwa v61, v61, v25 dst_sel:DWORD dst_unused:UNUSED_PAD src0_sel:WORD_1 src1_sel:DWORD
	v_pk_fma_f16 v64, v56, v40, v64
	v_pk_fma_f16 v48, v56, v60, v48
	v_pk_fma_f16 v47, v56, v65, v47
	v_pk_fma_f16 v49, v56, v61, v49
	v_pk_fma_f16 v38, v57, v40, v38
	v_pk_fma_f16 v39, v57, v60, v39
	v_pk_fma_f16 v23, v57, v65, v23
	v_pk_fma_f16 v22, v57, v61, v22
	v_mul_u32_u24_sdwa v40, v62, v25 dst_sel:DWORD dst_unused:UNUSED_PAD src0_sel:WORD_0 src1_sel:DWORD
	v_mul_u32_u24_sdwa v56, v62, v25 dst_sel:DWORD dst_unused:UNUSED_PAD src0_sel:WORD_1 src1_sel:DWORD
	v_mul_u32_u24_sdwa v57, v63, v25 dst_sel:DWORD dst_unused:UNUSED_PAD src0_sel:WORD_0 src1_sel:DWORD
	v_mul_u32_u24_sdwa v60, v63, v25 dst_sel:DWORD dst_unused:UNUSED_PAD src0_sel:WORD_1 src1_sel:DWORD
	v_pk_fma_f16 v64, v58, v40, v64
	v_pk_fma_f16 v48, v58, v56, v48
	v_pk_fma_f16 v47, v58, v57, v47
	v_pk_fma_f16 v49, v58, v60, v49
	v_pk_fma_f16 v38, v59, v40, v38
	v_pk_fma_f16 v39, v59, v56, v39
	v_pk_fma_f16 v23, v59, v57, v23
	v_pk_fma_f16 v22, v59, v60, v22
	ds_read2_b64 v[56:59], v43 offset0:128 offset1:160
	ds_read_b128 v[60:63], v36 offset:18592
	s_waitcnt lgkmcnt(0)
	v_mul_u32_u24_sdwa v40, v60, v25 dst_sel:DWORD dst_unused:UNUSED_PAD src0_sel:WORD_0 src1_sel:DWORD
	v_mul_u32_u24_sdwa v60, v60, v25 dst_sel:DWORD dst_unused:UNUSED_PAD src0_sel:WORD_1 src1_sel:DWORD
	v_mul_u32_u24_sdwa v65, v61, v25 dst_sel:DWORD dst_unused:UNUSED_PAD src0_sel:WORD_0 src1_sel:DWORD
	v_mul_u32_u24_sdwa v61, v61, v25 dst_sel:DWORD dst_unused:UNUSED_PAD src0_sel:WORD_1 src1_sel:DWORD
	v_pk_fma_f16 v64, v56, v40, v64
	v_pk_fma_f16 v48, v56, v60, v48
	v_pk_fma_f16 v47, v56, v65, v47
	v_pk_fma_f16 v49, v56, v61, v49
	v_pk_fma_f16 v38, v57, v40, v38
	v_pk_fma_f16 v39, v57, v60, v39
	v_pk_fma_f16 v23, v57, v65, v23
	v_pk_fma_f16 v22, v57, v61, v22
	v_mul_u32_u24_sdwa v40, v62, v25 dst_sel:DWORD dst_unused:UNUSED_PAD src0_sel:WORD_0 src1_sel:DWORD
	v_mul_u32_u24_sdwa v56, v62, v25 dst_sel:DWORD dst_unused:UNUSED_PAD src0_sel:WORD_1 src1_sel:DWORD
	v_mul_u32_u24_sdwa v57, v63, v25 dst_sel:DWORD dst_unused:UNUSED_PAD src0_sel:WORD_0 src1_sel:DWORD
	v_mul_u32_u24_sdwa v60, v63, v25 dst_sel:DWORD dst_unused:UNUSED_PAD src0_sel:WORD_1 src1_sel:DWORD
	v_pk_fma_f16 v64, v58, v40, v64
	v_pk_fma_f16 v48, v58, v56, v48
	v_pk_fma_f16 v47, v58, v57, v47
	v_pk_fma_f16 v49, v58, v60, v49
	v_pk_fma_f16 v38, v59, v40, v38
	v_pk_fma_f16 v39, v59, v56, v39
	v_pk_fma_f16 v23, v59, v57, v23
	v_pk_fma_f16 v22, v59, v60, v22
	ds_read2_b64 v[56:59], v43 offset0:192 offset1:224
	ds_read_b128 v[60:63], v36 offset:18608
	s_waitcnt lgkmcnt(0)
	v_mul_u32_u24_sdwa v40, v60, v25 dst_sel:DWORD dst_unused:UNUSED_PAD src0_sel:WORD_0 src1_sel:DWORD
	v_mul_u32_u24_sdwa v60, v60, v25 dst_sel:DWORD dst_unused:UNUSED_PAD src0_sel:WORD_1 src1_sel:DWORD
	v_mul_u32_u24_sdwa v65, v61, v25 dst_sel:DWORD dst_unused:UNUSED_PAD src0_sel:WORD_0 src1_sel:DWORD
	v_mul_u32_u24_sdwa v61, v61, v25 dst_sel:DWORD dst_unused:UNUSED_PAD src0_sel:WORD_1 src1_sel:DWORD
	v_pk_fma_f16 v64, v56, v40, v64
	v_pk_fma_f16 v38, v57, v40, v38
	v_mul_u32_u24_sdwa v40, v62, v25 dst_sel:DWORD dst_unused:UNUSED_PAD src0_sel:WORD_0 src1_sel:DWORD
	v_pk_fma_f16 v48, v56, v60, v48
	v_pk_fma_f16 v47, v56, v65, v47
	;; [unrolled: 1-line block ×6, first 2 shown]
	v_mul_u32_u24_sdwa v56, v62, v25 dst_sel:DWORD dst_unused:UNUSED_PAD src0_sel:WORD_1 src1_sel:DWORD
	v_mul_u32_u24_sdwa v57, v63, v25 dst_sel:DWORD dst_unused:UNUSED_PAD src0_sel:WORD_0 src1_sel:DWORD
	v_mul_u32_u24_sdwa v60, v63, v25 dst_sel:DWORD dst_unused:UNUSED_PAD src0_sel:WORD_1 src1_sel:DWORD
	v_pk_fma_f16 v64, v58, v40, v64
	v_pk_fma_f16 v38, v59, v40, v38
	v_add_nc_u32_e32 v40, 0x1800, v37
	v_pk_fma_f16 v48, v58, v56, v48
	v_pk_fma_f16 v47, v58, v57, v47
	;; [unrolled: 1-line block ×6, first 2 shown]
	ds_read2_b64 v[56:59], v40 offset1:32
	ds_read_b128 v[60:63], v36 offset:18624
	s_waitcnt lgkmcnt(0)
	v_mul_u32_u24_sdwa v65, v60, v25 dst_sel:DWORD dst_unused:UNUSED_PAD src0_sel:WORD_0 src1_sel:DWORD
	v_mul_u32_u24_sdwa v60, v60, v25 dst_sel:DWORD dst_unused:UNUSED_PAD src0_sel:WORD_1 src1_sel:DWORD
	v_mul_u32_u24_sdwa v66, v61, v25 dst_sel:DWORD dst_unused:UNUSED_PAD src0_sel:WORD_0 src1_sel:DWORD
	v_mul_u32_u24_sdwa v61, v61, v25 dst_sel:DWORD dst_unused:UNUSED_PAD src0_sel:WORD_1 src1_sel:DWORD
	v_pk_fma_f16 v64, v56, v65, v64
	v_pk_fma_f16 v48, v56, v60, v48
	v_pk_fma_f16 v47, v56, v66, v47
	v_pk_fma_f16 v49, v56, v61, v49
	v_pk_fma_f16 v38, v57, v65, v38
	v_pk_fma_f16 v39, v57, v60, v39
	v_pk_fma_f16 v23, v57, v66, v23
	v_pk_fma_f16 v22, v57, v61, v22
	v_mul_u32_u24_sdwa v56, v62, v25 dst_sel:DWORD dst_unused:UNUSED_PAD src0_sel:WORD_0 src1_sel:DWORD
	v_mul_u32_u24_sdwa v57, v62, v25 dst_sel:DWORD dst_unused:UNUSED_PAD src0_sel:WORD_1 src1_sel:DWORD
	v_mul_u32_u24_sdwa v60, v63, v25 dst_sel:DWORD dst_unused:UNUSED_PAD src0_sel:WORD_0 src1_sel:DWORD
	v_mul_u32_u24_sdwa v61, v63, v25 dst_sel:DWORD dst_unused:UNUSED_PAD src0_sel:WORD_1 src1_sel:DWORD
	v_pk_fma_f16 v64, v58, v56, v64
	v_pk_fma_f16 v48, v58, v57, v48
	v_pk_fma_f16 v47, v58, v60, v47
	v_pk_fma_f16 v49, v58, v61, v49
	v_pk_fma_f16 v38, v59, v56, v38
	v_pk_fma_f16 v39, v59, v57, v39
	v_pk_fma_f16 v23, v59, v60, v23
	v_pk_fma_f16 v22, v59, v61, v22
	ds_read2_b64 v[56:59], v40 offset0:64 offset1:96
	ds_read_b128 v[60:63], v36 offset:18640
	s_waitcnt lgkmcnt(0)
	v_mul_u32_u24_sdwa v65, v60, v25 dst_sel:DWORD dst_unused:UNUSED_PAD src0_sel:WORD_0 src1_sel:DWORD
	v_mul_u32_u24_sdwa v60, v60, v25 dst_sel:DWORD dst_unused:UNUSED_PAD src0_sel:WORD_1 src1_sel:DWORD
	v_mul_u32_u24_sdwa v66, v61, v25 dst_sel:DWORD dst_unused:UNUSED_PAD src0_sel:WORD_0 src1_sel:DWORD
	v_mul_u32_u24_sdwa v61, v61, v25 dst_sel:DWORD dst_unused:UNUSED_PAD src0_sel:WORD_1 src1_sel:DWORD
	v_pk_fma_f16 v64, v56, v65, v64
	v_pk_fma_f16 v48, v56, v60, v48
	v_pk_fma_f16 v47, v56, v66, v47
	v_pk_fma_f16 v49, v56, v61, v49
	v_pk_fma_f16 v38, v57, v65, v38
	v_pk_fma_f16 v39, v57, v60, v39
	v_pk_fma_f16 v23, v57, v66, v23
	v_pk_fma_f16 v22, v57, v61, v22
	v_mul_u32_u24_sdwa v56, v62, v25 dst_sel:DWORD dst_unused:UNUSED_PAD src0_sel:WORD_0 src1_sel:DWORD
	v_mul_u32_u24_sdwa v57, v62, v25 dst_sel:DWORD dst_unused:UNUSED_PAD src0_sel:WORD_1 src1_sel:DWORD
	v_mul_u32_u24_sdwa v60, v63, v25 dst_sel:DWORD dst_unused:UNUSED_PAD src0_sel:WORD_0 src1_sel:DWORD
	v_mul_u32_u24_sdwa v61, v63, v25 dst_sel:DWORD dst_unused:UNUSED_PAD src0_sel:WORD_1 src1_sel:DWORD
	v_pk_fma_f16 v64, v58, v56, v64
	v_pk_fma_f16 v48, v58, v57, v48
	v_pk_fma_f16 v47, v58, v60, v47
	v_pk_fma_f16 v49, v58, v61, v49
	v_pk_fma_f16 v38, v59, v56, v38
	v_pk_fma_f16 v39, v59, v57, v39
	v_pk_fma_f16 v23, v59, v60, v23
	v_pk_fma_f16 v22, v59, v61, v22
	ds_read2_b64 v[56:59], v40 offset0:128 offset1:160
	ds_read_b128 v[60:63], v36 offset:18656
	s_waitcnt lgkmcnt(0)
	v_mul_u32_u24_sdwa v65, v60, v25 dst_sel:DWORD dst_unused:UNUSED_PAD src0_sel:WORD_0 src1_sel:DWORD
	v_mul_u32_u24_sdwa v60, v60, v25 dst_sel:DWORD dst_unused:UNUSED_PAD src0_sel:WORD_1 src1_sel:DWORD
	v_mul_u32_u24_sdwa v66, v61, v25 dst_sel:DWORD dst_unused:UNUSED_PAD src0_sel:WORD_0 src1_sel:DWORD
	v_mul_u32_u24_sdwa v61, v61, v25 dst_sel:DWORD dst_unused:UNUSED_PAD src0_sel:WORD_1 src1_sel:DWORD
	v_pk_fma_f16 v64, v56, v65, v64
	v_pk_fma_f16 v48, v56, v60, v48
	v_pk_fma_f16 v47, v56, v66, v47
	v_pk_fma_f16 v49, v56, v61, v49
	v_pk_fma_f16 v38, v57, v65, v38
	v_pk_fma_f16 v39, v57, v60, v39
	v_pk_fma_f16 v23, v57, v66, v23
	v_pk_fma_f16 v22, v57, v61, v22
	v_mul_u32_u24_sdwa v56, v62, v25 dst_sel:DWORD dst_unused:UNUSED_PAD src0_sel:WORD_0 src1_sel:DWORD
	v_mul_u32_u24_sdwa v57, v62, v25 dst_sel:DWORD dst_unused:UNUSED_PAD src0_sel:WORD_1 src1_sel:DWORD
	v_mul_u32_u24_sdwa v60, v63, v25 dst_sel:DWORD dst_unused:UNUSED_PAD src0_sel:WORD_0 src1_sel:DWORD
	v_mul_u32_u24_sdwa v61, v63, v25 dst_sel:DWORD dst_unused:UNUSED_PAD src0_sel:WORD_1 src1_sel:DWORD
	v_pk_fma_f16 v64, v58, v56, v64
	v_pk_fma_f16 v48, v58, v57, v48
	v_pk_fma_f16 v47, v58, v60, v47
	v_pk_fma_f16 v49, v58, v61, v49
	v_pk_fma_f16 v38, v59, v56, v38
	v_pk_fma_f16 v39, v59, v57, v39
	v_pk_fma_f16 v23, v59, v60, v23
	v_pk_fma_f16 v22, v59, v61, v22
	ds_read2_b64 v[56:59], v40 offset0:192 offset1:224
	ds_read_b128 v[60:63], v36 offset:18672
	s_waitcnt lgkmcnt(0)
	v_mul_u32_u24_sdwa v65, v60, v25 dst_sel:DWORD dst_unused:UNUSED_PAD src0_sel:WORD_0 src1_sel:DWORD
	v_mul_u32_u24_sdwa v60, v60, v25 dst_sel:DWORD dst_unused:UNUSED_PAD src0_sel:WORD_1 src1_sel:DWORD
	v_mul_u32_u24_sdwa v66, v61, v25 dst_sel:DWORD dst_unused:UNUSED_PAD src0_sel:WORD_0 src1_sel:DWORD
	v_mul_u32_u24_sdwa v61, v61, v25 dst_sel:DWORD dst_unused:UNUSED_PAD src0_sel:WORD_1 src1_sel:DWORD
	v_pk_fma_f16 v38, v57, v65, v38
	v_pk_fma_f16 v39, v57, v60, v39
	;; [unrolled: 1-line block ×4, first 2 shown]
	v_mul_u32_u24_sdwa v57, v62, v25 dst_sel:DWORD dst_unused:UNUSED_PAD src0_sel:WORD_1 src1_sel:DWORD
	v_pk_fma_f16 v64, v56, v65, v64
	v_pk_fma_f16 v48, v56, v60, v48
	;; [unrolled: 1-line block ×4, first 2 shown]
	v_mul_u32_u24_sdwa v56, v62, v25 dst_sel:DWORD dst_unused:UNUSED_PAD src0_sel:WORD_0 src1_sel:DWORD
	v_mul_u32_u24_sdwa v60, v63, v25 dst_sel:DWORD dst_unused:UNUSED_PAD src0_sel:WORD_0 src1_sel:DWORD
	v_mul_u32_u24_sdwa v61, v63, v25 dst_sel:DWORD dst_unused:UNUSED_PAD src0_sel:WORD_1 src1_sel:DWORD
	v_pk_fma_f16 v65, v59, v57, v39
	v_add_nc_u32_e32 v39, 0x2000, v37
	v_pk_fma_f16 v64, v58, v56, v64
	v_pk_fma_f16 v48, v58, v57, v48
	;; [unrolled: 1-line block ×7, first 2 shown]
	ds_read2_b64 v[56:59], v39 offset1:32
	ds_read_b128 v[60:63], v36 offset:18688
	s_waitcnt lgkmcnt(0)
	v_mul_u32_u24_sdwa v66, v60, v25 dst_sel:DWORD dst_unused:UNUSED_PAD src0_sel:WORD_0 src1_sel:DWORD
	v_mul_u32_u24_sdwa v60, v60, v25 dst_sel:DWORD dst_unused:UNUSED_PAD src0_sel:WORD_1 src1_sel:DWORD
	v_mul_u32_u24_sdwa v67, v61, v25 dst_sel:DWORD dst_unused:UNUSED_PAD src0_sel:WORD_0 src1_sel:DWORD
	v_mul_u32_u24_sdwa v61, v61, v25 dst_sel:DWORD dst_unused:UNUSED_PAD src0_sel:WORD_1 src1_sel:DWORD
	v_pk_fma_f16 v64, v56, v66, v64
	v_pk_fma_f16 v48, v56, v60, v48
	v_pk_fma_f16 v47, v56, v67, v47
	v_pk_fma_f16 v49, v56, v61, v49
	v_pk_fma_f16 v38, v57, v66, v38
	v_pk_fma_f16 v56, v57, v60, v65
	v_pk_fma_f16 v23, v57, v67, v23
	v_pk_fma_f16 v22, v57, v61, v22
	v_mul_u32_u24_sdwa v57, v62, v25 dst_sel:DWORD dst_unused:UNUSED_PAD src0_sel:WORD_0 src1_sel:DWORD
	v_mul_u32_u24_sdwa v60, v62, v25 dst_sel:DWORD dst_unused:UNUSED_PAD src0_sel:WORD_1 src1_sel:DWORD
	v_mul_u32_u24_sdwa v61, v63, v25 dst_sel:DWORD dst_unused:UNUSED_PAD src0_sel:WORD_0 src1_sel:DWORD
	v_mul_u32_u24_sdwa v62, v63, v25 dst_sel:DWORD dst_unused:UNUSED_PAD src0_sel:WORD_1 src1_sel:DWORD
	v_pk_fma_f16 v64, v58, v57, v64
	v_pk_fma_f16 v48, v58, v60, v48
	v_pk_fma_f16 v47, v58, v61, v47
	v_pk_fma_f16 v49, v58, v62, v49
	v_pk_fma_f16 v38, v59, v57, v38
	v_pk_fma_f16 v65, v59, v60, v56
	v_pk_fma_f16 v23, v59, v61, v23
	v_pk_fma_f16 v22, v59, v62, v22
	ds_read2_b64 v[56:59], v39 offset0:64 offset1:96
	ds_read_b128 v[60:63], v36 offset:18704
	s_waitcnt lgkmcnt(0)
	v_mul_u32_u24_sdwa v66, v60, v25 dst_sel:DWORD dst_unused:UNUSED_PAD src0_sel:WORD_0 src1_sel:DWORD
	v_mul_u32_u24_sdwa v60, v60, v25 dst_sel:DWORD dst_unused:UNUSED_PAD src0_sel:WORD_1 src1_sel:DWORD
	v_mul_u32_u24_sdwa v67, v61, v25 dst_sel:DWORD dst_unused:UNUSED_PAD src0_sel:WORD_0 src1_sel:DWORD
	v_mul_u32_u24_sdwa v61, v61, v25 dst_sel:DWORD dst_unused:UNUSED_PAD src0_sel:WORD_1 src1_sel:DWORD
	v_pk_fma_f16 v64, v56, v66, v64
	v_pk_fma_f16 v48, v56, v60, v48
	v_pk_fma_f16 v47, v56, v67, v47
	v_pk_fma_f16 v49, v56, v61, v49
	v_pk_fma_f16 v38, v57, v66, v38
	v_pk_fma_f16 v56, v57, v60, v65
	v_pk_fma_f16 v23, v57, v67, v23
	v_pk_fma_f16 v22, v57, v61, v22
	v_mul_u32_u24_sdwa v57, v62, v25 dst_sel:DWORD dst_unused:UNUSED_PAD src0_sel:WORD_0 src1_sel:DWORD
	v_mul_u32_u24_sdwa v60, v62, v25 dst_sel:DWORD dst_unused:UNUSED_PAD src0_sel:WORD_1 src1_sel:DWORD
	v_mul_u32_u24_sdwa v61, v63, v25 dst_sel:DWORD dst_unused:UNUSED_PAD src0_sel:WORD_0 src1_sel:DWORD
	v_mul_u32_u24_sdwa v62, v63, v25 dst_sel:DWORD dst_unused:UNUSED_PAD src0_sel:WORD_1 src1_sel:DWORD
	v_pk_fma_f16 v64, v58, v57, v64
	v_pk_fma_f16 v48, v58, v60, v48
	v_pk_fma_f16 v47, v58, v61, v47
	v_pk_fma_f16 v49, v58, v62, v49
	v_pk_fma_f16 v38, v59, v57, v38
	v_pk_fma_f16 v65, v59, v60, v56
	v_pk_fma_f16 v23, v59, v61, v23
	v_pk_fma_f16 v22, v59, v62, v22
	ds_read2_b64 v[56:59], v39 offset0:128 offset1:160
	;; [unrolled: 27-line block ×3, first 2 shown]
	ds_read_b128 v[60:63], v36 offset:18736
	s_waitcnt lgkmcnt(0)
	v_mul_u32_u24_sdwa v66, v60, v25 dst_sel:DWORD dst_unused:UNUSED_PAD src0_sel:WORD_0 src1_sel:DWORD
	v_mul_u32_u24_sdwa v60, v60, v25 dst_sel:DWORD dst_unused:UNUSED_PAD src0_sel:WORD_1 src1_sel:DWORD
	v_mul_u32_u24_sdwa v67, v61, v25 dst_sel:DWORD dst_unused:UNUSED_PAD src0_sel:WORD_0 src1_sel:DWORD
	v_mul_u32_u24_sdwa v61, v61, v25 dst_sel:DWORD dst_unused:UNUSED_PAD src0_sel:WORD_1 src1_sel:DWORD
	v_pk_fma_f16 v64, v56, v66, v64
	v_pk_fma_f16 v48, v56, v60, v48
	;; [unrolled: 1-line block ×8, first 2 shown]
	v_mul_u32_u24_sdwa v57, v62, v25 dst_sel:DWORD dst_unused:UNUSED_PAD src0_sel:WORD_0 src1_sel:DWORD
	v_mul_u32_u24_sdwa v60, v62, v25 dst_sel:DWORD dst_unused:UNUSED_PAD src0_sel:WORD_1 src1_sel:DWORD
	v_mul_u32_u24_sdwa v61, v63, v25 dst_sel:DWORD dst_unused:UNUSED_PAD src0_sel:WORD_0 src1_sel:DWORD
	v_mul_u32_u24_sdwa v62, v63, v25 dst_sel:DWORD dst_unused:UNUSED_PAD src0_sel:WORD_1 src1_sel:DWORD
	v_pk_fma_f16 v65, v59, v57, v38
	v_add_nc_u32_e32 v38, 0x2800, v37
	v_pk_fma_f16 v64, v58, v57, v64
	v_pk_fma_f16 v48, v58, v60, v48
	;; [unrolled: 1-line block ×7, first 2 shown]
	ds_read2_b64 v[56:59], v38 offset1:32
	ds_read_b128 v[60:63], v36 offset:18752
	s_waitcnt lgkmcnt(0)
	v_mul_u32_u24_sdwa v67, v60, v25 dst_sel:DWORD dst_unused:UNUSED_PAD src0_sel:WORD_0 src1_sel:DWORD
	v_mul_u32_u24_sdwa v60, v60, v25 dst_sel:DWORD dst_unused:UNUSED_PAD src0_sel:WORD_1 src1_sel:DWORD
	v_mul_u32_u24_sdwa v68, v61, v25 dst_sel:DWORD dst_unused:UNUSED_PAD src0_sel:WORD_0 src1_sel:DWORD
	v_mul_u32_u24_sdwa v61, v61, v25 dst_sel:DWORD dst_unused:UNUSED_PAD src0_sel:WORD_1 src1_sel:DWORD
	v_pk_fma_f16 v64, v56, v67, v64
	v_pk_fma_f16 v48, v56, v60, v48
	v_pk_fma_f16 v47, v56, v68, v47
	v_pk_fma_f16 v49, v56, v61, v49
	v_pk_fma_f16 v56, v57, v67, v65
	v_pk_fma_f16 v60, v57, v60, v66
	v_pk_fma_f16 v23, v57, v68, v23
	v_pk_fma_f16 v22, v57, v61, v22
	v_mul_u32_u24_sdwa v57, v62, v25 dst_sel:DWORD dst_unused:UNUSED_PAD src0_sel:WORD_0 src1_sel:DWORD
	v_mul_u32_u24_sdwa v61, v62, v25 dst_sel:DWORD dst_unused:UNUSED_PAD src0_sel:WORD_1 src1_sel:DWORD
	v_mul_u32_u24_sdwa v62, v63, v25 dst_sel:DWORD dst_unused:UNUSED_PAD src0_sel:WORD_0 src1_sel:DWORD
	v_mul_u32_u24_sdwa v63, v63, v25 dst_sel:DWORD dst_unused:UNUSED_PAD src0_sel:WORD_1 src1_sel:DWORD
	v_pk_fma_f16 v64, v58, v57, v64
	v_pk_fma_f16 v48, v58, v61, v48
	v_pk_fma_f16 v47, v58, v62, v47
	v_pk_fma_f16 v49, v58, v63, v49
	v_pk_fma_f16 v65, v59, v57, v56
	v_pk_fma_f16 v66, v59, v61, v60
	v_pk_fma_f16 v23, v59, v62, v23
	v_pk_fma_f16 v22, v59, v63, v22
	ds_read2_b64 v[56:59], v38 offset0:64 offset1:96
	ds_read_b128 v[60:63], v36 offset:18768
	s_waitcnt lgkmcnt(0)
	v_mul_u32_u24_sdwa v67, v60, v25 dst_sel:DWORD dst_unused:UNUSED_PAD src0_sel:WORD_0 src1_sel:DWORD
	v_mul_u32_u24_sdwa v60, v60, v25 dst_sel:DWORD dst_unused:UNUSED_PAD src0_sel:WORD_1 src1_sel:DWORD
	v_mul_u32_u24_sdwa v68, v61, v25 dst_sel:DWORD dst_unused:UNUSED_PAD src0_sel:WORD_0 src1_sel:DWORD
	v_mul_u32_u24_sdwa v61, v61, v25 dst_sel:DWORD dst_unused:UNUSED_PAD src0_sel:WORD_1 src1_sel:DWORD
	v_pk_fma_f16 v64, v56, v67, v64
	v_pk_fma_f16 v48, v56, v60, v48
	v_pk_fma_f16 v47, v56, v68, v47
	v_pk_fma_f16 v49, v56, v61, v49
	v_pk_fma_f16 v56, v57, v67, v65
	v_pk_fma_f16 v60, v57, v60, v66
	v_pk_fma_f16 v23, v57, v68, v23
	v_pk_fma_f16 v22, v57, v61, v22
	v_mul_u32_u24_sdwa v57, v62, v25 dst_sel:DWORD dst_unused:UNUSED_PAD src0_sel:WORD_0 src1_sel:DWORD
	v_mul_u32_u24_sdwa v61, v62, v25 dst_sel:DWORD dst_unused:UNUSED_PAD src0_sel:WORD_1 src1_sel:DWORD
	v_mul_u32_u24_sdwa v62, v63, v25 dst_sel:DWORD dst_unused:UNUSED_PAD src0_sel:WORD_0 src1_sel:DWORD
	v_mul_u32_u24_sdwa v63, v63, v25 dst_sel:DWORD dst_unused:UNUSED_PAD src0_sel:WORD_1 src1_sel:DWORD
	v_pk_fma_f16 v64, v58, v57, v64
	v_pk_fma_f16 v48, v58, v61, v48
	v_pk_fma_f16 v47, v58, v62, v47
	v_pk_fma_f16 v49, v58, v63, v49
	v_pk_fma_f16 v65, v59, v57, v56
	v_pk_fma_f16 v66, v59, v61, v60
	v_pk_fma_f16 v23, v59, v62, v23
	v_pk_fma_f16 v22, v59, v63, v22
	ds_read2_b64 v[56:59], v38 offset0:128 offset1:160
	;; [unrolled: 27-line block ×3, first 2 shown]
	ds_read_b128 v[60:63], v36 offset:18800
	s_waitcnt lgkmcnt(0)
	v_mul_u32_u24_sdwa v67, v60, v25 dst_sel:DWORD dst_unused:UNUSED_PAD src0_sel:WORD_0 src1_sel:DWORD
	v_mul_u32_u24_sdwa v60, v60, v25 dst_sel:DWORD dst_unused:UNUSED_PAD src0_sel:WORD_1 src1_sel:DWORD
	v_mul_u32_u24_sdwa v68, v61, v25 dst_sel:DWORD dst_unused:UNUSED_PAD src0_sel:WORD_0 src1_sel:DWORD
	v_mul_u32_u24_sdwa v61, v61, v25 dst_sel:DWORD dst_unused:UNUSED_PAD src0_sel:WORD_1 src1_sel:DWORD
	v_pk_fma_f16 v64, v56, v67, v64
	v_pk_fma_f16 v48, v56, v60, v48
	;; [unrolled: 1-line block ×8, first 2 shown]
	v_mul_u32_u24_sdwa v57, v62, v25 dst_sel:DWORD dst_unused:UNUSED_PAD src0_sel:WORD_0 src1_sel:DWORD
	v_mul_u32_u24_sdwa v61, v62, v25 dst_sel:DWORD dst_unused:UNUSED_PAD src0_sel:WORD_1 src1_sel:DWORD
	v_mul_u32_u24_sdwa v62, v63, v25 dst_sel:DWORD dst_unused:UNUSED_PAD src0_sel:WORD_0 src1_sel:DWORD
	v_mul_u32_u24_sdwa v63, v63, v25 dst_sel:DWORD dst_unused:UNUSED_PAD src0_sel:WORD_1 src1_sel:DWORD
	v_pk_fma_f16 v64, v58, v57, v64
	v_pk_fma_f16 v48, v58, v61, v48
	;; [unrolled: 1-line block ×3, first 2 shown]
	v_add_nc_u32_e32 v23, 0x3000, v37
	v_pk_fma_f16 v47, v58, v62, v47
	v_pk_fma_f16 v49, v58, v63, v49
	;; [unrolled: 1-line block ×5, first 2 shown]
	ds_read2_b64 v[56:59], v23 offset1:32
	ds_read_b128 v[60:63], v36 offset:18816
	s_waitcnt lgkmcnt(0)
	v_mul_u32_u24_sdwa v68, v60, v25 dst_sel:DWORD dst_unused:UNUSED_PAD src0_sel:WORD_0 src1_sel:DWORD
	v_mul_u32_u24_sdwa v60, v60, v25 dst_sel:DWORD dst_unused:UNUSED_PAD src0_sel:WORD_1 src1_sel:DWORD
	v_mul_u32_u24_sdwa v69, v61, v25 dst_sel:DWORD dst_unused:UNUSED_PAD src0_sel:WORD_0 src1_sel:DWORD
	v_mul_u32_u24_sdwa v61, v61, v25 dst_sel:DWORD dst_unused:UNUSED_PAD src0_sel:WORD_1 src1_sel:DWORD
	v_pk_fma_f16 v64, v56, v68, v64
	v_pk_fma_f16 v48, v56, v60, v48
	v_pk_fma_f16 v47, v56, v69, v47
	v_pk_fma_f16 v49, v56, v61, v49
	v_pk_fma_f16 v56, v57, v68, v65
	v_pk_fma_f16 v60, v57, v60, v66
	v_pk_fma_f16 v65, v57, v69, v67
	v_pk_fma_f16 v22, v57, v61, v22
	v_mul_u32_u24_sdwa v57, v62, v25 dst_sel:DWORD dst_unused:UNUSED_PAD src0_sel:WORD_0 src1_sel:DWORD
	v_mul_u32_u24_sdwa v61, v62, v25 dst_sel:DWORD dst_unused:UNUSED_PAD src0_sel:WORD_1 src1_sel:DWORD
	v_mul_u32_u24_sdwa v62, v63, v25 dst_sel:DWORD dst_unused:UNUSED_PAD src0_sel:WORD_0 src1_sel:DWORD
	v_mul_u32_u24_sdwa v63, v63, v25 dst_sel:DWORD dst_unused:UNUSED_PAD src0_sel:WORD_1 src1_sel:DWORD
	v_pk_fma_f16 v64, v58, v57, v64
	v_pk_fma_f16 v48, v58, v61, v48
	v_pk_fma_f16 v47, v58, v62, v47
	v_pk_fma_f16 v49, v58, v63, v49
	v_pk_fma_f16 v66, v59, v57, v56
	v_pk_fma_f16 v67, v59, v61, v60
	v_pk_fma_f16 v65, v59, v62, v65
	v_pk_fma_f16 v22, v59, v63, v22
	ds_read2_b64 v[56:59], v23 offset0:64 offset1:96
	ds_read_b128 v[60:63], v36 offset:18832
	s_waitcnt lgkmcnt(0)
	v_mul_u32_u24_sdwa v68, v60, v25 dst_sel:DWORD dst_unused:UNUSED_PAD src0_sel:WORD_0 src1_sel:DWORD
	v_mul_u32_u24_sdwa v60, v60, v25 dst_sel:DWORD dst_unused:UNUSED_PAD src0_sel:WORD_1 src1_sel:DWORD
	v_mul_u32_u24_sdwa v69, v61, v25 dst_sel:DWORD dst_unused:UNUSED_PAD src0_sel:WORD_0 src1_sel:DWORD
	v_mul_u32_u24_sdwa v61, v61, v25 dst_sel:DWORD dst_unused:UNUSED_PAD src0_sel:WORD_1 src1_sel:DWORD
	v_pk_fma_f16 v64, v56, v68, v64
	v_pk_fma_f16 v48, v56, v60, v48
	v_pk_fma_f16 v47, v56, v69, v47
	v_pk_fma_f16 v49, v56, v61, v49
	v_pk_fma_f16 v56, v57, v68, v66
	v_pk_fma_f16 v60, v57, v60, v67
	v_pk_fma_f16 v65, v57, v69, v65
	v_pk_fma_f16 v22, v57, v61, v22
	v_mul_u32_u24_sdwa v57, v62, v25 dst_sel:DWORD dst_unused:UNUSED_PAD src0_sel:WORD_0 src1_sel:DWORD
	v_mul_u32_u24_sdwa v61, v62, v25 dst_sel:DWORD dst_unused:UNUSED_PAD src0_sel:WORD_1 src1_sel:DWORD
	v_mul_u32_u24_sdwa v62, v63, v25 dst_sel:DWORD dst_unused:UNUSED_PAD src0_sel:WORD_0 src1_sel:DWORD
	v_mul_u32_u24_sdwa v63, v63, v25 dst_sel:DWORD dst_unused:UNUSED_PAD src0_sel:WORD_1 src1_sel:DWORD
	v_pk_fma_f16 v64, v58, v57, v64
	v_pk_fma_f16 v48, v58, v61, v48
	v_pk_fma_f16 v47, v58, v62, v47
	v_pk_fma_f16 v49, v58, v63, v49
	v_pk_fma_f16 v66, v59, v57, v56
	v_pk_fma_f16 v67, v59, v61, v60
	v_pk_fma_f16 v65, v59, v62, v65
	v_pk_fma_f16 v22, v59, v63, v22
	ds_read2_b64 v[56:59], v23 offset0:128 offset1:160
	;; [unrolled: 27-line block ×3, first 2 shown]
	ds_read_b128 v[60:63], v36 offset:18864
	s_waitcnt lgkmcnt(0)
	v_mul_u32_u24_sdwa v68, v60, v25 dst_sel:DWORD dst_unused:UNUSED_PAD src0_sel:WORD_0 src1_sel:DWORD
	v_mul_u32_u24_sdwa v60, v60, v25 dst_sel:DWORD dst_unused:UNUSED_PAD src0_sel:WORD_1 src1_sel:DWORD
	v_mul_u32_u24_sdwa v69, v61, v25 dst_sel:DWORD dst_unused:UNUSED_PAD src0_sel:WORD_0 src1_sel:DWORD
	v_mul_u32_u24_sdwa v61, v61, v25 dst_sel:DWORD dst_unused:UNUSED_PAD src0_sel:WORD_1 src1_sel:DWORD
	v_pk_fma_f16 v64, v56, v68, v64
	v_pk_fma_f16 v48, v56, v60, v48
	;; [unrolled: 1-line block ×8, first 2 shown]
	v_mul_u32_u24_sdwa v57, v62, v25 dst_sel:DWORD dst_unused:UNUSED_PAD src0_sel:WORD_0 src1_sel:DWORD
	v_mul_u32_u24_sdwa v61, v62, v25 dst_sel:DWORD dst_unused:UNUSED_PAD src0_sel:WORD_1 src1_sel:DWORD
	v_mul_u32_u24_sdwa v62, v63, v25 dst_sel:DWORD dst_unused:UNUSED_PAD src0_sel:WORD_0 src1_sel:DWORD
	v_mul_u32_u24_sdwa v63, v63, v25 dst_sel:DWORD dst_unused:UNUSED_PAD src0_sel:WORD_1 src1_sel:DWORD
	v_pk_fma_f16 v64, v58, v57, v64
	v_pk_fma_f16 v48, v58, v61, v48
	;; [unrolled: 1-line block ×4, first 2 shown]
	v_add_nc_u32_e32 v22, 0x3800, v37
	v_pk_fma_f16 v49, v58, v63, v49
	v_pk_fma_f16 v66, v59, v57, v56
	;; [unrolled: 1-line block ×4, first 2 shown]
	ds_read2_b64 v[56:59], v22 offset1:32
	ds_read_b128 v[60:63], v36 offset:18880
	s_waitcnt lgkmcnt(0)
	v_mul_u32_u24_sdwa v69, v60, v25 dst_sel:DWORD dst_unused:UNUSED_PAD src0_sel:WORD_0 src1_sel:DWORD
	v_mul_u32_u24_sdwa v60, v60, v25 dst_sel:DWORD dst_unused:UNUSED_PAD src0_sel:WORD_1 src1_sel:DWORD
	v_mul_u32_u24_sdwa v70, v61, v25 dst_sel:DWORD dst_unused:UNUSED_PAD src0_sel:WORD_0 src1_sel:DWORD
	v_mul_u32_u24_sdwa v61, v61, v25 dst_sel:DWORD dst_unused:UNUSED_PAD src0_sel:WORD_1 src1_sel:DWORD
	v_pk_fma_f16 v64, v56, v69, v64
	v_pk_fma_f16 v48, v56, v60, v48
	v_pk_fma_f16 v47, v56, v70, v47
	v_pk_fma_f16 v49, v56, v61, v49
	v_pk_fma_f16 v56, v57, v69, v66
	v_pk_fma_f16 v60, v57, v60, v67
	v_pk_fma_f16 v65, v57, v70, v65
	v_pk_fma_f16 v57, v57, v61, v68
	v_mul_u32_u24_sdwa v61, v62, v25 dst_sel:DWORD dst_unused:UNUSED_PAD src0_sel:WORD_0 src1_sel:DWORD
	v_mul_u32_u24_sdwa v62, v62, v25 dst_sel:DWORD dst_unused:UNUSED_PAD src0_sel:WORD_1 src1_sel:DWORD
	v_mul_u32_u24_sdwa v66, v63, v25 dst_sel:DWORD dst_unused:UNUSED_PAD src0_sel:WORD_0 src1_sel:DWORD
	v_mul_u32_u24_sdwa v63, v63, v25 dst_sel:DWORD dst_unused:UNUSED_PAD src0_sel:WORD_1 src1_sel:DWORD
	v_pk_fma_f16 v64, v58, v61, v64
	v_pk_fma_f16 v48, v58, v62, v48
	v_pk_fma_f16 v47, v58, v66, v47
	v_pk_fma_f16 v49, v58, v63, v49
	v_pk_fma_f16 v67, v59, v61, v56
	v_pk_fma_f16 v68, v59, v62, v60
	v_pk_fma_f16 v65, v59, v66, v65
	v_pk_fma_f16 v66, v59, v63, v57
	ds_read2_b64 v[56:59], v22 offset0:64 offset1:96
	ds_read_b128 v[60:63], v36 offset:18896
	s_waitcnt lgkmcnt(0)
	v_mul_u32_u24_sdwa v69, v60, v25 dst_sel:DWORD dst_unused:UNUSED_PAD src0_sel:WORD_0 src1_sel:DWORD
	v_mul_u32_u24_sdwa v60, v60, v25 dst_sel:DWORD dst_unused:UNUSED_PAD src0_sel:WORD_1 src1_sel:DWORD
	v_mul_u32_u24_sdwa v70, v61, v25 dst_sel:DWORD dst_unused:UNUSED_PAD src0_sel:WORD_0 src1_sel:DWORD
	v_mul_u32_u24_sdwa v61, v61, v25 dst_sel:DWORD dst_unused:UNUSED_PAD src0_sel:WORD_1 src1_sel:DWORD
	v_pk_fma_f16 v64, v56, v69, v64
	v_pk_fma_f16 v48, v56, v60, v48
	v_pk_fma_f16 v47, v56, v70, v47
	v_pk_fma_f16 v49, v56, v61, v49
	v_pk_fma_f16 v56, v57, v69, v67
	v_pk_fma_f16 v60, v57, v60, v68
	v_pk_fma_f16 v65, v57, v70, v65
	v_pk_fma_f16 v57, v57, v61, v66
	v_mul_u32_u24_sdwa v61, v62, v25 dst_sel:DWORD dst_unused:UNUSED_PAD src0_sel:WORD_0 src1_sel:DWORD
	v_mul_u32_u24_sdwa v62, v62, v25 dst_sel:DWORD dst_unused:UNUSED_PAD src0_sel:WORD_1 src1_sel:DWORD
	v_mul_u32_u24_sdwa v66, v63, v25 dst_sel:DWORD dst_unused:UNUSED_PAD src0_sel:WORD_0 src1_sel:DWORD
	v_mul_u32_u24_sdwa v63, v63, v25 dst_sel:DWORD dst_unused:UNUSED_PAD src0_sel:WORD_1 src1_sel:DWORD
	v_pk_fma_f16 v64, v58, v61, v64
	v_pk_fma_f16 v48, v58, v62, v48
	v_pk_fma_f16 v47, v58, v66, v47
	v_pk_fma_f16 v49, v58, v63, v49
	v_pk_fma_f16 v67, v59, v61, v56
	v_pk_fma_f16 v68, v59, v62, v60
	v_pk_fma_f16 v65, v59, v66, v65
	v_pk_fma_f16 v66, v59, v63, v57
	ds_read2_b64 v[56:59], v22 offset0:128 offset1:160
	;; [unrolled: 27-line block ×3, first 2 shown]
	ds_read_b128 v[61:64], v36 offset:18928
	s_waitcnt lgkmcnt(0)
	s_barrier
	buffer_gl0_inv
	buffer_store_dword v50, off, s[0:3], 0
	buffer_store_dword v50, off, s[0:3], 0 offset:4
	buffer_store_dword v50, off, s[0:3], 0 offset:8
	;; [unrolled: 1-line block ×3, first 2 shown]
	v_mul_u32_u24_sdwa v69, v61, v25 dst_sel:DWORD dst_unused:UNUSED_PAD src0_sel:WORD_0 src1_sel:DWORD
	v_mul_u32_u24_sdwa v61, v61, v25 dst_sel:DWORD dst_unused:UNUSED_PAD src0_sel:WORD_1 src1_sel:DWORD
	v_mul_u32_u24_sdwa v70, v62, v25 dst_sel:DWORD dst_unused:UNUSED_PAD src0_sel:WORD_0 src1_sel:DWORD
	v_mul_u32_u24_sdwa v62, v62, v25 dst_sel:DWORD dst_unused:UNUSED_PAD src0_sel:WORD_1 src1_sel:DWORD
	v_pk_fma_f16 v67, v57, v69, v67
	v_pk_fma_f16 v48, v57, v61, v48
	;; [unrolled: 1-line block ×8, first 2 shown]
	v_mul_u32_u24_sdwa v58, v63, v25 dst_sel:DWORD dst_unused:UNUSED_PAD src0_sel:WORD_0 src1_sel:DWORD
	v_mul_u32_u24_sdwa v63, v63, v25 dst_sel:DWORD dst_unused:UNUSED_PAD src0_sel:WORD_1 src1_sel:DWORD
	v_mul_u32_u24_sdwa v66, v64, v25 dst_sel:DWORD dst_unused:UNUSED_PAD src0_sel:WORD_0 src1_sel:DWORD
	v_mul_u32_u24_sdwa v64, v64, v25 dst_sel:DWORD dst_unused:UNUSED_PAD src0_sel:WORD_1 src1_sel:DWORD
	v_pk_fma_f16 v47, v59, v58, v67
	v_pk_fma_f16 v48, v59, v63, v48
	v_pk_fma_f16 v49, v59, v66, v71
	v_pk_fma_f16 v56, v59, v64, v57
	v_pk_fma_f16 v57, v60, v58, v69
	v_pk_fma_f16 v58, v60, v63, v61
	v_pk_fma_f16 v59, v60, v66, v65
	v_pk_fma_f16 v60, v60, v64, v62
	flat_load_dwordx4 v[61:64], v[12:13]
	s_waitcnt vmcnt(0) lgkmcnt(0)
	ds_write_b128 v53, v[61:64]
	buffer_store_dword v50, off, s[0:3], 0
	buffer_store_dword v50, off, s[0:3], 0 offset:4
	buffer_store_dword v50, off, s[0:3], 0 offset:8
	;; [unrolled: 1-line block ×3, first 2 shown]
	flat_load_dwordx4 v[61:64], v[3:4]
	v_add_co_u32 v3, s6, s8, v10
	v_add_co_ci_u32_e64 v4, null, s9, v11, s6
	v_add_co_u32 v3, s6, v3, v44
	v_add_co_ci_u32_e64 v4, null, 0, v4, s6
	v_add_co_u32 v1, s6, s8, v1
	v_cndmask_b32_e32 v3, 0, v3, vcc_lo
	v_cndmask_b32_e32 v4, s7, v4, vcc_lo
	v_add_co_ci_u32_e64 v2, null, s9, v2, s6
	v_add_co_u32 v1, s6, v1, v44
	v_cmp_gt_i32_e32 vcc_lo, s10, v45
	v_add_co_ci_u32_e64 v2, null, 0, v2, s6
	v_cndmask_b32_e32 v1, 0, v1, vcc_lo
	v_cndmask_b32_e32 v2, s7, v2, vcc_lo
	s_waitcnt vmcnt(0) lgkmcnt(0)
	ds_write_b128 v52, v[61:64]
	buffer_store_dword v50, off, s[0:3], 0
	buffer_store_dword v50, off, s[0:3], 0 offset:4
	buffer_store_dword v50, off, s[0:3], 0 offset:8
	;; [unrolled: 1-line block ×3, first 2 shown]
	flat_load_dwordx4 v[10:13], v[3:4]
	s_waitcnt vmcnt(0) lgkmcnt(0)
	ds_write_b128 v46, v[10:13]
	buffer_store_dword v50, off, s[0:3], 0
	buffer_store_dword v50, off, s[0:3], 0 offset:4
	buffer_store_dword v50, off, s[0:3], 0 offset:8
	;; [unrolled: 1-line block ×3, first 2 shown]
	flat_load_dwordx4 v[1:4], v[1:2]
	s_waitcnt vmcnt(0) lgkmcnt(0)
	ds_write_b128 v41, v[1:4]
	s_waitcnt lgkmcnt(0)
	s_waitcnt_vscnt null, 0x0
	s_barrier
	buffer_gl0_inv
	ds_read2_b64 v[1:4], v37 offset1:32
	ds_read_b128 v[10:13], v36 offset:18944
	ds_read_b128 v[50:53], v36 offset:18960
	;; [unrolled: 1-line block ×4, first 2 shown]
	s_waitcnt lgkmcnt(3)
	v_mul_u32_u24_sdwa v41, v10, v25 dst_sel:DWORD dst_unused:UNUSED_PAD src0_sel:WORD_0 src1_sel:DWORD
	v_mul_u32_u24_sdwa v10, v10, v25 dst_sel:DWORD dst_unused:UNUSED_PAD src0_sel:WORD_1 src1_sel:DWORD
	v_mul_u32_u24_sdwa v44, v11, v25 dst_sel:DWORD dst_unused:UNUSED_PAD src0_sel:WORD_0 src1_sel:DWORD
	v_mul_u32_u24_sdwa v11, v11, v25 dst_sel:DWORD dst_unused:UNUSED_PAD src0_sel:WORD_1 src1_sel:DWORD
	v_pk_fma_f16 v45, v1, v41, v47
	v_pk_fma_f16 v46, v1, v10, v48
	v_pk_fma_f16 v47, v1, v44, v49
	v_pk_fma_f16 v1, v1, v11, v56
	v_pk_fma_f16 v41, v2, v41, v57
	v_pk_fma_f16 v10, v2, v10, v58
	v_pk_fma_f16 v44, v2, v44, v59
	v_pk_fma_f16 v2, v2, v11, v60
	v_mul_u32_u24_sdwa v11, v12, v25 dst_sel:DWORD dst_unused:UNUSED_PAD src0_sel:WORD_0 src1_sel:DWORD
	v_mul_u32_u24_sdwa v12, v12, v25 dst_sel:DWORD dst_unused:UNUSED_PAD src0_sel:WORD_1 src1_sel:DWORD
	v_mul_u32_u24_sdwa v48, v13, v25 dst_sel:DWORD dst_unused:UNUSED_PAD src0_sel:WORD_0 src1_sel:DWORD
	v_mul_u32_u24_sdwa v13, v13, v25 dst_sel:DWORD dst_unused:UNUSED_PAD src0_sel:WORD_1 src1_sel:DWORD
	v_pk_fma_f16 v45, v3, v11, v45
	v_pk_fma_f16 v46, v3, v12, v46
	v_pk_fma_f16 v47, v3, v48, v47
	v_pk_fma_f16 v49, v3, v13, v1
	v_pk_fma_f16 v11, v4, v11, v41
	v_pk_fma_f16 v10, v4, v12, v10
	v_pk_fma_f16 v12, v4, v48, v44
	v_pk_fma_f16 v13, v4, v13, v2
	ds_read2_b64 v[1:4], v37 offset0:64 offset1:96
	s_waitcnt lgkmcnt(3)
	v_mul_u32_u24_sdwa v41, v50, v25 dst_sel:DWORD dst_unused:UNUSED_PAD src0_sel:WORD_0 src1_sel:DWORD
	v_mul_u32_u24_sdwa v44, v50, v25 dst_sel:DWORD dst_unused:UNUSED_PAD src0_sel:WORD_1 src1_sel:DWORD
	v_mul_u32_u24_sdwa v48, v51, v25 dst_sel:DWORD dst_unused:UNUSED_PAD src0_sel:WORD_0 src1_sel:DWORD
	v_mul_u32_u24_sdwa v50, v51, v25 dst_sel:DWORD dst_unused:UNUSED_PAD src0_sel:WORD_1 src1_sel:DWORD
	s_waitcnt lgkmcnt(0)
	v_pk_fma_f16 v45, v1, v41, v45
	v_pk_fma_f16 v46, v1, v44, v46
	v_pk_fma_f16 v47, v1, v48, v47
	v_pk_fma_f16 v1, v1, v50, v49
	v_pk_fma_f16 v11, v2, v41, v11
	v_pk_fma_f16 v10, v2, v44, v10
	v_pk_fma_f16 v12, v2, v48, v12
	v_pk_fma_f16 v2, v2, v50, v13
	v_mul_u32_u24_sdwa v13, v52, v25 dst_sel:DWORD dst_unused:UNUSED_PAD src0_sel:WORD_0 src1_sel:DWORD
	v_mul_u32_u24_sdwa v41, v52, v25 dst_sel:DWORD dst_unused:UNUSED_PAD src0_sel:WORD_1 src1_sel:DWORD
	v_mul_u32_u24_sdwa v44, v53, v25 dst_sel:DWORD dst_unused:UNUSED_PAD src0_sel:WORD_0 src1_sel:DWORD
	v_mul_u32_u24_sdwa v48, v53, v25 dst_sel:DWORD dst_unused:UNUSED_PAD src0_sel:WORD_1 src1_sel:DWORD
	v_mul_u32_u24_sdwa v50, v62, v25 dst_sel:DWORD dst_unused:UNUSED_PAD src0_sel:WORD_1 src1_sel:DWORD
	v_pk_fma_f16 v45, v3, v13, v45
	v_pk_fma_f16 v46, v3, v41, v46
	;; [unrolled: 1-line block ×8, first 2 shown]
	ds_read2_b64 v[1:4], v37 offset0:128 offset1:160
	v_mul_u32_u24_sdwa v41, v61, v25 dst_sel:DWORD dst_unused:UNUSED_PAD src0_sel:WORD_0 src1_sel:DWORD
	v_mul_u32_u24_sdwa v44, v61, v25 dst_sel:DWORD dst_unused:UNUSED_PAD src0_sel:WORD_1 src1_sel:DWORD
	v_mul_u32_u24_sdwa v48, v62, v25 dst_sel:DWORD dst_unused:UNUSED_PAD src0_sel:WORD_0 src1_sel:DWORD
	s_waitcnt lgkmcnt(0)
	v_pk_fma_f16 v45, v1, v41, v45
	v_pk_fma_f16 v46, v1, v44, v46
	;; [unrolled: 1-line block ×8, first 2 shown]
	v_mul_u32_u24_sdwa v13, v63, v25 dst_sel:DWORD dst_unused:UNUSED_PAD src0_sel:WORD_0 src1_sel:DWORD
	v_mul_u32_u24_sdwa v41, v63, v25 dst_sel:DWORD dst_unused:UNUSED_PAD src0_sel:WORD_1 src1_sel:DWORD
	v_mul_u32_u24_sdwa v44, v64, v25 dst_sel:DWORD dst_unused:UNUSED_PAD src0_sel:WORD_0 src1_sel:DWORD
	v_mul_u32_u24_sdwa v48, v64, v25 dst_sel:DWORD dst_unused:UNUSED_PAD src0_sel:WORD_1 src1_sel:DWORD
	v_pk_fma_f16 v45, v3, v13, v45
	v_pk_fma_f16 v46, v3, v41, v46
	;; [unrolled: 1-line block ×8, first 2 shown]
	ds_read2_b64 v[1:4], v37 offset0:192 offset1:224
	v_mul_u32_u24_sdwa v37, v65, v25 dst_sel:DWORD dst_unused:UNUSED_PAD src0_sel:WORD_0 src1_sel:DWORD
	v_mul_u32_u24_sdwa v41, v65, v25 dst_sel:DWORD dst_unused:UNUSED_PAD src0_sel:WORD_1 src1_sel:DWORD
	v_mul_u32_u24_sdwa v44, v66, v25 dst_sel:DWORD dst_unused:UNUSED_PAD src0_sel:WORD_0 src1_sel:DWORD
	v_mul_u32_u24_sdwa v48, v66, v25 dst_sel:DWORD dst_unused:UNUSED_PAD src0_sel:WORD_1 src1_sel:DWORD
	s_waitcnt lgkmcnt(0)
	v_pk_fma_f16 v45, v1, v37, v45
	v_pk_fma_f16 v46, v1, v41, v46
	;; [unrolled: 1-line block ×8, first 2 shown]
	v_mul_u32_u24_sdwa v13, v67, v25 dst_sel:DWORD dst_unused:UNUSED_PAD src0_sel:WORD_0 src1_sel:DWORD
	v_mul_u32_u24_sdwa v37, v67, v25 dst_sel:DWORD dst_unused:UNUSED_PAD src0_sel:WORD_1 src1_sel:DWORD
	v_mul_u32_u24_sdwa v41, v68, v25 dst_sel:DWORD dst_unused:UNUSED_PAD src0_sel:WORD_0 src1_sel:DWORD
	v_mul_u32_u24_sdwa v44, v68, v25 dst_sel:DWORD dst_unused:UNUSED_PAD src0_sel:WORD_1 src1_sel:DWORD
	v_pk_fma_f16 v45, v3, v13, v45
	v_pk_fma_f16 v46, v3, v37, v46
	;; [unrolled: 1-line block ×8, first 2 shown]
	ds_read2_b64 v[1:4], v42 offset1:32
	ds_read_b128 v[10:13], v36 offset:19008
	s_waitcnt lgkmcnt(0)
	v_mul_u32_u24_sdwa v50, v10, v25 dst_sel:DWORD dst_unused:UNUSED_PAD src0_sel:WORD_0 src1_sel:DWORD
	v_mul_u32_u24_sdwa v10, v10, v25 dst_sel:DWORD dst_unused:UNUSED_PAD src0_sel:WORD_1 src1_sel:DWORD
	v_mul_u32_u24_sdwa v51, v11, v25 dst_sel:DWORD dst_unused:UNUSED_PAD src0_sel:WORD_0 src1_sel:DWORD
	v_mul_u32_u24_sdwa v11, v11, v25 dst_sel:DWORD dst_unused:UNUSED_PAD src0_sel:WORD_1 src1_sel:DWORD
	v_pk_fma_f16 v45, v1, v50, v45
	v_pk_fma_f16 v46, v1, v10, v46
	v_pk_fma_f16 v47, v1, v51, v47
	v_pk_fma_f16 v1, v1, v11, v48
	v_pk_fma_f16 v48, v2, v50, v49
	v_pk_fma_f16 v10, v2, v10, v37
	v_pk_fma_f16 v37, v2, v51, v41
	v_pk_fma_f16 v2, v2, v11, v44
	v_mul_u32_u24_sdwa v11, v12, v25 dst_sel:DWORD dst_unused:UNUSED_PAD src0_sel:WORD_0 src1_sel:DWORD
	v_mul_u32_u24_sdwa v12, v12, v25 dst_sel:DWORD dst_unused:UNUSED_PAD src0_sel:WORD_1 src1_sel:DWORD
	v_mul_u32_u24_sdwa v41, v13, v25 dst_sel:DWORD dst_unused:UNUSED_PAD src0_sel:WORD_0 src1_sel:DWORD
	v_mul_u32_u24_sdwa v13, v13, v25 dst_sel:DWORD dst_unused:UNUSED_PAD src0_sel:WORD_1 src1_sel:DWORD
	v_pk_fma_f16 v44, v3, v11, v45
	v_pk_fma_f16 v45, v3, v12, v46
	v_pk_fma_f16 v46, v3, v41, v47
	v_pk_fma_f16 v47, v3, v13, v1
	v_pk_fma_f16 v48, v4, v11, v48
	v_pk_fma_f16 v49, v4, v12, v10
	v_pk_fma_f16 v37, v4, v41, v37
	v_pk_fma_f16 v41, v4, v13, v2
	ds_read2_b64 v[1:4], v42 offset0:64 offset1:96
	ds_read_b128 v[10:13], v36 offset:19024
	s_waitcnt lgkmcnt(0)
	v_mul_u32_u24_sdwa v50, v10, v25 dst_sel:DWORD dst_unused:UNUSED_PAD src0_sel:WORD_0 src1_sel:DWORD
	v_mul_u32_u24_sdwa v10, v10, v25 dst_sel:DWORD dst_unused:UNUSED_PAD src0_sel:WORD_1 src1_sel:DWORD
	v_mul_u32_u24_sdwa v51, v11, v25 dst_sel:DWORD dst_unused:UNUSED_PAD src0_sel:WORD_0 src1_sel:DWORD
	v_mul_u32_u24_sdwa v11, v11, v25 dst_sel:DWORD dst_unused:UNUSED_PAD src0_sel:WORD_1 src1_sel:DWORD
	v_pk_fma_f16 v44, v1, v50, v44
	v_pk_fma_f16 v45, v1, v10, v45
	v_pk_fma_f16 v46, v1, v51, v46
	v_pk_fma_f16 v1, v1, v11, v47
	v_pk_fma_f16 v47, v2, v50, v48
	v_pk_fma_f16 v10, v2, v10, v49
	v_pk_fma_f16 v37, v2, v51, v37
	v_pk_fma_f16 v2, v2, v11, v41
	v_mul_u32_u24_sdwa v11, v12, v25 dst_sel:DWORD dst_unused:UNUSED_PAD src0_sel:WORD_0 src1_sel:DWORD
	v_mul_u32_u24_sdwa v12, v12, v25 dst_sel:DWORD dst_unused:UNUSED_PAD src0_sel:WORD_1 src1_sel:DWORD
	v_mul_u32_u24_sdwa v41, v13, v25 dst_sel:DWORD dst_unused:UNUSED_PAD src0_sel:WORD_0 src1_sel:DWORD
	v_mul_u32_u24_sdwa v13, v13, v25 dst_sel:DWORD dst_unused:UNUSED_PAD src0_sel:WORD_1 src1_sel:DWORD
	v_pk_fma_f16 v44, v3, v11, v44
	v_pk_fma_f16 v45, v3, v12, v45
	v_pk_fma_f16 v46, v3, v41, v46
	v_pk_fma_f16 v48, v3, v13, v1
	v_pk_fma_f16 v47, v4, v11, v47
	v_pk_fma_f16 v49, v4, v12, v10
	v_pk_fma_f16 v37, v4, v41, v37
	v_pk_fma_f16 v41, v4, v13, v2
	ds_read2_b64 v[1:4], v42 offset0:128 offset1:160
	;; [unrolled: 27-line block ×3, first 2 shown]
	ds_read_b128 v[10:13], v36 offset:19056
	s_waitcnt lgkmcnt(0)
	v_mul_u32_u24_sdwa v42, v10, v25 dst_sel:DWORD dst_unused:UNUSED_PAD src0_sel:WORD_0 src1_sel:DWORD
	v_mul_u32_u24_sdwa v10, v10, v25 dst_sel:DWORD dst_unused:UNUSED_PAD src0_sel:WORD_1 src1_sel:DWORD
	v_mul_u32_u24_sdwa v50, v11, v25 dst_sel:DWORD dst_unused:UNUSED_PAD src0_sel:WORD_0 src1_sel:DWORD
	v_mul_u32_u24_sdwa v11, v11, v25 dst_sel:DWORD dst_unused:UNUSED_PAD src0_sel:WORD_1 src1_sel:DWORD
	v_pk_fma_f16 v44, v1, v42, v44
	v_pk_fma_f16 v45, v1, v10, v45
	;; [unrolled: 1-line block ×8, first 2 shown]
	v_mul_u32_u24_sdwa v11, v12, v25 dst_sel:DWORD dst_unused:UNUSED_PAD src0_sel:WORD_0 src1_sel:DWORD
	v_mul_u32_u24_sdwa v12, v12, v25 dst_sel:DWORD dst_unused:UNUSED_PAD src0_sel:WORD_1 src1_sel:DWORD
	v_mul_u32_u24_sdwa v41, v13, v25 dst_sel:DWORD dst_unused:UNUSED_PAD src0_sel:WORD_0 src1_sel:DWORD
	v_mul_u32_u24_sdwa v13, v13, v25 dst_sel:DWORD dst_unused:UNUSED_PAD src0_sel:WORD_1 src1_sel:DWORD
	v_pk_fma_f16 v44, v3, v11, v44
	v_pk_fma_f16 v45, v3, v12, v45
	;; [unrolled: 1-line block ×8, first 2 shown]
	ds_read2_b64 v[1:4], v43 offset1:32
	ds_read_b128 v[10:13], v36 offset:19072
	s_waitcnt lgkmcnt(0)
	v_mul_u32_u24_sdwa v49, v10, v25 dst_sel:DWORD dst_unused:UNUSED_PAD src0_sel:WORD_0 src1_sel:DWORD
	v_mul_u32_u24_sdwa v10, v10, v25 dst_sel:DWORD dst_unused:UNUSED_PAD src0_sel:WORD_1 src1_sel:DWORD
	v_mul_u32_u24_sdwa v50, v11, v25 dst_sel:DWORD dst_unused:UNUSED_PAD src0_sel:WORD_0 src1_sel:DWORD
	v_mul_u32_u24_sdwa v11, v11, v25 dst_sel:DWORD dst_unused:UNUSED_PAD src0_sel:WORD_1 src1_sel:DWORD
	v_pk_fma_f16 v44, v1, v49, v44
	v_pk_fma_f16 v45, v1, v10, v45
	v_pk_fma_f16 v46, v1, v50, v46
	v_pk_fma_f16 v1, v1, v11, v47
	v_pk_fma_f16 v42, v2, v49, v42
	v_pk_fma_f16 v10, v2, v10, v48
	v_pk_fma_f16 v37, v2, v50, v37
	v_pk_fma_f16 v2, v2, v11, v41
	v_mul_u32_u24_sdwa v11, v12, v25 dst_sel:DWORD dst_unused:UNUSED_PAD src0_sel:WORD_0 src1_sel:DWORD
	v_mul_u32_u24_sdwa v12, v12, v25 dst_sel:DWORD dst_unused:UNUSED_PAD src0_sel:WORD_1 src1_sel:DWORD
	v_mul_u32_u24_sdwa v41, v13, v25 dst_sel:DWORD dst_unused:UNUSED_PAD src0_sel:WORD_0 src1_sel:DWORD
	v_mul_u32_u24_sdwa v13, v13, v25 dst_sel:DWORD dst_unused:UNUSED_PAD src0_sel:WORD_1 src1_sel:DWORD
	v_pk_fma_f16 v44, v3, v11, v44
	v_pk_fma_f16 v45, v3, v12, v45
	v_pk_fma_f16 v46, v3, v41, v46
	v_pk_fma_f16 v47, v3, v13, v1
	v_pk_fma_f16 v42, v4, v11, v42
	v_pk_fma_f16 v48, v4, v12, v10
	v_pk_fma_f16 v37, v4, v41, v37
	v_pk_fma_f16 v41, v4, v13, v2
	ds_read2_b64 v[1:4], v43 offset0:64 offset1:96
	ds_read_b128 v[10:13], v36 offset:19088
	s_waitcnt lgkmcnt(0)
	v_mul_u32_u24_sdwa v49, v10, v25 dst_sel:DWORD dst_unused:UNUSED_PAD src0_sel:WORD_0 src1_sel:DWORD
	v_mul_u32_u24_sdwa v10, v10, v25 dst_sel:DWORD dst_unused:UNUSED_PAD src0_sel:WORD_1 src1_sel:DWORD
	v_mul_u32_u24_sdwa v50, v11, v25 dst_sel:DWORD dst_unused:UNUSED_PAD src0_sel:WORD_0 src1_sel:DWORD
	v_mul_u32_u24_sdwa v11, v11, v25 dst_sel:DWORD dst_unused:UNUSED_PAD src0_sel:WORD_1 src1_sel:DWORD
	v_pk_fma_f16 v44, v1, v49, v44
	v_pk_fma_f16 v45, v1, v10, v45
	v_pk_fma_f16 v46, v1, v50, v46
	v_pk_fma_f16 v1, v1, v11, v47
	v_pk_fma_f16 v42, v2, v49, v42
	v_pk_fma_f16 v10, v2, v10, v48
	v_pk_fma_f16 v37, v2, v50, v37
	v_pk_fma_f16 v2, v2, v11, v41
	v_mul_u32_u24_sdwa v11, v12, v25 dst_sel:DWORD dst_unused:UNUSED_PAD src0_sel:WORD_0 src1_sel:DWORD
	v_mul_u32_u24_sdwa v12, v12, v25 dst_sel:DWORD dst_unused:UNUSED_PAD src0_sel:WORD_1 src1_sel:DWORD
	v_mul_u32_u24_sdwa v41, v13, v25 dst_sel:DWORD dst_unused:UNUSED_PAD src0_sel:WORD_0 src1_sel:DWORD
	v_mul_u32_u24_sdwa v13, v13, v25 dst_sel:DWORD dst_unused:UNUSED_PAD src0_sel:WORD_1 src1_sel:DWORD
	v_pk_fma_f16 v44, v3, v11, v44
	v_pk_fma_f16 v45, v3, v12, v45
	v_pk_fma_f16 v46, v3, v41, v46
	v_pk_fma_f16 v47, v3, v13, v1
	v_pk_fma_f16 v42, v4, v11, v42
	v_pk_fma_f16 v48, v4, v12, v10
	v_pk_fma_f16 v37, v4, v41, v37
	v_pk_fma_f16 v41, v4, v13, v2
	ds_read2_b64 v[1:4], v43 offset0:128 offset1:160
	;; [unrolled: 27-line block ×3, first 2 shown]
	ds_read_b128 v[10:13], v36 offset:19120
	s_waitcnt lgkmcnt(0)
	v_mul_u32_u24_sdwa v43, v10, v25 dst_sel:DWORD dst_unused:UNUSED_PAD src0_sel:WORD_0 src1_sel:DWORD
	v_mul_u32_u24_sdwa v10, v10, v25 dst_sel:DWORD dst_unused:UNUSED_PAD src0_sel:WORD_1 src1_sel:DWORD
	v_mul_u32_u24_sdwa v49, v11, v25 dst_sel:DWORD dst_unused:UNUSED_PAD src0_sel:WORD_0 src1_sel:DWORD
	v_mul_u32_u24_sdwa v11, v11, v25 dst_sel:DWORD dst_unused:UNUSED_PAD src0_sel:WORD_1 src1_sel:DWORD
	v_pk_fma_f16 v44, v1, v43, v44
	v_pk_fma_f16 v45, v1, v10, v45
	;; [unrolled: 1-line block ×8, first 2 shown]
	v_mul_u32_u24_sdwa v11, v12, v25 dst_sel:DWORD dst_unused:UNUSED_PAD src0_sel:WORD_0 src1_sel:DWORD
	v_mul_u32_u24_sdwa v12, v12, v25 dst_sel:DWORD dst_unused:UNUSED_PAD src0_sel:WORD_1 src1_sel:DWORD
	v_mul_u32_u24_sdwa v41, v13, v25 dst_sel:DWORD dst_unused:UNUSED_PAD src0_sel:WORD_0 src1_sel:DWORD
	v_mul_u32_u24_sdwa v13, v13, v25 dst_sel:DWORD dst_unused:UNUSED_PAD src0_sel:WORD_1 src1_sel:DWORD
	v_pk_fma_f16 v43, v3, v11, v44
	v_pk_fma_f16 v44, v3, v12, v45
	;; [unrolled: 1-line block ×8, first 2 shown]
	ds_read2_b64 v[1:4], v40 offset1:32
	ds_read_b128 v[10:13], v36 offset:19136
	s_waitcnt lgkmcnt(0)
	v_mul_u32_u24_sdwa v48, v10, v25 dst_sel:DWORD dst_unused:UNUSED_PAD src0_sel:WORD_0 src1_sel:DWORD
	v_mul_u32_u24_sdwa v10, v10, v25 dst_sel:DWORD dst_unused:UNUSED_PAD src0_sel:WORD_1 src1_sel:DWORD
	v_mul_u32_u24_sdwa v49, v11, v25 dst_sel:DWORD dst_unused:UNUSED_PAD src0_sel:WORD_0 src1_sel:DWORD
	v_mul_u32_u24_sdwa v11, v11, v25 dst_sel:DWORD dst_unused:UNUSED_PAD src0_sel:WORD_1 src1_sel:DWORD
	v_pk_fma_f16 v43, v1, v48, v43
	v_pk_fma_f16 v44, v1, v10, v44
	v_pk_fma_f16 v45, v1, v49, v45
	v_pk_fma_f16 v1, v1, v11, v46
	v_pk_fma_f16 v42, v2, v48, v42
	v_pk_fma_f16 v10, v2, v10, v47
	v_pk_fma_f16 v37, v2, v49, v37
	v_pk_fma_f16 v2, v2, v11, v41
	v_mul_u32_u24_sdwa v11, v12, v25 dst_sel:DWORD dst_unused:UNUSED_PAD src0_sel:WORD_0 src1_sel:DWORD
	v_mul_u32_u24_sdwa v12, v12, v25 dst_sel:DWORD dst_unused:UNUSED_PAD src0_sel:WORD_1 src1_sel:DWORD
	v_mul_u32_u24_sdwa v41, v13, v25 dst_sel:DWORD dst_unused:UNUSED_PAD src0_sel:WORD_0 src1_sel:DWORD
	v_mul_u32_u24_sdwa v13, v13, v25 dst_sel:DWORD dst_unused:UNUSED_PAD src0_sel:WORD_1 src1_sel:DWORD
	v_pk_fma_f16 v43, v3, v11, v43
	v_pk_fma_f16 v44, v3, v12, v44
	v_pk_fma_f16 v45, v3, v41, v45
	v_pk_fma_f16 v46, v3, v13, v1
	v_pk_fma_f16 v42, v4, v11, v42
	v_pk_fma_f16 v47, v4, v12, v10
	v_pk_fma_f16 v37, v4, v41, v37
	v_pk_fma_f16 v41, v4, v13, v2
	ds_read2_b64 v[1:4], v40 offset0:64 offset1:96
	ds_read_b128 v[10:13], v36 offset:19152
	s_waitcnt lgkmcnt(0)
	v_mul_u32_u24_sdwa v48, v10, v25 dst_sel:DWORD dst_unused:UNUSED_PAD src0_sel:WORD_0 src1_sel:DWORD
	v_mul_u32_u24_sdwa v10, v10, v25 dst_sel:DWORD dst_unused:UNUSED_PAD src0_sel:WORD_1 src1_sel:DWORD
	v_mul_u32_u24_sdwa v49, v11, v25 dst_sel:DWORD dst_unused:UNUSED_PAD src0_sel:WORD_0 src1_sel:DWORD
	v_mul_u32_u24_sdwa v11, v11, v25 dst_sel:DWORD dst_unused:UNUSED_PAD src0_sel:WORD_1 src1_sel:DWORD
	v_pk_fma_f16 v43, v1, v48, v43
	v_pk_fma_f16 v44, v1, v10, v44
	v_pk_fma_f16 v45, v1, v49, v45
	v_pk_fma_f16 v1, v1, v11, v46
	v_pk_fma_f16 v42, v2, v48, v42
	v_pk_fma_f16 v10, v2, v10, v47
	v_pk_fma_f16 v37, v2, v49, v37
	v_pk_fma_f16 v2, v2, v11, v41
	v_mul_u32_u24_sdwa v11, v12, v25 dst_sel:DWORD dst_unused:UNUSED_PAD src0_sel:WORD_0 src1_sel:DWORD
	v_mul_u32_u24_sdwa v12, v12, v25 dst_sel:DWORD dst_unused:UNUSED_PAD src0_sel:WORD_1 src1_sel:DWORD
	v_mul_u32_u24_sdwa v41, v13, v25 dst_sel:DWORD dst_unused:UNUSED_PAD src0_sel:WORD_0 src1_sel:DWORD
	v_mul_u32_u24_sdwa v13, v13, v25 dst_sel:DWORD dst_unused:UNUSED_PAD src0_sel:WORD_1 src1_sel:DWORD
	v_pk_fma_f16 v43, v3, v11, v43
	v_pk_fma_f16 v44, v3, v12, v44
	v_pk_fma_f16 v45, v3, v41, v45
	v_pk_fma_f16 v46, v3, v13, v1
	v_pk_fma_f16 v42, v4, v11, v42
	v_pk_fma_f16 v47, v4, v12, v10
	v_pk_fma_f16 v37, v4, v41, v37
	v_pk_fma_f16 v41, v4, v13, v2
	ds_read2_b64 v[1:4], v40 offset0:128 offset1:160
	;; [unrolled: 27-line block ×3, first 2 shown]
	ds_read_b128 v[10:13], v36 offset:19184
	s_waitcnt lgkmcnt(0)
	v_mul_u32_u24_sdwa v40, v10, v25 dst_sel:DWORD dst_unused:UNUSED_PAD src0_sel:WORD_0 src1_sel:DWORD
	v_mul_u32_u24_sdwa v10, v10, v25 dst_sel:DWORD dst_unused:UNUSED_PAD src0_sel:WORD_1 src1_sel:DWORD
	v_mul_u32_u24_sdwa v48, v11, v25 dst_sel:DWORD dst_unused:UNUSED_PAD src0_sel:WORD_0 src1_sel:DWORD
	v_mul_u32_u24_sdwa v11, v11, v25 dst_sel:DWORD dst_unused:UNUSED_PAD src0_sel:WORD_1 src1_sel:DWORD
	v_pk_fma_f16 v43, v1, v40, v43
	v_pk_fma_f16 v44, v1, v10, v44
	;; [unrolled: 1-line block ×8, first 2 shown]
	v_mul_u32_u24_sdwa v11, v12, v25 dst_sel:DWORD dst_unused:UNUSED_PAD src0_sel:WORD_0 src1_sel:DWORD
	v_mul_u32_u24_sdwa v12, v12, v25 dst_sel:DWORD dst_unused:UNUSED_PAD src0_sel:WORD_1 src1_sel:DWORD
	v_mul_u32_u24_sdwa v41, v13, v25 dst_sel:DWORD dst_unused:UNUSED_PAD src0_sel:WORD_0 src1_sel:DWORD
	v_mul_u32_u24_sdwa v13, v13, v25 dst_sel:DWORD dst_unused:UNUSED_PAD src0_sel:WORD_1 src1_sel:DWORD
	v_pk_fma_f16 v42, v3, v11, v43
	v_pk_fma_f16 v43, v3, v12, v44
	;; [unrolled: 1-line block ×8, first 2 shown]
	ds_read2_b64 v[1:4], v39 offset1:32
	ds_read_b128 v[10:13], v36 offset:19200
	s_waitcnt lgkmcnt(0)
	v_mul_u32_u24_sdwa v47, v10, v25 dst_sel:DWORD dst_unused:UNUSED_PAD src0_sel:WORD_0 src1_sel:DWORD
	v_mul_u32_u24_sdwa v10, v10, v25 dst_sel:DWORD dst_unused:UNUSED_PAD src0_sel:WORD_1 src1_sel:DWORD
	v_mul_u32_u24_sdwa v48, v11, v25 dst_sel:DWORD dst_unused:UNUSED_PAD src0_sel:WORD_0 src1_sel:DWORD
	v_mul_u32_u24_sdwa v11, v11, v25 dst_sel:DWORD dst_unused:UNUSED_PAD src0_sel:WORD_1 src1_sel:DWORD
	v_pk_fma_f16 v42, v1, v47, v42
	v_pk_fma_f16 v43, v1, v10, v43
	v_pk_fma_f16 v44, v1, v48, v44
	v_pk_fma_f16 v1, v1, v11, v45
	v_pk_fma_f16 v40, v2, v47, v40
	v_pk_fma_f16 v10, v2, v10, v46
	v_pk_fma_f16 v37, v2, v48, v37
	v_pk_fma_f16 v2, v2, v11, v41
	v_mul_u32_u24_sdwa v11, v12, v25 dst_sel:DWORD dst_unused:UNUSED_PAD src0_sel:WORD_0 src1_sel:DWORD
	v_mul_u32_u24_sdwa v12, v12, v25 dst_sel:DWORD dst_unused:UNUSED_PAD src0_sel:WORD_1 src1_sel:DWORD
	v_mul_u32_u24_sdwa v41, v13, v25 dst_sel:DWORD dst_unused:UNUSED_PAD src0_sel:WORD_0 src1_sel:DWORD
	v_mul_u32_u24_sdwa v13, v13, v25 dst_sel:DWORD dst_unused:UNUSED_PAD src0_sel:WORD_1 src1_sel:DWORD
	v_pk_fma_f16 v42, v3, v11, v42
	v_pk_fma_f16 v43, v3, v12, v43
	v_pk_fma_f16 v44, v3, v41, v44
	v_pk_fma_f16 v45, v3, v13, v1
	v_pk_fma_f16 v40, v4, v11, v40
	v_pk_fma_f16 v46, v4, v12, v10
	v_pk_fma_f16 v37, v4, v41, v37
	v_pk_fma_f16 v41, v4, v13, v2
	ds_read2_b64 v[1:4], v39 offset0:64 offset1:96
	ds_read_b128 v[10:13], v36 offset:19216
	s_waitcnt lgkmcnt(0)
	v_mul_u32_u24_sdwa v47, v10, v25 dst_sel:DWORD dst_unused:UNUSED_PAD src0_sel:WORD_0 src1_sel:DWORD
	v_mul_u32_u24_sdwa v10, v10, v25 dst_sel:DWORD dst_unused:UNUSED_PAD src0_sel:WORD_1 src1_sel:DWORD
	v_mul_u32_u24_sdwa v48, v11, v25 dst_sel:DWORD dst_unused:UNUSED_PAD src0_sel:WORD_0 src1_sel:DWORD
	v_mul_u32_u24_sdwa v11, v11, v25 dst_sel:DWORD dst_unused:UNUSED_PAD src0_sel:WORD_1 src1_sel:DWORD
	v_pk_fma_f16 v42, v1, v47, v42
	v_pk_fma_f16 v43, v1, v10, v43
	v_pk_fma_f16 v44, v1, v48, v44
	v_pk_fma_f16 v1, v1, v11, v45
	v_pk_fma_f16 v40, v2, v47, v40
	v_pk_fma_f16 v10, v2, v10, v46
	v_pk_fma_f16 v37, v2, v48, v37
	v_pk_fma_f16 v2, v2, v11, v41
	v_mul_u32_u24_sdwa v11, v12, v25 dst_sel:DWORD dst_unused:UNUSED_PAD src0_sel:WORD_0 src1_sel:DWORD
	v_mul_u32_u24_sdwa v12, v12, v25 dst_sel:DWORD dst_unused:UNUSED_PAD src0_sel:WORD_1 src1_sel:DWORD
	v_mul_u32_u24_sdwa v41, v13, v25 dst_sel:DWORD dst_unused:UNUSED_PAD src0_sel:WORD_0 src1_sel:DWORD
	v_mul_u32_u24_sdwa v13, v13, v25 dst_sel:DWORD dst_unused:UNUSED_PAD src0_sel:WORD_1 src1_sel:DWORD
	v_pk_fma_f16 v42, v3, v11, v42
	v_pk_fma_f16 v43, v3, v12, v43
	v_pk_fma_f16 v44, v3, v41, v44
	v_pk_fma_f16 v45, v3, v13, v1
	v_pk_fma_f16 v40, v4, v11, v40
	v_pk_fma_f16 v46, v4, v12, v10
	v_pk_fma_f16 v37, v4, v41, v37
	v_pk_fma_f16 v41, v4, v13, v2
	ds_read2_b64 v[1:4], v39 offset0:128 offset1:160
	;; [unrolled: 27-line block ×3, first 2 shown]
	ds_read_b128 v[10:13], v36 offset:19248
	s_waitcnt lgkmcnt(0)
	v_mul_u32_u24_sdwa v39, v10, v25 dst_sel:DWORD dst_unused:UNUSED_PAD src0_sel:WORD_0 src1_sel:DWORD
	v_mul_u32_u24_sdwa v10, v10, v25 dst_sel:DWORD dst_unused:UNUSED_PAD src0_sel:WORD_1 src1_sel:DWORD
	v_mul_u32_u24_sdwa v47, v11, v25 dst_sel:DWORD dst_unused:UNUSED_PAD src0_sel:WORD_0 src1_sel:DWORD
	v_mul_u32_u24_sdwa v11, v11, v25 dst_sel:DWORD dst_unused:UNUSED_PAD src0_sel:WORD_1 src1_sel:DWORD
	v_pk_fma_f16 v42, v1, v39, v42
	v_pk_fma_f16 v43, v1, v10, v43
	;; [unrolled: 1-line block ×8, first 2 shown]
	v_mul_u32_u24_sdwa v11, v12, v25 dst_sel:DWORD dst_unused:UNUSED_PAD src0_sel:WORD_0 src1_sel:DWORD
	v_mul_u32_u24_sdwa v12, v12, v25 dst_sel:DWORD dst_unused:UNUSED_PAD src0_sel:WORD_1 src1_sel:DWORD
	v_mul_u32_u24_sdwa v40, v13, v25 dst_sel:DWORD dst_unused:UNUSED_PAD src0_sel:WORD_0 src1_sel:DWORD
	v_mul_u32_u24_sdwa v13, v13, v25 dst_sel:DWORD dst_unused:UNUSED_PAD src0_sel:WORD_1 src1_sel:DWORD
	v_pk_fma_f16 v41, v3, v11, v42
	v_pk_fma_f16 v42, v3, v12, v43
	;; [unrolled: 1-line block ×8, first 2 shown]
	ds_read2_b64 v[1:4], v38 offset1:32
	ds_read_b128 v[10:13], v36 offset:19264
	s_waitcnt lgkmcnt(0)
	v_mul_u32_u24_sdwa v46, v10, v25 dst_sel:DWORD dst_unused:UNUSED_PAD src0_sel:WORD_0 src1_sel:DWORD
	v_mul_u32_u24_sdwa v10, v10, v25 dst_sel:DWORD dst_unused:UNUSED_PAD src0_sel:WORD_1 src1_sel:DWORD
	v_mul_u32_u24_sdwa v47, v11, v25 dst_sel:DWORD dst_unused:UNUSED_PAD src0_sel:WORD_0 src1_sel:DWORD
	v_mul_u32_u24_sdwa v11, v11, v25 dst_sel:DWORD dst_unused:UNUSED_PAD src0_sel:WORD_1 src1_sel:DWORD
	v_pk_fma_f16 v41, v1, v46, v41
	v_pk_fma_f16 v42, v1, v10, v42
	v_pk_fma_f16 v43, v1, v47, v43
	v_pk_fma_f16 v1, v1, v11, v44
	v_pk_fma_f16 v39, v2, v46, v39
	v_pk_fma_f16 v10, v2, v10, v45
	v_pk_fma_f16 v37, v2, v47, v37
	v_pk_fma_f16 v2, v2, v11, v40
	v_mul_u32_u24_sdwa v11, v12, v25 dst_sel:DWORD dst_unused:UNUSED_PAD src0_sel:WORD_0 src1_sel:DWORD
	v_mul_u32_u24_sdwa v12, v12, v25 dst_sel:DWORD dst_unused:UNUSED_PAD src0_sel:WORD_1 src1_sel:DWORD
	v_mul_u32_u24_sdwa v40, v13, v25 dst_sel:DWORD dst_unused:UNUSED_PAD src0_sel:WORD_0 src1_sel:DWORD
	v_mul_u32_u24_sdwa v13, v13, v25 dst_sel:DWORD dst_unused:UNUSED_PAD src0_sel:WORD_1 src1_sel:DWORD
	v_pk_fma_f16 v41, v3, v11, v41
	v_pk_fma_f16 v42, v3, v12, v42
	v_pk_fma_f16 v43, v3, v40, v43
	v_pk_fma_f16 v44, v3, v13, v1
	v_pk_fma_f16 v39, v4, v11, v39
	v_pk_fma_f16 v45, v4, v12, v10
	v_pk_fma_f16 v37, v4, v40, v37
	v_pk_fma_f16 v40, v4, v13, v2
	ds_read2_b64 v[1:4], v38 offset0:64 offset1:96
	ds_read_b128 v[10:13], v36 offset:19280
	s_waitcnt lgkmcnt(0)
	v_mul_u32_u24_sdwa v46, v10, v25 dst_sel:DWORD dst_unused:UNUSED_PAD src0_sel:WORD_0 src1_sel:DWORD
	v_mul_u32_u24_sdwa v10, v10, v25 dst_sel:DWORD dst_unused:UNUSED_PAD src0_sel:WORD_1 src1_sel:DWORD
	v_mul_u32_u24_sdwa v47, v11, v25 dst_sel:DWORD dst_unused:UNUSED_PAD src0_sel:WORD_0 src1_sel:DWORD
	v_mul_u32_u24_sdwa v11, v11, v25 dst_sel:DWORD dst_unused:UNUSED_PAD src0_sel:WORD_1 src1_sel:DWORD
	v_pk_fma_f16 v41, v1, v46, v41
	v_pk_fma_f16 v42, v1, v10, v42
	v_pk_fma_f16 v43, v1, v47, v43
	v_pk_fma_f16 v1, v1, v11, v44
	v_pk_fma_f16 v39, v2, v46, v39
	v_pk_fma_f16 v10, v2, v10, v45
	v_pk_fma_f16 v37, v2, v47, v37
	v_pk_fma_f16 v2, v2, v11, v40
	v_mul_u32_u24_sdwa v11, v12, v25 dst_sel:DWORD dst_unused:UNUSED_PAD src0_sel:WORD_0 src1_sel:DWORD
	v_mul_u32_u24_sdwa v12, v12, v25 dst_sel:DWORD dst_unused:UNUSED_PAD src0_sel:WORD_1 src1_sel:DWORD
	v_mul_u32_u24_sdwa v40, v13, v25 dst_sel:DWORD dst_unused:UNUSED_PAD src0_sel:WORD_0 src1_sel:DWORD
	v_mul_u32_u24_sdwa v13, v13, v25 dst_sel:DWORD dst_unused:UNUSED_PAD src0_sel:WORD_1 src1_sel:DWORD
	v_pk_fma_f16 v41, v3, v11, v41
	v_pk_fma_f16 v42, v3, v12, v42
	v_pk_fma_f16 v43, v3, v40, v43
	v_pk_fma_f16 v44, v3, v13, v1
	v_pk_fma_f16 v39, v4, v11, v39
	v_pk_fma_f16 v45, v4, v12, v10
	v_pk_fma_f16 v37, v4, v40, v37
	v_pk_fma_f16 v40, v4, v13, v2
	ds_read2_b64 v[1:4], v38 offset0:128 offset1:160
	;; [unrolled: 27-line block ×3, first 2 shown]
	ds_read_b128 v[10:13], v36 offset:19312
	s_waitcnt lgkmcnt(0)
	v_mul_u32_u24_sdwa v38, v10, v25 dst_sel:DWORD dst_unused:UNUSED_PAD src0_sel:WORD_0 src1_sel:DWORD
	v_mul_u32_u24_sdwa v10, v10, v25 dst_sel:DWORD dst_unused:UNUSED_PAD src0_sel:WORD_1 src1_sel:DWORD
	v_mul_u32_u24_sdwa v46, v11, v25 dst_sel:DWORD dst_unused:UNUSED_PAD src0_sel:WORD_0 src1_sel:DWORD
	v_mul_u32_u24_sdwa v11, v11, v25 dst_sel:DWORD dst_unused:UNUSED_PAD src0_sel:WORD_1 src1_sel:DWORD
	v_pk_fma_f16 v41, v1, v38, v41
	v_pk_fma_f16 v42, v1, v10, v42
	;; [unrolled: 1-line block ×8, first 2 shown]
	v_mul_u32_u24_sdwa v11, v12, v25 dst_sel:DWORD dst_unused:UNUSED_PAD src0_sel:WORD_0 src1_sel:DWORD
	v_mul_u32_u24_sdwa v12, v12, v25 dst_sel:DWORD dst_unused:UNUSED_PAD src0_sel:WORD_1 src1_sel:DWORD
	v_mul_u32_u24_sdwa v39, v13, v25 dst_sel:DWORD dst_unused:UNUSED_PAD src0_sel:WORD_0 src1_sel:DWORD
	v_mul_u32_u24_sdwa v13, v13, v25 dst_sel:DWORD dst_unused:UNUSED_PAD src0_sel:WORD_1 src1_sel:DWORD
	v_pk_fma_f16 v40, v3, v11, v41
	v_pk_fma_f16 v41, v3, v12, v42
	;; [unrolled: 1-line block ×8, first 2 shown]
	ds_read2_b64 v[1:4], v23 offset1:32
	ds_read_b128 v[10:13], v36 offset:19328
	s_waitcnt lgkmcnt(0)
	v_mul_u32_u24_sdwa v45, v10, v25 dst_sel:DWORD dst_unused:UNUSED_PAD src0_sel:WORD_0 src1_sel:DWORD
	v_mul_u32_u24_sdwa v10, v10, v25 dst_sel:DWORD dst_unused:UNUSED_PAD src0_sel:WORD_1 src1_sel:DWORD
	v_mul_u32_u24_sdwa v46, v11, v25 dst_sel:DWORD dst_unused:UNUSED_PAD src0_sel:WORD_0 src1_sel:DWORD
	v_mul_u32_u24_sdwa v11, v11, v25 dst_sel:DWORD dst_unused:UNUSED_PAD src0_sel:WORD_1 src1_sel:DWORD
	v_pk_fma_f16 v40, v1, v45, v40
	v_pk_fma_f16 v41, v1, v10, v41
	v_pk_fma_f16 v42, v1, v46, v42
	v_pk_fma_f16 v1, v1, v11, v43
	v_pk_fma_f16 v38, v2, v45, v38
	v_pk_fma_f16 v10, v2, v10, v44
	v_pk_fma_f16 v37, v2, v46, v37
	v_pk_fma_f16 v2, v2, v11, v39
	v_mul_u32_u24_sdwa v11, v12, v25 dst_sel:DWORD dst_unused:UNUSED_PAD src0_sel:WORD_0 src1_sel:DWORD
	v_mul_u32_u24_sdwa v12, v12, v25 dst_sel:DWORD dst_unused:UNUSED_PAD src0_sel:WORD_1 src1_sel:DWORD
	v_mul_u32_u24_sdwa v39, v13, v25 dst_sel:DWORD dst_unused:UNUSED_PAD src0_sel:WORD_0 src1_sel:DWORD
	v_mul_u32_u24_sdwa v13, v13, v25 dst_sel:DWORD dst_unused:UNUSED_PAD src0_sel:WORD_1 src1_sel:DWORD
	v_pk_fma_f16 v40, v3, v11, v40
	v_pk_fma_f16 v41, v3, v12, v41
	v_pk_fma_f16 v42, v3, v39, v42
	v_pk_fma_f16 v43, v3, v13, v1
	v_pk_fma_f16 v38, v4, v11, v38
	v_pk_fma_f16 v44, v4, v12, v10
	v_pk_fma_f16 v37, v4, v39, v37
	v_pk_fma_f16 v39, v4, v13, v2
	ds_read2_b64 v[1:4], v23 offset0:64 offset1:96
	ds_read_b128 v[10:13], v36 offset:19344
	s_waitcnt lgkmcnt(0)
	v_mul_u32_u24_sdwa v45, v10, v25 dst_sel:DWORD dst_unused:UNUSED_PAD src0_sel:WORD_0 src1_sel:DWORD
	v_mul_u32_u24_sdwa v10, v10, v25 dst_sel:DWORD dst_unused:UNUSED_PAD src0_sel:WORD_1 src1_sel:DWORD
	v_mul_u32_u24_sdwa v46, v11, v25 dst_sel:DWORD dst_unused:UNUSED_PAD src0_sel:WORD_0 src1_sel:DWORD
	v_mul_u32_u24_sdwa v11, v11, v25 dst_sel:DWORD dst_unused:UNUSED_PAD src0_sel:WORD_1 src1_sel:DWORD
	v_pk_fma_f16 v40, v1, v45, v40
	v_pk_fma_f16 v41, v1, v10, v41
	v_pk_fma_f16 v42, v1, v46, v42
	v_pk_fma_f16 v1, v1, v11, v43
	v_pk_fma_f16 v38, v2, v45, v38
	v_pk_fma_f16 v10, v2, v10, v44
	v_pk_fma_f16 v37, v2, v46, v37
	v_pk_fma_f16 v2, v2, v11, v39
	v_mul_u32_u24_sdwa v11, v12, v25 dst_sel:DWORD dst_unused:UNUSED_PAD src0_sel:WORD_0 src1_sel:DWORD
	v_mul_u32_u24_sdwa v12, v12, v25 dst_sel:DWORD dst_unused:UNUSED_PAD src0_sel:WORD_1 src1_sel:DWORD
	v_mul_u32_u24_sdwa v39, v13, v25 dst_sel:DWORD dst_unused:UNUSED_PAD src0_sel:WORD_0 src1_sel:DWORD
	v_mul_u32_u24_sdwa v13, v13, v25 dst_sel:DWORD dst_unused:UNUSED_PAD src0_sel:WORD_1 src1_sel:DWORD
	v_pk_fma_f16 v40, v3, v11, v40
	v_pk_fma_f16 v41, v3, v12, v41
	v_pk_fma_f16 v42, v3, v39, v42
	v_pk_fma_f16 v43, v3, v13, v1
	v_pk_fma_f16 v38, v4, v11, v38
	v_pk_fma_f16 v44, v4, v12, v10
	v_pk_fma_f16 v37, v4, v39, v37
	v_pk_fma_f16 v39, v4, v13, v2
	ds_read2_b64 v[1:4], v23 offset0:128 offset1:160
	;; [unrolled: 27-line block ×3, first 2 shown]
	ds_read_b128 v[10:13], v36 offset:19376
	s_waitcnt lgkmcnt(0)
	v_mul_u32_u24_sdwa v23, v10, v25 dst_sel:DWORD dst_unused:UNUSED_PAD src0_sel:WORD_0 src1_sel:DWORD
	v_mul_u32_u24_sdwa v10, v10, v25 dst_sel:DWORD dst_unused:UNUSED_PAD src0_sel:WORD_1 src1_sel:DWORD
	v_mul_u32_u24_sdwa v45, v11, v25 dst_sel:DWORD dst_unused:UNUSED_PAD src0_sel:WORD_0 src1_sel:DWORD
	v_mul_u32_u24_sdwa v11, v11, v25 dst_sel:DWORD dst_unused:UNUSED_PAD src0_sel:WORD_1 src1_sel:DWORD
	v_pk_fma_f16 v40, v1, v23, v40
	v_pk_fma_f16 v41, v1, v10, v41
	;; [unrolled: 1-line block ×8, first 2 shown]
	v_mul_u32_u24_sdwa v11, v12, v25 dst_sel:DWORD dst_unused:UNUSED_PAD src0_sel:WORD_0 src1_sel:DWORD
	v_mul_u32_u24_sdwa v12, v12, v25 dst_sel:DWORD dst_unused:UNUSED_PAD src0_sel:WORD_1 src1_sel:DWORD
	v_mul_u32_u24_sdwa v38, v13, v25 dst_sel:DWORD dst_unused:UNUSED_PAD src0_sel:WORD_0 src1_sel:DWORD
	v_mul_u32_u24_sdwa v13, v13, v25 dst_sel:DWORD dst_unused:UNUSED_PAD src0_sel:WORD_1 src1_sel:DWORD
	v_pk_fma_f16 v39, v3, v11, v40
	v_pk_fma_f16 v40, v3, v12, v41
	v_pk_fma_f16 v41, v3, v38, v42
	v_pk_fma_f16 v42, v3, v13, v1
	v_pk_fma_f16 v23, v4, v11, v23
	v_pk_fma_f16 v43, v4, v12, v10
	v_pk_fma_f16 v37, v4, v38, v37
	v_pk_fma_f16 v38, v4, v13, v2
	ds_read2_b64 v[1:4], v22 offset1:32
	ds_read_b128 v[10:13], v36 offset:19392
	s_waitcnt lgkmcnt(0)
	v_mul_u32_u24_sdwa v44, v10, v25 dst_sel:DWORD dst_unused:UNUSED_PAD src0_sel:WORD_0 src1_sel:DWORD
	v_mul_u32_u24_sdwa v10, v10, v25 dst_sel:DWORD dst_unused:UNUSED_PAD src0_sel:WORD_1 src1_sel:DWORD
	v_mul_u32_u24_sdwa v45, v11, v25 dst_sel:DWORD dst_unused:UNUSED_PAD src0_sel:WORD_0 src1_sel:DWORD
	v_mul_u32_u24_sdwa v11, v11, v25 dst_sel:DWORD dst_unused:UNUSED_PAD src0_sel:WORD_1 src1_sel:DWORD
	v_pk_fma_f16 v39, v1, v44, v39
	v_pk_fma_f16 v40, v1, v10, v40
	v_pk_fma_f16 v41, v1, v45, v41
	v_pk_fma_f16 v1, v1, v11, v42
	v_pk_fma_f16 v23, v2, v44, v23
	v_pk_fma_f16 v10, v2, v10, v43
	v_pk_fma_f16 v37, v2, v45, v37
	v_pk_fma_f16 v2, v2, v11, v38
	v_mul_u32_u24_sdwa v11, v12, v25 dst_sel:DWORD dst_unused:UNUSED_PAD src0_sel:WORD_0 src1_sel:DWORD
	v_mul_u32_u24_sdwa v12, v12, v25 dst_sel:DWORD dst_unused:UNUSED_PAD src0_sel:WORD_1 src1_sel:DWORD
	v_mul_u32_u24_sdwa v38, v13, v25 dst_sel:DWORD dst_unused:UNUSED_PAD src0_sel:WORD_0 src1_sel:DWORD
	v_mul_u32_u24_sdwa v13, v13, v25 dst_sel:DWORD dst_unused:UNUSED_PAD src0_sel:WORD_1 src1_sel:DWORD
	v_pk_fma_f16 v39, v3, v11, v39
	v_pk_fma_f16 v40, v3, v12, v40
	v_pk_fma_f16 v41, v3, v38, v41
	v_pk_fma_f16 v42, v3, v13, v1
	v_pk_fma_f16 v23, v4, v11, v23
	v_pk_fma_f16 v43, v4, v12, v10
	v_pk_fma_f16 v37, v4, v38, v37
	v_pk_fma_f16 v38, v4, v13, v2
	ds_read2_b64 v[1:4], v22 offset0:64 offset1:96
	ds_read_b128 v[10:13], v36 offset:19408
	s_waitcnt lgkmcnt(0)
	v_mul_u32_u24_sdwa v44, v10, v25 dst_sel:DWORD dst_unused:UNUSED_PAD src0_sel:WORD_0 src1_sel:DWORD
	v_mul_u32_u24_sdwa v10, v10, v25 dst_sel:DWORD dst_unused:UNUSED_PAD src0_sel:WORD_1 src1_sel:DWORD
	v_mul_u32_u24_sdwa v45, v11, v25 dst_sel:DWORD dst_unused:UNUSED_PAD src0_sel:WORD_0 src1_sel:DWORD
	v_mul_u32_u24_sdwa v11, v11, v25 dst_sel:DWORD dst_unused:UNUSED_PAD src0_sel:WORD_1 src1_sel:DWORD
	v_pk_fma_f16 v39, v1, v44, v39
	v_pk_fma_f16 v40, v1, v10, v40
	v_pk_fma_f16 v41, v1, v45, v41
	v_pk_fma_f16 v1, v1, v11, v42
	v_pk_fma_f16 v23, v2, v44, v23
	v_pk_fma_f16 v10, v2, v10, v43
	v_pk_fma_f16 v37, v2, v45, v37
	v_pk_fma_f16 v2, v2, v11, v38
	v_mul_u32_u24_sdwa v11, v12, v25 dst_sel:DWORD dst_unused:UNUSED_PAD src0_sel:WORD_0 src1_sel:DWORD
	v_mul_u32_u24_sdwa v12, v12, v25 dst_sel:DWORD dst_unused:UNUSED_PAD src0_sel:WORD_1 src1_sel:DWORD
	v_mul_u32_u24_sdwa v38, v13, v25 dst_sel:DWORD dst_unused:UNUSED_PAD src0_sel:WORD_0 src1_sel:DWORD
	v_mul_u32_u24_sdwa v13, v13, v25 dst_sel:DWORD dst_unused:UNUSED_PAD src0_sel:WORD_1 src1_sel:DWORD
	v_pk_fma_f16 v39, v3, v11, v39
	v_pk_fma_f16 v40, v3, v12, v40
	v_pk_fma_f16 v41, v3, v38, v41
	v_pk_fma_f16 v42, v3, v13, v1
	v_pk_fma_f16 v23, v4, v11, v23
	v_pk_fma_f16 v43, v4, v12, v10
	v_pk_fma_f16 v37, v4, v38, v37
	v_pk_fma_f16 v38, v4, v13, v2
	ds_read2_b64 v[1:4], v22 offset0:128 offset1:160
	;; [unrolled: 27-line block ×3, first 2 shown]
	ds_read_b128 v[10:13], v36 offset:19440
	s_waitcnt lgkmcnt(0)
	s_barrier
	buffer_gl0_inv
	v_mul_u32_u24_sdwa v22, v10, v25 dst_sel:DWORD dst_unused:UNUSED_PAD src0_sel:WORD_0 src1_sel:DWORD
	v_mul_u32_u24_sdwa v10, v10, v25 dst_sel:DWORD dst_unused:UNUSED_PAD src0_sel:WORD_1 src1_sel:DWORD
	v_mul_u32_u24_sdwa v36, v11, v25 dst_sel:DWORD dst_unused:UNUSED_PAD src0_sel:WORD_0 src1_sel:DWORD
	v_mul_u32_u24_sdwa v11, v11, v25 dst_sel:DWORD dst_unused:UNUSED_PAD src0_sel:WORD_1 src1_sel:DWORD
	v_pk_fma_f16 v39, v1, v22, v39
	v_pk_fma_f16 v40, v1, v10, v40
	;; [unrolled: 1-line block ×8, first 2 shown]
	v_mul_u32_u24_sdwa v11, v12, v25 dst_sel:DWORD dst_unused:UNUSED_PAD src0_sel:WORD_0 src1_sel:DWORD
	v_mul_u32_u24_sdwa v12, v12, v25 dst_sel:DWORD dst_unused:UNUSED_PAD src0_sel:WORD_1 src1_sel:DWORD
	v_mul_u32_u24_sdwa v36, v13, v25 dst_sel:DWORD dst_unused:UNUSED_PAD src0_sel:WORD_0 src1_sel:DWORD
	v_mul_u32_u24_sdwa v13, v13, v25 dst_sel:DWORD dst_unused:UNUSED_PAD src0_sel:WORD_1 src1_sel:DWORD
	v_mov_b32_e32 v25, v20
	v_pk_fma_f16 v49, v3, v11, v39
	v_pk_fma_f16 v48, v3, v12, v40
	;; [unrolled: 1-line block ×8, first 2 shown]
	v_mov_b32_e32 v22, v5
	v_mov_b32_e32 v2, v6
	;; [unrolled: 1-line block ×7, first 2 shown]
.LBB87_260:
	v_cmp_lt_i32_e32 vcc_lo, v19, v14
	s_cmp_eq_u64 s[20:21], 0
	s_cselect_b32 s6, -1, 0
	s_cmp_lg_u32 s34, 0
	v_cndmask_b32_e32 v1, v35, v19, vcc_lo
	v_cmp_lt_i32_e32 vcc_lo, v18, v14
	s_cselect_b32 s7, -1, 0
	s_or_b32 s6, s7, s6
	v_lshlrev_b32_e32 v1, 2, v1
	v_cndmask_b32_e32 v9, v35, v18, vcc_lo
	v_cmp_lt_i32_e32 vcc_lo, v17, v14
	ds_bpermute_b32 v6, v1, v25
	ds_bpermute_b32 v7, v1, v24
	;; [unrolled: 1-line block ×4, first 2 shown]
	v_lshlrev_b32_e32 v9, 2, v9
	v_cndmask_b32_e32 v13, v35, v17, vcc_lo
	v_cmp_lt_i32_e32 vcc_lo, v16, v14
	v_lshlrev_b32_e32 v13, 2, v13
	s_waitcnt lgkmcnt(3)
	v_add_f32_e32 v6, v25, v6
	s_waitcnt lgkmcnt(2)
	v_add_f32_e32 v7, v24, v7
	;; [unrolled: 2-line block ×4, first 2 shown]
	ds_bpermute_b32 v10, v9, v6
	ds_bpermute_b32 v11, v9, v7
	;; [unrolled: 1-line block ×4, first 2 shown]
	s_waitcnt lgkmcnt(3)
	v_add_f32_e32 v6, v6, v10
	s_waitcnt lgkmcnt(2)
	v_add_f32_e32 v7, v7, v11
	;; [unrolled: 2-line block ×4, first 2 shown]
	ds_bpermute_b32 v9, v13, v6
	ds_bpermute_b32 v10, v13, v7
	;; [unrolled: 1-line block ×4, first 2 shown]
	v_cndmask_b32_e32 v13, v35, v16, vcc_lo
	v_cmp_lt_i32_e32 vcc_lo, v15, v14
	v_lshlrev_b32_e32 v13, 2, v13
	s_waitcnt lgkmcnt(3)
	v_add_f32_e32 v6, v6, v9
	s_waitcnt lgkmcnt(2)
	v_add_f32_e32 v7, v7, v10
	;; [unrolled: 2-line block ×4, first 2 shown]
	ds_bpermute_b32 v9, v13, v6
	ds_bpermute_b32 v10, v13, v7
	;; [unrolled: 1-line block ×4, first 2 shown]
	v_cndmask_b32_e32 v13, v35, v15, vcc_lo
	s_and_b32 vcc_lo, exec_lo, s6
	v_lshlrev_b32_e32 v13, 2, v13
	s_waitcnt lgkmcnt(3)
	v_add_f32_e32 v6, v6, v9
	s_waitcnt lgkmcnt(2)
	v_add_f32_e32 v7, v7, v10
	;; [unrolled: 2-line block ×4, first 2 shown]
	ds_bpermute_b32 v9, v13, v6
	ds_bpermute_b32 v10, v13, v7
	ds_bpermute_b32 v11, v13, v8
	ds_bpermute_b32 v12, v13, v1
	s_waitcnt lgkmcnt(3)
	v_add_f32_e32 v6, v6, v9
	s_waitcnt lgkmcnt(2)
	v_add_f32_e32 v7, v7, v10
	;; [unrolled: 2-line block ×4, first 2 shown]
	s_cbranch_vccnz .LBB87_262
; %bb.261:
	s_lshl_b64 s[6:7], s[44:45], 2
	v_mov_b32_e32 v1, 0
	s_add_u32 s6, s20, s6
	s_addc_u32 s7, s21, s7
	v_max_f32_e32 v10, v2, v2
	v_max_f32_e32 v12, v3, v3
	global_load_dword v1, v1, s[6:7]
	v_max_f32_e32 v13, v4, v4
	v_max_f32_e32 v17, v5, v5
	v_mov_b32_e32 v18, 0x10001
	s_waitcnt vmcnt(0)
	v_max_f32_e32 v11, v1, v1
	v_max_f32_e32 v14, v10, v11
	;; [unrolled: 1-line block ×5, first 2 shown]
	v_sub_f32_e32 v2, v2, v14
	v_sub_f32_e32 v10, v1, v14
	;; [unrolled: 1-line block ×5, first 2 shown]
	v_mul_f32_e32 v13, 0x3fb8aa3b, v2
	v_mul_f32_e32 v19, 0x3fb8aa3b, v10
	;; [unrolled: 1-line block ×4, first 2 shown]
	v_sub_f32_e32 v12, v1, v16
	v_fma_f32 v35, 0x3fb8aa3b, v2, -v13
	v_rndne_f32_e32 v36, v13
	v_fma_f32 v37, 0x3fb8aa3b, v10, -v19
	v_rndne_f32_e32 v38, v19
	v_fma_f32 v39, 0x3fb8aa3b, v3, -v20
	v_fmac_f32_e32 v35, 0x32a5705f, v2
	v_sub_f32_e32 v13, v13, v36
	v_rndne_f32_e32 v40, v20
	v_fmac_f32_e32 v37, 0x32a5705f, v10
	v_sub_f32_e32 v19, v19, v38
	v_mul_f32_e32 v22, 0x3fb8aa3b, v4
	v_add_f32_e32 v13, v13, v35
	v_fma_f32 v41, 0x3fb8aa3b, v11, -v21
	v_rndne_f32_e32 v42, v21
	v_fmac_f32_e32 v39, 0x32a5705f, v3
	v_sub_f32_e32 v20, v20, v40
	v_add_f32_e32 v19, v19, v37
	v_exp_f32_e32 v13, v13
	v_sub_f32_e32 v5, v5, v17
	v_mul_f32_e32 v23, 0x3fb8aa3b, v12
	v_fma_f32 v43, 0x3fb8aa3b, v4, -v22
	v_rndne_f32_e32 v44, v22
	v_cvt_i32_f32_e32 v36, v36
	v_fmac_f32_e32 v41, 0x32a5705f, v11
	v_sub_f32_e32 v21, v21, v42
	v_add_f32_e32 v20, v20, v39
	v_exp_f32_e32 v19, v19
	v_sub_f32_e32 v1, v1, v17
	v_mul_f32_e32 v24, 0x3fb8aa3b, v5
	v_fma_f32 v45, 0x3fb8aa3b, v12, -v23
	v_rndne_f32_e32 v46, v23
	v_cvt_i32_f32_e32 v38, v38
	v_fmac_f32_e32 v43, 0x32a5705f, v4
	v_sub_f32_e32 v22, v22, v44
	v_add_f32_e32 v21, v21, v41
	v_exp_f32_e32 v20, v20
	v_ldexp_f32 v13, v13, v36
	v_cmp_ngt_f32_e32 vcc_lo, 0xc2ce8ed0, v2
	v_mul_f32_e32 v25, 0x3fb8aa3b, v1
	v_fma_f32 v55, 0x3fb8aa3b, v5, -v24
	v_rndne_f32_e32 v56, v24
	v_cvt_i32_f32_e32 v40, v40
	v_fmac_f32_e32 v45, 0x32a5705f, v12
	v_sub_f32_e32 v23, v23, v46
	v_add_f32_e32 v22, v22, v43
	v_exp_f32_e32 v21, v21
	v_ldexp_f32 v19, v19, v38
	v_cndmask_b32_e32 v13, 0, v13, vcc_lo
	v_cmp_ngt_f32_e32 vcc_lo, 0xc2ce8ed0, v10
	v_fma_f32 v57, 0x3fb8aa3b, v1, -v25
	v_rndne_f32_e32 v58, v25
	v_cvt_i32_f32_e32 v42, v42
	v_fmac_f32_e32 v55, 0x32a5705f, v5
	v_sub_f32_e32 v24, v24, v56
	v_add_f32_e32 v23, v23, v45
	v_exp_f32_e32 v22, v22
	v_ldexp_f32 v20, v20, v40
	v_cndmask_b32_e32 v19, 0, v19, vcc_lo
	v_cmp_ngt_f32_e32 vcc_lo, 0xc2ce8ed0, v3
	v_cvt_i32_f32_e32 v44, v44
	v_fmac_f32_e32 v57, 0x32a5705f, v1
	v_sub_f32_e32 v25, v25, v58
	v_add_f32_e32 v24, v24, v55
	v_exp_f32_e32 v23, v23
	v_ldexp_f32 v21, v21, v42
	v_cndmask_b32_e32 v20, 0, v20, vcc_lo
	v_cmp_ngt_f32_e32 vcc_lo, 0xc2ce8ed0, v11
	v_cvt_i32_f32_e32 v46, v46
	v_add_f32_e32 v25, v25, v57
	v_exp_f32_e32 v24, v24
	v_ldexp_f32 v22, v22, v44
	v_cndmask_b32_e32 v21, 0, v21, vcc_lo
	v_cmp_ngt_f32_e32 vcc_lo, 0xc2ce8ed0, v4
	v_exp_f32_e32 v25, v25
	v_cvt_i32_f32_e32 v35, v56
	v_ldexp_f32 v23, v23, v46
	v_cvt_i32_f32_e32 v37, v58
	v_cndmask_b32_e32 v22, 0, v22, vcc_lo
	v_cmp_ngt_f32_e32 vcc_lo, 0xc2ce8ed0, v12
	v_ldexp_f32 v24, v24, v35
	v_cndmask_b32_e32 v23, 0, v23, vcc_lo
	v_cmp_ngt_f32_e32 vcc_lo, 0xc2ce8ed0, v5
	v_ldexp_f32 v25, v25, v37
	v_cndmask_b32_e32 v24, 0, v24, vcc_lo
	v_cmp_ngt_f32_e32 vcc_lo, 0xc2ce8ed0, v1
	v_cndmask_b32_e32 v25, 0, v25, vcc_lo
	v_cmp_nlt_f32_e32 vcc_lo, 0x42b17218, v2
	v_cndmask_b32_e32 v2, 0x7f800000, v13, vcc_lo
	v_cmp_nlt_f32_e32 vcc_lo, 0x42b17218, v10
	;; [unrolled: 2-line block ×3, first 2 shown]
	v_fmac_f32_e32 v10, v6, v2
	v_cndmask_b32_e32 v3, 0x7f800000, v20, vcc_lo
	v_cmp_nlt_f32_e32 vcc_lo, 0x42b17218, v11
	v_cndmask_b32_e32 v11, 0x7f800000, v21, vcc_lo
	v_cmp_nlt_f32_e32 vcc_lo, 0x42b17218, v4
	v_fmac_f32_e32 v11, v7, v3
	v_cndmask_b32_e32 v4, 0x7f800000, v22, vcc_lo
	v_cmp_nlt_f32_e32 vcc_lo, 0x42b17218, v12
	v_cndmask_b32_e32 v12, 0x7f800000, v23, vcc_lo
	v_cmp_nlt_f32_e32 vcc_lo, 0x42b17218, v5
	v_fmac_f32_e32 v12, v8, v4
	v_cndmask_b32_e32 v5, 0x7f800000, v24, vcc_lo
	v_cmp_nlt_f32_e32 vcc_lo, 0x42b17218, v1
	v_cvt_f16_f32_e32 v1, v2
	v_cvt_f16_f32_e32 v2, v3
	;; [unrolled: 1-line block ×4, first 2 shown]
	v_cndmask_b32_e32 v13, 0x7f800000, v25, vcc_lo
	v_mul_u32_u24_sdwa v1, v1, v18 dst_sel:DWORD dst_unused:UNUSED_PAD src0_sel:WORD_0 src1_sel:DWORD
	v_mul_u32_u24_sdwa v2, v2, v18 dst_sel:DWORD dst_unused:UNUSED_PAD src0_sel:WORD_0 src1_sel:DWORD
	;; [unrolled: 1-line block ×4, first 2 shown]
	v_fmac_f32_e32 v13, v9, v5
	v_mov_b32_e32 v6, v10
	v_pk_mul_f16 v48, v48, v2
	v_pk_mul_f16 v53, v53, v2
	;; [unrolled: 1-line block ×6, first 2 shown]
	v_mov_b32_e32 v2, v14
	v_mov_b32_e32 v7, v11
	;; [unrolled: 1-line block ×4, first 2 shown]
	v_pk_mul_f16 v49, v49, v1
	v_pk_mul_f16 v54, v54, v1
	v_mov_b32_e32 v3, v15
	v_mov_b32_e32 v4, v16
	;; [unrolled: 1-line block ×3, first 2 shown]
	s_mov_b32 s6, exec_lo
	v_cmpx_gt_i32_e64 s30, v33
	s_cbranch_execnz .LBB87_263
	s_branch .LBB87_282
.LBB87_262:
	v_mov_b32_e32 v10, v6
	v_mov_b32_e32 v11, v7
	;; [unrolled: 1-line block ×4, first 2 shown]
	s_mov_b32 s6, exec_lo
	v_cmpx_gt_i32_e64 s30, v33
	s_cbranch_execz .LBB87_282
.LBB87_263:
	s_load_dword s5, s[4:5], 0xd4
	v_mov_b32_e32 v1, 1.0
	s_waitcnt lgkmcnt(0)
	s_cmp_lg_u32 s5, 1
	s_cselect_b32 s8, -1, 0
	s_cmp_eq_u32 s5, 1
	s_cselect_b32 s7, -1, 0
	s_and_b32 vcc_lo, exec_lo, s8
	s_cbranch_vccnz .LBB87_265
; %bb.264:
	v_div_scale_f32 v1, null, v10, v10, 1.0
	v_rcp_f32_e32 v14, v1
	v_fma_f32 v15, -v1, v14, 1.0
	v_fmac_f32_e32 v14, v15, v14
	v_div_scale_f32 v15, vcc_lo, 1.0, v10, 1.0
	v_mul_f32_e32 v16, v15, v14
	v_fma_f32 v17, -v1, v16, v15
	v_fmac_f32_e32 v16, v17, v14
	v_fma_f32 v1, -v1, v16, v15
	v_div_fmas_f32 v1, v1, v14, v16
	v_div_fixup_f32 v1, v1, v10, 1.0
.LBB87_265:
	s_mul_i32 s6, s33, s30
	v_mov_b32_e32 v16, 0
	s_add_i32 s6, s6, s18
	v_cmp_eq_u32_e32 vcc_lo, 0, v0
	v_add_nc_u32_e32 v10, s6, v31
	v_cvt_f32_f16_e32 v0, v49
	v_cvt_f32_f16_e32 v17, v54
	v_cvt_f32_f16_sdwa v18, v54 dst_sel:DWORD dst_unused:UNUSED_PAD src0_sel:WORD_1
	v_mad_u64_u32 v[14:15], null, v10, s31, s[44:45]
	v_cvt_f32_f16_sdwa v10, v49 dst_sel:DWORD dst_unused:UNUSED_PAD src0_sel:WORD_1
	v_mul_f32_e32 v17, v1, v17
	v_mul_f32_e32 v18, v1, v18
	v_mad_u64_u32 v[14:15], null, s5, v14, s[34:35]
	v_lshl_add_u32 v15, v14, 7, v32
	v_lshlrev_b64 v[19:20], 2, v[15:16]
	v_mul_f32_e32 v15, v1, v0
	v_mul_f32_e32 v16, v1, v10
	v_add_co_u32 v0, s4, s24, v19
	v_add_co_ci_u32_e64 v1, null, s25, v20, s4
	s_and_b32 s4, vcc_lo, s8
	global_store_dwordx4 v[0:1], v[15:18], off
	s_and_saveexec_b32 s8, s4
	s_cbranch_execz .LBB87_267
; %bb.266:
	v_ashrrev_i32_e32 v15, 31, v14
	v_lshlrev_b64 v[0:1], 3, v[14:15]
	v_mov_b32_e32 v14, v2
	v_mov_b32_e32 v15, v6
	v_add_co_u32 v0, vcc_lo, s26, v0
	v_add_co_ci_u32_e64 v1, null, s27, v1, vcc_lo
	global_store_dwordx2 v[0:1], v[14:15], off
.LBB87_267:
	s_or_b32 exec_lo, exec_lo, s8
	v_cmp_gt_i32_e32 vcc_lo, s30, v34
	s_and_b32 exec_lo, exec_lo, vcc_lo
	s_cbranch_execz .LBB87_282
; %bb.268:
	v_cndmask_b32_e64 v2, 0, 1, s7
	v_mov_b32_e32 v6, 1.0
	s_andn2_b32 vcc_lo, exec_lo, s7
	s_cbranch_vccnz .LBB87_270
; %bb.269:
	v_div_scale_f32 v0, null, v11, v11, 1.0
	v_rcp_f32_e32 v1, v0
	v_fma_f32 v6, -v0, v1, 1.0
	v_fmac_f32_e32 v1, v6, v1
	v_div_scale_f32 v6, vcc_lo, 1.0, v11, 1.0
	v_mul_f32_e32 v10, v6, v1
	v_fma_f32 v14, -v0, v10, v6
	v_fmac_f32_e32 v10, v14, v1
	v_fma_f32 v0, -v0, v10, v6
	v_div_fmas_f32 v0, v0, v1, v10
	v_div_fixup_f32 v6, v0, v11, 1.0
.LBB87_270:
	v_add_nc_u32_e32 v0, s6, v29
	v_mov_b32_e32 v11, 0
	v_cvt_f32_f16_sdwa v15, v48 dst_sel:DWORD dst_unused:UNUSED_PAD src0_sel:WORD_1
	v_cvt_f32_f16_e32 v16, v53
	v_cvt_f32_f16_sdwa v17, v53 dst_sel:DWORD dst_unused:UNUSED_PAD src0_sel:WORD_1
	v_mad_u64_u32 v[0:1], null, v0, s31, s[44:45]
	v_mul_f32_e32 v15, v6, v15
	v_mul_f32_e32 v16, v6, v16
	;; [unrolled: 1-line block ×3, first 2 shown]
	v_mad_u64_u32 v[0:1], null, s5, v0, s[34:35]
	v_cvt_f32_f16_e32 v1, v48
	v_mul_f32_e32 v14, v6, v1
	v_lshl_add_u32 v10, v0, 7, v32
	v_lshlrev_b64 v[10:11], 2, v[10:11]
	v_add_co_u32 v10, vcc_lo, s24, v10
	v_add_co_ci_u32_e64 v11, null, s25, v11, vcc_lo
	global_store_dwordx4 v[10:11], v[14:17], off
	s_and_saveexec_b32 s7, s4
	s_cbranch_execz .LBB87_272
; %bb.271:
	v_ashrrev_i32_e32 v1, 31, v0
	v_mov_b32_e32 v6, v3
	v_lshlrev_b64 v[0:1], 3, v[0:1]
	v_add_co_u32 v0, vcc_lo, s26, v0
	v_add_co_ci_u32_e64 v1, null, s27, v1, vcc_lo
	global_store_dwordx2 v[0:1], v[6:7], off
.LBB87_272:
	s_or_b32 exec_lo, exec_lo, s7
	v_cmp_gt_i32_e32 vcc_lo, s30, v30
	s_and_b32 exec_lo, exec_lo, vcc_lo
	s_cbranch_execz .LBB87_282
; %bb.273:
	v_cmp_ne_u32_e32 vcc_lo, 1, v2
	v_mov_b32_e32 v3, 1.0
	s_cbranch_vccnz .LBB87_275
; %bb.274:
	v_div_scale_f32 v0, null, v12, v12, 1.0
	v_rcp_f32_e32 v1, v0
	v_fma_f32 v3, -v0, v1, 1.0
	v_fmac_f32_e32 v1, v3, v1
	v_div_scale_f32 v3, vcc_lo, 1.0, v12, 1.0
	v_mul_f32_e32 v6, v3, v1
	v_fma_f32 v7, -v0, v6, v3
	v_fmac_f32_e32 v6, v7, v1
	v_fma_f32 v0, -v0, v6, v3
	v_div_fmas_f32 v0, v0, v1, v6
	v_div_fixup_f32 v3, v0, v12, 1.0
.LBB87_275:
	v_add_nc_u32_e32 v0, s6, v28
	v_mov_b32_e32 v7, 0
	v_cvt_f32_f16_sdwa v10, v47 dst_sel:DWORD dst_unused:UNUSED_PAD src0_sel:WORD_1
	v_cvt_f32_f16_e32 v11, v52
	v_cvt_f32_f16_sdwa v12, v52 dst_sel:DWORD dst_unused:UNUSED_PAD src0_sel:WORD_1
	v_mad_u64_u32 v[0:1], null, v0, s31, s[44:45]
	v_mul_f32_e32 v15, v3, v10
	v_mul_f32_e32 v16, v3, v11
	;; [unrolled: 1-line block ×3, first 2 shown]
	v_mad_u64_u32 v[0:1], null, s5, v0, s[34:35]
	v_cvt_f32_f16_e32 v1, v47
	v_mul_f32_e32 v14, v3, v1
	v_lshl_add_u32 v6, v0, 7, v32
	v_lshlrev_b64 v[6:7], 2, v[6:7]
	v_add_co_u32 v6, vcc_lo, s24, v6
	v_add_co_ci_u32_e64 v7, null, s25, v7, vcc_lo
	global_store_dwordx4 v[6:7], v[14:17], off
	s_and_saveexec_b32 s7, s4
	s_cbranch_execz .LBB87_277
; %bb.276:
	v_ashrrev_i32_e32 v1, 31, v0
	v_mov_b32_e32 v7, v4
	v_lshlrev_b64 v[0:1], 3, v[0:1]
	v_add_co_u32 v0, vcc_lo, s26, v0
	v_add_co_ci_u32_e64 v1, null, s27, v1, vcc_lo
	global_store_dwordx2 v[0:1], v[7:8], off
.LBB87_277:
	s_or_b32 exec_lo, exec_lo, s7
	v_cmp_gt_i32_e32 vcc_lo, s30, v27
	s_and_b32 exec_lo, exec_lo, vcc_lo
	s_cbranch_execz .LBB87_282
; %bb.278:
	v_cmp_ne_u32_e32 vcc_lo, 1, v2
	v_mov_b32_e32 v2, 1.0
	s_cbranch_vccnz .LBB87_280
; %bb.279:
	v_div_scale_f32 v0, null, v13, v13, 1.0
	v_rcp_f32_e32 v1, v0
	v_fma_f32 v2, -v0, v1, 1.0
	v_fmac_f32_e32 v1, v2, v1
	v_div_scale_f32 v2, vcc_lo, 1.0, v13, 1.0
	v_mul_f32_e32 v3, v2, v1
	v_fma_f32 v4, -v0, v3, v2
	v_fmac_f32_e32 v3, v4, v1
	v_fma_f32 v0, -v0, v3, v2
	v_div_fmas_f32 v0, v0, v1, v3
	v_div_fixup_f32 v2, v0, v13, 1.0
.LBB87_280:
	v_add_nc_u32_e32 v0, s6, v26
	v_mov_b32_e32 v4, 0
	v_cvt_f32_f16_sdwa v6, v51 dst_sel:DWORD dst_unused:UNUSED_PAD src0_sel:WORD_1
	v_cvt_f32_f16_e32 v7, v50
	v_cvt_f32_f16_sdwa v8, v50 dst_sel:DWORD dst_unused:UNUSED_PAD src0_sel:WORD_1
	v_mad_u64_u32 v[0:1], null, v0, s31, s[44:45]
	v_mul_f32_e32 v11, v2, v6
	v_mul_f32_e32 v12, v2, v7
	;; [unrolled: 1-line block ×3, first 2 shown]
	v_mad_u64_u32 v[0:1], null, s5, v0, s[34:35]
	v_cvt_f32_f16_e32 v1, v51
	v_mul_f32_e32 v10, v2, v1
	v_lshl_add_u32 v3, v0, 7, v32
	v_lshlrev_b64 v[3:4], 2, v[3:4]
	v_add_co_u32 v1, vcc_lo, s24, v3
	v_add_co_ci_u32_e64 v2, null, s25, v4, vcc_lo
	global_store_dwordx4 v[1:2], v[10:13], off
	s_and_b32 exec_lo, exec_lo, s4
	s_cbranch_execz .LBB87_282
; %bb.281:
	v_ashrrev_i32_e32 v1, 31, v0
	v_mov_b32_e32 v8, v5
	v_lshlrev_b64 v[0:1], 3, v[0:1]
	v_add_co_u32 v0, vcc_lo, s26, v0
	v_add_co_ci_u32_e64 v1, null, s27, v1, vcc_lo
	global_store_dwordx2 v[0:1], v[8:9], off
	s_endpgm
.LBB87_282:
	s_endpgm
	.section	.rodata,"a",@progbits
	.p2align	6, 0x0
	.amdhsa_kernel _ZL15flash_attn_tileILi128ELi128ELi32ELi1ELb1EEvPKcS1_S1_S1_S1_PKiPfP15HIP_vector_typeIfLj2EEffffjfiS5_IjLj3EEiiiiiiiiiiiliiliiiiil
		.amdhsa_group_segment_fixed_size 34816
		.amdhsa_private_segment_fixed_size 32
		.amdhsa_kernarg_size 464
		.amdhsa_user_sgpr_count 8
		.amdhsa_user_sgpr_private_segment_buffer 1
		.amdhsa_user_sgpr_dispatch_ptr 0
		.amdhsa_user_sgpr_queue_ptr 0
		.amdhsa_user_sgpr_kernarg_segment_ptr 1
		.amdhsa_user_sgpr_dispatch_id 0
		.amdhsa_user_sgpr_flat_scratch_init 1
		.amdhsa_user_sgpr_private_segment_size 0
		.amdhsa_wavefront_size32 1
		.amdhsa_uses_dynamic_stack 0
		.amdhsa_system_sgpr_private_segment_wavefront_offset 1
		.amdhsa_system_sgpr_workgroup_id_x 1
		.amdhsa_system_sgpr_workgroup_id_y 1
		.amdhsa_system_sgpr_workgroup_id_z 1
		.amdhsa_system_sgpr_workgroup_info 0
		.amdhsa_system_vgpr_workitem_id 1
		.amdhsa_next_free_vgpr 145
		.amdhsa_next_free_sgpr 53
		.amdhsa_reserve_vcc 1
		.amdhsa_reserve_flat_scratch 1
		.amdhsa_float_round_mode_32 0
		.amdhsa_float_round_mode_16_64 0
		.amdhsa_float_denorm_mode_32 3
		.amdhsa_float_denorm_mode_16_64 3
		.amdhsa_dx10_clamp 1
		.amdhsa_ieee_mode 1
		.amdhsa_fp16_overflow 0
		.amdhsa_workgroup_processor_mode 1
		.amdhsa_memory_ordered 1
		.amdhsa_forward_progress 1
		.amdhsa_shared_vgpr_count 0
		.amdhsa_exception_fp_ieee_invalid_op 0
		.amdhsa_exception_fp_denorm_src 0
		.amdhsa_exception_fp_ieee_div_zero 0
		.amdhsa_exception_fp_ieee_overflow 0
		.amdhsa_exception_fp_ieee_underflow 0
		.amdhsa_exception_fp_ieee_inexact 0
		.amdhsa_exception_int_div_zero 0
	.end_amdhsa_kernel
	.section	.text._ZL15flash_attn_tileILi128ELi128ELi32ELi1ELb1EEvPKcS1_S1_S1_S1_PKiPfP15HIP_vector_typeIfLj2EEffffjfiS5_IjLj3EEiiiiiiiiiiiliiliiiiil,"axG",@progbits,_ZL15flash_attn_tileILi128ELi128ELi32ELi1ELb1EEvPKcS1_S1_S1_S1_PKiPfP15HIP_vector_typeIfLj2EEffffjfiS5_IjLj3EEiiiiiiiiiiiliiliiiiil,comdat
.Lfunc_end87:
	.size	_ZL15flash_attn_tileILi128ELi128ELi32ELi1ELb1EEvPKcS1_S1_S1_S1_PKiPfP15HIP_vector_typeIfLj2EEffffjfiS5_IjLj3EEiiiiiiiiiiiliiliiiiil, .Lfunc_end87-_ZL15flash_attn_tileILi128ELi128ELi32ELi1ELb1EEvPKcS1_S1_S1_S1_PKiPfP15HIP_vector_typeIfLj2EEffffjfiS5_IjLj3EEiiiiiiiiiiiliiliiiiil
                                        ; -- End function
	.set _ZL15flash_attn_tileILi128ELi128ELi32ELi1ELb1EEvPKcS1_S1_S1_S1_PKiPfP15HIP_vector_typeIfLj2EEffffjfiS5_IjLj3EEiiiiiiiiiiiliiliiiiil.num_vgpr, 130
	.set _ZL15flash_attn_tileILi128ELi128ELi32ELi1ELb1EEvPKcS1_S1_S1_S1_PKiPfP15HIP_vector_typeIfLj2EEffffjfiS5_IjLj3EEiiiiiiiiiiiliiliiiiil.num_agpr, 0
	.set _ZL15flash_attn_tileILi128ELi128ELi32ELi1ELb1EEvPKcS1_S1_S1_S1_PKiPfP15HIP_vector_typeIfLj2EEffffjfiS5_IjLj3EEiiiiiiiiiiiliiliiiiil.numbered_sgpr, 53
	.set _ZL15flash_attn_tileILi128ELi128ELi32ELi1ELb1EEvPKcS1_S1_S1_S1_PKiPfP15HIP_vector_typeIfLj2EEffffjfiS5_IjLj3EEiiiiiiiiiiiliiliiiiil.num_named_barrier, 0
	.set _ZL15flash_attn_tileILi128ELi128ELi32ELi1ELb1EEvPKcS1_S1_S1_S1_PKiPfP15HIP_vector_typeIfLj2EEffffjfiS5_IjLj3EEiiiiiiiiiiiliiliiiiil.private_seg_size, 32
	.set _ZL15flash_attn_tileILi128ELi128ELi32ELi1ELb1EEvPKcS1_S1_S1_S1_PKiPfP15HIP_vector_typeIfLj2EEffffjfiS5_IjLj3EEiiiiiiiiiiiliiliiiiil.uses_vcc, 1
	.set _ZL15flash_attn_tileILi128ELi128ELi32ELi1ELb1EEvPKcS1_S1_S1_S1_PKiPfP15HIP_vector_typeIfLj2EEffffjfiS5_IjLj3EEiiiiiiiiiiiliiliiiiil.uses_flat_scratch, 1
	.set _ZL15flash_attn_tileILi128ELi128ELi32ELi1ELb1EEvPKcS1_S1_S1_S1_PKiPfP15HIP_vector_typeIfLj2EEffffjfiS5_IjLj3EEiiiiiiiiiiiliiliiiiil.has_dyn_sized_stack, 0
	.set _ZL15flash_attn_tileILi128ELi128ELi32ELi1ELb1EEvPKcS1_S1_S1_S1_PKiPfP15HIP_vector_typeIfLj2EEffffjfiS5_IjLj3EEiiiiiiiiiiiliiliiiiil.has_recursion, 0
	.set _ZL15flash_attn_tileILi128ELi128ELi32ELi1ELb1EEvPKcS1_S1_S1_S1_PKiPfP15HIP_vector_typeIfLj2EEffffjfiS5_IjLj3EEiiiiiiiiiiiliiliiiiil.has_indirect_call, 0
	.section	.AMDGPU.csdata,"",@progbits
; Kernel info:
; codeLenInByte = 96044
; TotalNumSgprs: 55
; NumVgprs: 130
; ScratchSize: 32
; MemoryBound: 0
; FloatMode: 240
; IeeeMode: 1
; LDSByteSize: 34816 bytes/workgroup (compile time only)
; SGPRBlocks: 0
; VGPRBlocks: 18
; NumSGPRsForWavesPerEU: 55
; NumVGPRsForWavesPerEU: 145
; Occupancy: 6
; WaveLimiterHint : 0
; COMPUTE_PGM_RSRC2:SCRATCH_EN: 1
; COMPUTE_PGM_RSRC2:USER_SGPR: 8
; COMPUTE_PGM_RSRC2:TRAP_HANDLER: 0
; COMPUTE_PGM_RSRC2:TGID_X_EN: 1
; COMPUTE_PGM_RSRC2:TGID_Y_EN: 1
; COMPUTE_PGM_RSRC2:TGID_Z_EN: 1
; COMPUTE_PGM_RSRC2:TIDIG_COMP_CNT: 1
	.section	.text._ZL15flash_attn_tileILi128ELi128ELi16ELi1ELb1EEvPKcS1_S1_S1_S1_PKiPfP15HIP_vector_typeIfLj2EEffffjfiS5_IjLj3EEiiiiiiiiiiiliiliiiiil,"axG",@progbits,_ZL15flash_attn_tileILi128ELi128ELi16ELi1ELb1EEvPKcS1_S1_S1_S1_PKiPfP15HIP_vector_typeIfLj2EEffffjfiS5_IjLj3EEiiiiiiiiiiiliiliiiiil,comdat
	.globl	_ZL15flash_attn_tileILi128ELi128ELi16ELi1ELb1EEvPKcS1_S1_S1_S1_PKiPfP15HIP_vector_typeIfLj2EEffffjfiS5_IjLj3EEiiiiiiiiiiiliiliiiiil ; -- Begin function _ZL15flash_attn_tileILi128ELi128ELi16ELi1ELb1EEvPKcS1_S1_S1_S1_PKiPfP15HIP_vector_typeIfLj2EEffffjfiS5_IjLj3EEiiiiiiiiiiiliiliiiiil
	.p2align	8
	.type	_ZL15flash_attn_tileILi128ELi128ELi16ELi1ELb1EEvPKcS1_S1_S1_S1_PKiPfP15HIP_vector_typeIfLj2EEffffjfiS5_IjLj3EEiiiiiiiiiiiliiliiiiil,@function
_ZL15flash_attn_tileILi128ELi128ELi16ELi1ELb1EEvPKcS1_S1_S1_S1_PKiPfP15HIP_vector_typeIfLj2EEffffjfiS5_IjLj3EEiiiiiiiiiiiliiliiiiil: ; @_ZL15flash_attn_tileILi128ELi128ELi16ELi1ELb1EEvPKcS1_S1_S1_S1_PKiPfP15HIP_vector_typeIfLj2EEffffjfiS5_IjLj3EEiiiiiiiiiiiliiliiiiil
; %bb.0:
	s_add_u32 s6, s6, s11
	s_addc_u32 s7, s7, 0
	s_setreg_b32 hwreg(HW_REG_FLAT_SCR_LO), s6
	s_setreg_b32 hwreg(HW_REG_FLAT_SCR_HI), s7
	s_clause 0x1
	s_load_dwordx4 s[28:31], s[4:5], 0x5c
	s_load_dwordx2 s[48:49], s[4:5], 0x80
	s_add_u32 s0, s0, s11
	s_addc_u32 s1, s1, 0
	s_mov_b32 s34, s9
	s_load_dwordx2 s[50:51], s[4:5], 0xb8
	s_mov_b64 s[46:47], 0
	s_waitcnt lgkmcnt(0)
	v_cvt_f32_u32_e32 v2, s31
	s_sub_i32 s7, 0, s31
	v_rcp_iflag_f32_e32 v2, v2
	v_mul_f32_e32 v2, 0x4f7ffffe, v2
	v_cvt_u32_f32_e32 v2, v2
	v_readfirstlane_b32 s6, v2
	s_mul_i32 s7, s7, s6
	s_mul_hi_u32 s7, s6, s7
	s_add_i32 s6, s6, s7
	s_mul_hi_u32 s6, s10, s6
	s_mul_i32 s7, s6, s31
	s_add_i32 s9, s6, 1
	s_sub_i32 s7, s10, s7
	s_sub_i32 s11, s7, s31
	s_cmp_ge_u32 s7, s31
	s_cselect_b32 s6, s9, s6
	s_cselect_b32 s7, s11, s7
	s_add_i32 s9, s6, 1
	s_cmp_ge_u32 s7, s31
	s_cselect_b32 s33, s9, s6
	s_abs_i32 s6, s49
	s_abs_i32 s12, s31
	v_cvt_f32_u32_e32 v2, s6
	s_sub_i32 s9, 0, s6
	s_mul_i32 s11, s33, s31
	s_sub_i32 s44, s10, s11
	v_rcp_iflag_f32_e32 v2, v2
	v_mul_f32_e32 v2, 0x4f7ffffe, v2
	v_cvt_u32_f32_e32 v2, v2
	v_readfirstlane_b32 s7, v2
	s_mul_i32 s9, s9, s7
	s_mul_hi_u32 s9, s7, s9
	s_add_i32 s7, s7, s9
	s_xor_b32 s9, s31, s49
	s_mul_hi_u32 s7, s12, s7
	s_ashr_i32 s9, s9, 31
	s_mul_i32 s10, s7, s6
	s_add_i32 s11, s7, 1
	s_sub_i32 s10, s12, s10
	s_sub_i32 s12, s10, s6
	s_cmp_ge_u32 s10, s6
	s_cselect_b32 s7, s11, s7
	s_cselect_b32 s10, s12, s10
	s_add_i32 s11, s7, 1
	s_cmp_ge_u32 s10, s6
	s_load_dwordx16 s[12:27], s[4:5], 0x0
	s_cselect_b32 s6, s11, s7
	s_abs_i32 s52, s44
	s_xor_b32 s6, s6, s9
	s_sub_i32 s10, s6, s9
	s_abs_i32 s49, s10
	v_cvt_f32_u32_e32 v2, s49
	s_sub_i32 s7, 0, s49
	v_rcp_iflag_f32_e32 v2, v2
	v_mul_f32_e32 v2, 0x4f7ffffe, v2
	v_cvt_u32_f32_e32 v2, v2
	v_readfirstlane_b32 s6, v2
	s_mul_i32 s7, s7, s6
	s_mul_hi_u32 s7, s6, s7
	s_add_i32 s6, s6, s7
	s_waitcnt lgkmcnt(0)
	s_cmp_eq_u64 s[18:19], 0
	s_cbranch_scc1 .LBB88_2
; %bb.1:
	s_abs_i32 s7, s50
	s_abs_i32 s35, s33
	v_cvt_f32_u32_e32 v2, s7
	s_sub_i32 s11, 0, s7
	s_load_dwordx2 s[36:37], s[4:5], 0xc8
	v_rcp_iflag_f32_e32 v2, v2
	v_mul_f32_e32 v2, 0x4f7ffffe, v2
	v_cvt_u32_f32_e32 v2, v2
	v_readfirstlane_b32 s9, v2
	s_mul_i32 s11, s11, s9
	s_mul_hi_u32 s11, s9, s11
	s_add_i32 s9, s9, s11
	s_ashr_i32 s11, s33, 31
	s_mul_hi_u32 s9, s35, s9
	s_mul_i32 s9, s9, s7
	s_sub_i32 s9, s35, s9
	s_sub_i32 s35, s9, s7
	s_cmp_ge_u32 s9, s7
	s_cselect_b32 s9, s35, s9
	s_sub_i32 s35, s9, s7
	s_cmp_ge_u32 s9, s7
	s_cselect_b32 s7, s35, s9
	s_xor_b32 s7, s7, s11
	s_sub_i32 s7, s7, s11
	s_ashr_i32 s9, s7, 31
	s_waitcnt lgkmcnt(0)
	s_mul_hi_u32 s11, s36, s7
	s_mul_i32 s9, s36, s9
	s_add_i32 s9, s11, s9
	s_mul_i32 s11, s37, s7
	s_mul_i32 s7, s36, s7
	s_add_i32 s9, s9, s11
	s_add_u32 s46, s18, s7
	s_addc_u32 s47, s19, s9
.LBB88_2:
	s_clause 0x1
	s_load_dwordx4 s[36:39], s[4:5], 0x40
	s_load_dwordx2 s[18:19], s[4:5], 0x50
	v_mov_b32_e32 v79, 1.0
	s_waitcnt lgkmcnt(0)
	v_cmp_le_f32_e64 s7, s37, 0
	s_mul_hi_u32 s37, s52, s6
	s_and_b32 vcc_lo, exec_lo, s7
	s_cbranch_vccnz .LBB88_4
; %bb.3:
	v_sub_co_u32 v3, vcc_lo, s44, s18
	v_mov_b32_e32 v2, s38
	s_add_i32 s6, s44, 1
	v_lshlrev_b32_e32 v3, 1, v3
	v_cndmask_b32_e32 v2, s39, v2, vcc_lo
	v_or_b32_e32 v3, 1, v3
	v_cndmask_b32_e64 v3, v3, s6, vcc_lo
	v_cmp_neq_f32_e32 vcc_lo, 1.0, v2
	s_mov_b32 s6, 0x3e76c4e1
	v_cvt_f32_i32_e32 v3, v3
	v_cndmask_b32_e32 v4, 1.0, v3, vcc_lo
	v_cmp_neq_f32_e32 vcc_lo, 0, v4
	v_cndmask_b32_e32 v5, 1.0, v2, vcc_lo
	v_frexp_mant_f32_e64 v2, |v5|
	v_cmp_eq_f32_e64 s9, 0, v5
	v_cmp_gt_f32_e32 vcc_lo, 0x3f2aaaab, v2
	v_cndmask_b32_e64 v3, 1.0, 2.0, vcc_lo
	v_mul_f32_e32 v2, v2, v3
	v_add_f32_e32 v3, 1.0, v2
	v_add_f32_e32 v7, -1.0, v2
	v_rcp_f32_e32 v6, v3
	v_add_f32_e32 v9, -1.0, v3
	v_sub_f32_e32 v2, v2, v9
	v_mul_f32_e32 v8, v7, v6
	v_mul_f32_e32 v10, v3, v8
	v_fma_f32 v3, v8, v3, -v10
	v_fmac_f32_e32 v3, v8, v2
	v_add_f32_e32 v2, v10, v3
	v_sub_f32_e32 v9, v7, v2
	v_sub_f32_e32 v10, v2, v10
	;; [unrolled: 1-line block ×5, first 2 shown]
	v_add_f32_e32 v2, v3, v2
	v_add_f32_e32 v2, v9, v2
	v_mul_f32_e32 v2, v6, v2
	v_add_f32_e32 v6, v8, v2
	v_sub_f32_e32 v3, v6, v8
	v_mul_f32_e32 v7, v6, v6
	v_sub_f32_e32 v8, v2, v3
	v_fma_f32 v2, v6, v6, -v7
	v_add_f32_e32 v3, v8, v8
	v_fmac_f32_e32 v2, v6, v3
	v_add_f32_e32 v9, v7, v2
	v_fmaak_f32 v3, s6, v9, 0x3e91f4c4
	v_sub_f32_e32 v7, v9, v7
	v_mul_f32_e32 v14, v6, v9
	v_fmaak_f32 v3, v9, v3, 0x3ecccdef
	v_sub_f32_e32 v7, v2, v7
	v_fma_f32 v15, v9, v6, -v14
	v_mul_f32_e32 v10, v9, v3
	v_fmac_f32_e32 v15, v9, v8
	v_ldexp_f32 v8, v8, 1
	v_fma_f32 v11, v9, v3, -v10
	v_fmac_f32_e32 v15, v7, v6
	v_fmac_f32_e32 v11, v7, v3
	v_cvt_f64_f32_e64 v[2:3], |v5|
	v_add_f32_e32 v12, v10, v11
	v_sub_f32_e32 v10, v12, v10
	v_add_f32_e32 v13, 0x3f2aaaaa, v12
	v_sub_f32_e32 v10, v11, v10
	v_add_f32_e32 v11, 0xbf2aaaaa, v13
	v_add_f32_e32 v10, 0x31739010, v10
	v_sub_f32_e32 v11, v12, v11
	v_frexp_exp_i32_f64_e32 v2, v[2:3]
	v_add_f32_e32 v9, v10, v11
	v_add_f32_e32 v10, v14, v15
	;; [unrolled: 1-line block ×3, first 2 shown]
	v_sub_f32_e32 v12, v10, v14
	v_sub_f32_e32 v3, v13, v7
	v_mul_f32_e32 v11, v10, v7
	v_sub_f32_e32 v12, v15, v12
	v_add_f32_e32 v3, v9, v3
	v_fma_f32 v9, v10, v7, -v11
	v_subrev_co_ci_u32_e64 v2, null, 0, v2, vcc_lo
	v_fmac_f32_e32 v9, v10, v3
	v_ldexp_f32 v3, v6, 1
	v_cvt_f32_i32_e32 v2, v2
	v_fmac_f32_e32 v9, v12, v7
	v_add_f32_e32 v6, v11, v9
	v_add_f32_e32 v7, v3, v6
	v_sub_f32_e32 v10, v6, v11
	v_mul_f32_e32 v11, 0x3f317218, v2
	v_sub_f32_e32 v3, v7, v3
	v_sub_f32_e32 v9, v9, v10
	v_fma_f32 v10, 0x3f317218, v2, -v11
	v_sub_f32_e32 v3, v6, v3
	v_add_f32_e32 v6, v8, v9
	v_fmamk_f32 v2, v2, 0xb102e308, v10
	v_add_f32_e32 v3, v6, v3
	v_add_f32_e32 v6, v11, v2
	;; [unrolled: 1-line block ×3, first 2 shown]
	v_sub_f32_e32 v11, v6, v11
	v_add_f32_e32 v9, v6, v8
	v_sub_f32_e32 v7, v8, v7
	v_sub_f32_e32 v2, v2, v11
	;; [unrolled: 1-line block ×6, first 2 shown]
	v_add_f32_e32 v8, v2, v3
	v_sub_f32_e32 v6, v6, v12
	v_add_f32_e32 v6, v7, v6
	v_sub_f32_e32 v7, v8, v2
	;; [unrolled: 2-line block ×3, first 2 shown]
	v_sub_f32_e32 v3, v3, v7
	v_add_f32_e32 v10, v9, v6
	v_sub_f32_e32 v2, v2, v8
	v_sub_f32_e32 v7, v10, v9
	v_add_f32_e32 v2, v3, v2
	v_sub_f32_e32 v3, v6, v7
	v_add_f32_e32 v2, v2, v3
	v_add_f32_e32 v3, v10, v2
	v_sub_f32_e32 v6, v3, v10
	v_mul_f32_e32 v7, v4, v3
	v_sub_f32_e32 v2, v2, v6
	v_fma_f32 v3, v4, v3, -v7
	v_cmp_class_f32_e64 vcc_lo, v7, 0x204
	v_fmac_f32_e32 v3, v4, v2
	v_add_f32_e32 v2, v7, v3
	v_cndmask_b32_e32 v6, v2, v7, vcc_lo
	v_sub_f32_e32 v2, v2, v7
	v_cmp_eq_f32_e32 vcc_lo, 0x42b17218, v6
	v_sub_f32_e32 v2, v3, v2
	v_cndmask_b32_e64 v8, 0, 0x37000000, vcc_lo
	v_cmp_neq_f32_e64 vcc_lo, 0x7f800000, |v6|
	v_sub_f32_e32 v9, v6, v8
	v_cndmask_b32_e32 v2, 0, v2, vcc_lo
	v_trunc_f32_e32 v6, v4
	v_mul_f32_e32 v10, 0x3fb8aa3b, v9
	v_cmp_ngt_f32_e32 vcc_lo, 0xc2ce8ed0, v9
	v_add_f32_e32 v2, v8, v2
	v_fma_f32 v11, 0x3fb8aa3b, v9, -v10
	v_rndne_f32_e32 v12, v10
	v_fmamk_f32 v11, v9, 0x32a5705f, v11
	v_sub_f32_e32 v10, v10, v12
	v_cvt_i32_f32_e32 v7, v12
	v_add_f32_e32 v10, v10, v11
	v_exp_f32_e32 v10, v10
	v_ldexp_f32 v3, v10, v7
	v_mul_f32_e32 v7, 0.5, v4
	v_cndmask_b32_e32 v3, 0, v3, vcc_lo
	v_cmp_nlt_f32_e32 vcc_lo, 0x42b17218, v9
	v_trunc_f32_e32 v10, v7
	v_cndmask_b32_e32 v3, 0x7f800000, v3, vcc_lo
	v_cmp_eq_f32_e32 vcc_lo, v6, v4
	v_cmp_neq_f32_e64 s6, v10, v7
	v_fma_f32 v2, v3, v2, v3
	v_cmp_class_f32_e64 s7, v3, 0x204
	s_and_b32 s6, vcc_lo, s6
	v_cndmask_b32_e64 v6, 1.0, v5, s6
	v_cndmask_b32_e64 v2, v2, v3, s7
	v_cmp_gt_f32_e64 s7, 0, v4
	v_bfi_b32 v2, 0x7fffffff, v2, v6
	s_xor_b32 s7, s7, s9
	v_cndmask_b32_e64 v6, 0, v5, s6
	v_cndmask_b32_e64 v3, 0x7f800000, 0, s7
	v_cmp_class_f32_e64 s6, v5, 0x204
	v_cndmask_b32_e32 v4, 0x7fc00000, v2, vcc_lo
	v_cmp_gt_f32_e32 vcc_lo, 0, v5
	v_bfi_b32 v3, 0x7fffffff, v3, v6
	v_cndmask_b32_e32 v2, v2, v4, vcc_lo
	s_or_b32 vcc_lo, s9, s6
	v_cndmask_b32_e32 v2, v2, v3, vcc_lo
	v_cmp_o_f32_e32 vcc_lo, v5, v5
	v_cndmask_b32_e32 v79, 0x7fc00000, v2, vcc_lo
.LBB88_4:
	v_lshlrev_b32_e32 v69, 1, v1
	s_lshl_b32 s35, s8, 4
	s_load_dwordx4 s[40:43], s[4:5], 0x70
	s_ashr_i32 s45, s44, 31
	s_ashr_i32 s18, s10, 31
	v_or_b32_e32 v67, 1, v69
	v_add_nc_u32_e32 v70, s35, v69
	v_lshlrev_b32_e32 v74, 3, v0
	v_lshlrev_b32_e32 v73, 9, v1
	v_add_nc_u32_e32 v68, s35, v67
	v_mul_hi_u32 v2, v70, s28
	v_or_b32_e32 v1, 0x9800, v74
	v_mul_hi_u32 v3, v68, s28
	v_add_nc_u32_e32 v10, v1, v73
	v_add_nc_u32_e32 v2, v70, v2
	s_waitcnt lgkmcnt(0)
	s_mul_i32 s6, s33, s42
	v_add_nc_u32_e32 v3, v68, v3
	v_lshrrev_b32_e32 v2, s29, v2
	s_mul_i32 s7, s44, s41
	s_ashr_i32 s9, s6, 31
	s_add_u32 s6, s12, s6
	v_lshrrev_b32_e32 v3, s29, v3
	v_mul_lo_u32 v2, v2, s30
	s_addc_u32 s9, s13, s9
	s_ashr_i32 s10, s7, 31
	s_add_u32 s11, s6, s7
	v_mul_lo_u32 v4, v3, s30
	s_addc_u32 s9, s9, s10
	s_ashr_i32 s41, s40, 31
	v_sub_nc_u32_e32 v82, v70, v2
	s_lshr_b64 s[6:7], s[40:41], 2
	s_mov_b32 s7, 0
	v_sub_nc_u32_e32 v8, v68, v4
	v_mad_u64_u32 v[2:3], null, s6, v82, 0
	v_mad_u64_u32 v[4:5], null, s6, v8, 0
	s_lshr_b32 s6, s41, 2
	s_cmp_eq_u64 s[22:23], 0
	v_mad_u64_u32 v[6:7], null, s6, v82, v[3:4]
	v_lshlrev_b32_e32 v7, 4, v0
	v_mov_b32_e32 v3, v6
	v_mad_u64_u32 v[5:6], null, s6, v8, v[5:6]
	v_add_co_u32 v8, s6, s11, v7
	v_lshlrev_b64 v[2:3], 2, v[2:3]
	v_add_co_ci_u32_e64 v9, null, s9, 0, s6
	v_lshlrev_b64 v[6:7], 2, v[4:5]
	v_add_co_u32 v2, vcc_lo, v8, v2
	v_add_co_ci_u32_e64 v3, null, v9, v3, vcc_lo
	v_add_co_u32 v6, vcc_lo, v8, v6
	v_add_co_ci_u32_e64 v7, null, v9, v7, vcc_lo
	s_clause 0x1
	global_load_dwordx4 v[2:5], v[2:3], off
	global_load_dwordx4 v[6:9], v[6:7], off
	s_waitcnt vmcnt(1)
	v_fma_mixlo_f16 v3, s36, v3, 0
	v_fma_mixlo_f16 v2, s36, v2, 0
	;; [unrolled: 1-line block ×3, first 2 shown]
	s_waitcnt vmcnt(0)
	v_fma_mixlo_f16 v7, s36, v7, 0
	v_fma_mixlo_f16 v6, s36, v6, 0
	;; [unrolled: 1-line block ×3, first 2 shown]
	v_lshlrev_b32_e32 v3, 16, v3
	v_and_b32_e32 v2, 0xffff, v2
	v_fma_mixlo_f16 v8, s36, v8, 0
	v_fma_mixlo_f16 v9, s36, v9, 0
	v_lshlrev_b32_e32 v7, 16, v7
	v_and_b32_e32 v6, 0xffff, v6
	v_lshlrev_b32_e32 v5, 16, v5
	v_and_b32_e32 v4, 0xffff, v4
	v_or_b32_e32 v3, v3, v2
	v_lshlrev_b32_e32 v9, 16, v9
	v_and_b32_e32 v8, 0xffff, v8
	v_or_b32_e32 v6, v7, v6
	v_lshl_add_u32 v7, v67, 8, v1
	v_or3_b32 v2, v5, v4, 0
	v_or3_b32 v1, 0, 0, v3
	;; [unrolled: 1-line block ×3, first 2 shown]
	v_mov_b32_e32 v8, 0
	v_or3_b32 v3, 0, 0, v6
	ds_write_b64 v10, v[1:2]
	ds_write_b64 v7, v[3:4]
	s_waitcnt lgkmcnt(0)
	s_barrier
	buffer_gl0_inv
	s_cbranch_scc1 .LBB88_6
; %bb.5:
	s_load_dword s6, s[4:5], 0xd0
	s_waitcnt lgkmcnt(0)
	s_mul_i32 s6, s6, s33
	s_add_i32 s6, s6, s8
	s_lshl_b64 s[6:7], s[6:7], 2
	s_add_u32 s6, s22, s6
	s_addc_u32 s7, s23, s7
	s_load_dword s48, s[6:7], 0x0
.LBB88_6:
	s_clause 0x1
	s_load_dwordx2 s[6:7], s[4:5], 0x8c
	s_load_dwordx4 s[8:11], s[4:5], 0x98
	s_ashr_i32 s13, s33, 31
	s_load_dwordx2 s[38:39], s[4:5], 0xa8
	s_ashr_i32 s22, s51, 1
	s_mul_i32 s23, s37, s49
	v_lshlrev_b32_e32 v71, 2, v0
	v_lshrrev_b32_e32 v85, 4, v0
	v_mul_u32_u24_e32 v83, 0x110, v0
	v_or_b32_e32 v81, 1, v70
	v_add_nc_u32_e32 v80, 0x8800, v73
	v_and_b32_e32 v84, 60, v71
	v_mbcnt_lo_u32_b32 v72, -1, 0
	s_waitcnt lgkmcnt(0)
	s_ashr_i32 s12, s6, 2
	s_ashr_i32 s36, s10, 2
	s_mul_hi_u32 s6, s8, s33
	s_mul_i32 s10, s8, s13
	s_mul_i32 s9, s9, s33
	s_add_i32 s6, s6, s10
	s_mul_i32 s8, s8, s33
	s_add_i32 s6, s6, s9
	s_add_u32 s8, s14, s8
	s_addc_u32 s6, s15, s6
	s_sub_i32 s10, s52, s23
	s_xor_b32 s9, s45, s18
	s_add_i32 s14, s37, 1
	s_sub_i32 s15, s10, s49
	s_cmp_ge_u32 s10, s49
	s_mul_i32 s13, s38, s13
	s_cselect_b32 s14, s14, s37
	s_cselect_b32 s10, s15, s10
	s_add_i32 s15, s14, 1
	s_cmp_ge_u32 s10, s49
	s_mul_i32 s18, s38, s33
	s_cselect_b32 s10, s15, s14
	s_mul_hi_u32 s14, s38, s33
	s_xor_b32 s10, s10, s9
	s_mul_i32 s15, s39, s33
	s_sub_i32 s10, s10, s9
	s_mul_i32 s7, s10, s7
	s_mul_i32 s10, s10, s11
	s_ashr_i32 s9, s7, 31
	s_add_u32 s8, s8, s7
	s_addc_u32 s9, s6, s9
	s_add_i32 s6, s14, s13
	s_add_i32 s6, s6, s15
	s_add_u32 s7, s16, s18
	s_addc_u32 s6, s17, s6
	s_ashr_i32 s11, s10, 31
	s_add_u32 s38, s7, s10
	s_addc_u32 s37, s6, s11
	s_lshl_b32 s18, s34, 7
	s_add_i32 s10, s48, 0xffffff80
	s_cmp_ge_i32 s18, s10
	s_cbranch_scc1 .LBB88_60
; %bb.7:
	v_add_nc_u32_e32 v2, v85, v69
	v_lshlrev_b32_e32 v3, 2, v84
	s_lshl_b32 s6, s12, 4
	s_cmp_lg_u64 s[46:47], 0
	v_mul_hi_u32 v4, s28, v81
	v_mul_lo_u32 v1, s12, v2
	v_mul_lo_u32 v5, s36, v2
	s_cselect_b32 s11, -1, 0
	s_lshl_b32 s7, s36, 4
	v_mad_u32_u24 v88, 0x110, v2, v3
	v_lshl_or_b32 v89, v2, 8, v3
	v_mul_lo_u32 v87, v82, s22
	v_add_nc_u32_e32 v2, v81, v4
	v_add_nc_u32_e32 v3, s6, v1
	;; [unrolled: 1-line block ×3, first 2 shown]
	v_ashrrev_i32_e32 v6, 31, v5
	v_mov_b32_e32 v77, 0
	v_lshrrev_b32_e32 v2, s29, v2
	v_add_nc_u32_e32 v7, s6, v3
	v_add_nc_u32_e32 v15, s7, v11
	v_ashrrev_i32_e32 v4, 31, v3
	v_ashrrev_i32_e32 v12, 31, v11
	v_mul_lo_u32 v8, v2, s30
	v_add_nc_u32_e32 v9, s6, v7
	v_add_nc_u32_e32 v19, s7, v15
	v_ashrrev_i32_e32 v2, 31, v1
	v_ashrrev_i32_e32 v16, 31, v15
	v_lshlrev_b64 v[37:38], 2, v[3:4]
	v_add_nc_u32_e32 v13, s6, v9
	v_add_nc_u32_e32 v23, s7, v19
	v_sub_nc_u32_e32 v14, v81, v8
	v_ashrrev_i32_e32 v8, 31, v7
	v_ashrrev_i32_e32 v10, 31, v9
	v_add_nc_u32_e32 v17, s6, v13
	v_add_nc_u32_e32 v27, s7, v23
	v_mul_lo_u32 v98, v14, s22
	v_ashrrev_i32_e32 v14, 31, v13
	v_ashrrev_i32_e32 v20, 31, v19
	v_add_nc_u32_e32 v21, s6, v17
	v_add_nc_u32_e32 v29, s7, v27
	v_ashrrev_i32_e32 v18, 31, v17
	v_ashrrev_i32_e32 v24, 31, v23
	;; [unrolled: 1-line block ×3, first 2 shown]
	v_add_nc_u32_e32 v25, s6, v21
	v_add_nc_u32_e32 v31, s7, v29
	v_ashrrev_i32_e32 v22, 31, v21
	v_ashrrev_i32_e32 v30, 31, v29
	v_lshlrev_b64 v[35:36], 2, v[1:2]
	v_ashrrev_i32_e32 v26, 31, v25
	v_ashrrev_i32_e32 v32, 31, v31
	v_lshlrev_b64 v[39:40], 2, v[7:8]
	v_lshlrev_b64 v[41:42], 2, v[9:10]
	;; [unrolled: 1-line block ×14, first 2 shown]
	v_add_nc_u32_e32 v86, 0x9800, v73
	v_add_nc_u32_e32 v90, 0x1100, v88
	v_add_nc_u32_e32 v91, 0x2200, v88
	v_add_nc_u32_e32 v92, 0x3300, v88
	v_add_nc_u32_e32 v93, 0x4400, v88
	v_add_nc_u32_e32 v94, 0x5500, v88
	v_add_nc_u32_e32 v95, 0x6600, v88
	v_add_nc_u32_e32 v96, 0x7700, v88
	v_add_nc_u32_e32 v97, 0x1000, v89
	v_add_nc_u32_e32 v99, 0x2000, v89
	v_add_nc_u32_e32 v100, 0x3000, v89
	v_add_nc_u32_e32 v101, 0x4000, v89
	v_add_nc_u32_e32 v102, 0x5000, v89
	v_add_nc_u32_e32 v103, 0x6000, v89
	v_add_nc_u32_e32 v104, 0x7000, v89
	v_mov_b32_e32 v111, 0xfeffffff
	v_lshlrev_b32_e32 v105, 2, v84
	v_mbcnt_lo_u32_b32 v106, -1, 0
	v_mov_b32_e32 v107, 0x10001
	v_mov_b32_e32 v75, 0
	;; [unrolled: 1-line block ×7, first 2 shown]
	s_add_u32 s6, s4, 0xd0
	s_addc_u32 s7, s5, 0
	s_mov_b32 s13, 0xbbbac73d
.LBB88_8:                               ; =>This Inner Loop Header: Depth=1
	s_mul_hi_i32 s15, s18, s12
	s_mul_i32 s14, s18, s12
	v_mov_b32_e32 v33, 0
	s_lshl_b64 s[14:15], s[14:15], 2
	v_mov_b32_e32 v34, 0
	s_add_u32 s14, s8, s14
	s_addc_u32 s15, s9, s15
	v_add_co_u32 v1, vcc_lo, s14, v35
	v_add_co_ci_u32_e64 v2, null, s15, v36, vcc_lo
	v_add_co_u32 v3, vcc_lo, s14, v37
	v_add_co_ci_u32_e64 v4, null, s15, v38, vcc_lo
	;; [unrolled: 2-line block ×16, first 2 shown]
	s_clause 0x7
	global_load_dwordx4 v[1:4], v[1:2], off
	global_load_dwordx4 v[5:8], v[5:6], off
	;; [unrolled: 1-line block ×8, first 2 shown]
	v_mov_b32_e32 v112, 0
	v_mov_b32_e32 v113, 0
	s_waitcnt vmcnt(7)
	ds_write_b128 v88, v[1:4]
	s_waitcnt vmcnt(6)
	ds_write_b128 v90, v[5:8]
	;; [unrolled: 2-line block ×8, first 2 shown]
	s_waitcnt lgkmcnt(0)
	s_barrier
	buffer_gl0_inv
	ds_read_b128 v[7:10], v83
	ds_read_b128 v[11:14], v86
	ds_read_b128 v[15:18], v86 offset:256
	ds_read_b128 v[19:22], v83 offset:8704
	v_mov_b32_e32 v3, 0
	ds_read_b128 v[23:26], v83 offset:17408
	ds_read_b128 v[27:30], v83 offset:26112
	s_waitcnt lgkmcnt(4)
	;;#ASMSTART
	v_dot2_f32_f16 v3, v7, v11, v3
	;;#ASMEND
	;;#ASMSTART
	v_dot2_f32_f16 v3, v8, v12, v3
	;;#ASMEND
	;; [unrolled: 3-line block ×4, first 2 shown]
	s_waitcnt lgkmcnt(3)
	;;#ASMSTART
	v_dot2_f32_f16 v33, v7, v15, v33
	;;#ASMEND
	;;#ASMSTART
	v_dot2_f32_f16 v33, v8, v16, v33
	;;#ASMEND
	v_mov_b32_e32 v4, 0
	;;#ASMSTART
	v_dot2_f32_f16 v33, v9, v17, v33
	;;#ASMEND
	;;#ASMSTART
	v_dot2_f32_f16 v33, v10, v18, v33
	;;#ASMEND
	s_waitcnt lgkmcnt(2)
	;;#ASMSTART
	v_dot2_f32_f16 v4, v19, v11, v4
	;;#ASMEND
	;;#ASMSTART
	v_dot2_f32_f16 v4, v20, v12, v4
	;;#ASMEND
	;;#ASMSTART
	v_dot2_f32_f16 v4, v21, v13, v4
	;;#ASMEND
	;;#ASMSTART
	v_dot2_f32_f16 v4, v22, v14, v4
	;;#ASMEND
	;;#ASMSTART
	v_dot2_f32_f16 v34, v19, v15, v34
	;;#ASMEND
	;;#ASMSTART
	v_dot2_f32_f16 v34, v20, v16, v34
	;;#ASMEND
	v_mov_b32_e32 v5, 0
	;;#ASMSTART
	v_dot2_f32_f16 v34, v21, v17, v34
	;;#ASMEND
	;;#ASMSTART
	v_dot2_f32_f16 v34, v22, v18, v34
	;;#ASMEND
	s_waitcnt lgkmcnt(1)
	;;#ASMSTART
	v_dot2_f32_f16 v5, v23, v11, v5
	;;#ASMEND
	;;#ASMSTART
	v_dot2_f32_f16 v5, v24, v12, v5
	;;#ASMEND
	;;#ASMSTART
	v_dot2_f32_f16 v5, v25, v13, v5
	;;#ASMEND
	;;#ASMSTART
	v_dot2_f32_f16 v5, v26, v14, v5
	;;#ASMEND
	;; [unrolled: 26-line block ×3, first 2 shown]
	;;#ASMSTART
	v_dot2_f32_f16 v113, v27, v15, v113
	;;#ASMEND
	;;#ASMSTART
	v_dot2_f32_f16 v113, v28, v16, v113
	;;#ASMEND
	;; [unrolled: 3-line block ×4, first 2 shown]
	ds_read_b128 v[7:10], v83 offset:16
	ds_read_b128 v[11:14], v86 offset:16
	;; [unrolled: 1-line block ×6, first 2 shown]
	s_waitcnt lgkmcnt(4)
	;;#ASMSTART
	v_dot2_f32_f16 v3, v7, v11, v3
	;;#ASMEND
	;;#ASMSTART
	v_dot2_f32_f16 v3, v8, v12, v3
	;;#ASMEND
	;;#ASMSTART
	v_dot2_f32_f16 v3, v9, v13, v3
	;;#ASMEND
	;;#ASMSTART
	v_dot2_f32_f16 v3, v10, v14, v3
	;;#ASMEND
	s_waitcnt lgkmcnt(3)
	;;#ASMSTART
	v_dot2_f32_f16 v33, v7, v15, v33
	;;#ASMEND
	;;#ASMSTART
	v_dot2_f32_f16 v33, v8, v16, v33
	;;#ASMEND
	;;#ASMSTART
	v_dot2_f32_f16 v33, v9, v17, v33
	;;#ASMEND
	;;#ASMSTART
	v_dot2_f32_f16 v33, v10, v18, v33
	;;#ASMEND
	;; [unrolled: 13-line block ×3, first 2 shown]
	;;#ASMSTART
	v_dot2_f32_f16 v34, v19, v15, v34
	;;#ASMEND
	;;#ASMSTART
	v_dot2_f32_f16 v34, v20, v16, v34
	;;#ASMEND
	;; [unrolled: 3-line block ×4, first 2 shown]
	s_waitcnt lgkmcnt(1)
	;;#ASMSTART
	v_dot2_f32_f16 v5, v23, v11, v5
	;;#ASMEND
	;;#ASMSTART
	v_dot2_f32_f16 v5, v24, v12, v5
	;;#ASMEND
	;; [unrolled: 3-line block ×8, first 2 shown]
	s_waitcnt lgkmcnt(0)
	;;#ASMSTART
	v_dot2_f32_f16 v6, v27, v11, v6
	;;#ASMEND
	;;#ASMSTART
	v_dot2_f32_f16 v6, v28, v12, v6
	;;#ASMEND
	;; [unrolled: 3-line block ×8, first 2 shown]
	ds_read_b128 v[7:10], v83 offset:32
	ds_read_b128 v[11:14], v86 offset:32
	;; [unrolled: 1-line block ×6, first 2 shown]
	s_waitcnt lgkmcnt(4)
	;;#ASMSTART
	v_dot2_f32_f16 v3, v7, v11, v3
	;;#ASMEND
	;;#ASMSTART
	v_dot2_f32_f16 v3, v8, v12, v3
	;;#ASMEND
	;;#ASMSTART
	v_dot2_f32_f16 v3, v9, v13, v3
	;;#ASMEND
	;;#ASMSTART
	v_dot2_f32_f16 v3, v10, v14, v3
	;;#ASMEND
	s_waitcnt lgkmcnt(3)
	;;#ASMSTART
	v_dot2_f32_f16 v33, v7, v15, v33
	;;#ASMEND
	;;#ASMSTART
	v_dot2_f32_f16 v33, v8, v16, v33
	;;#ASMEND
	;;#ASMSTART
	v_dot2_f32_f16 v33, v9, v17, v33
	;;#ASMEND
	;;#ASMSTART
	v_dot2_f32_f16 v33, v10, v18, v33
	;;#ASMEND
	;; [unrolled: 13-line block ×3, first 2 shown]
	;;#ASMSTART
	v_dot2_f32_f16 v34, v19, v15, v34
	;;#ASMEND
	;;#ASMSTART
	v_dot2_f32_f16 v34, v20, v16, v34
	;;#ASMEND
	;; [unrolled: 3-line block ×4, first 2 shown]
	s_waitcnt lgkmcnt(1)
	;;#ASMSTART
	v_dot2_f32_f16 v5, v23, v11, v5
	;;#ASMEND
	;;#ASMSTART
	v_dot2_f32_f16 v5, v24, v12, v5
	;;#ASMEND
	;; [unrolled: 3-line block ×8, first 2 shown]
	s_waitcnt lgkmcnt(0)
	;;#ASMSTART
	v_dot2_f32_f16 v6, v27, v11, v6
	;;#ASMEND
	;;#ASMSTART
	v_dot2_f32_f16 v6, v28, v12, v6
	;;#ASMEND
	;; [unrolled: 3-line block ×8, first 2 shown]
	ds_read_b128 v[7:10], v83 offset:48
	ds_read_b128 v[11:14], v86 offset:48
	;; [unrolled: 1-line block ×6, first 2 shown]
	s_waitcnt lgkmcnt(4)
	;;#ASMSTART
	v_dot2_f32_f16 v3, v7, v11, v3
	;;#ASMEND
	;;#ASMSTART
	v_dot2_f32_f16 v3, v8, v12, v3
	;;#ASMEND
	;;#ASMSTART
	v_dot2_f32_f16 v3, v9, v13, v3
	;;#ASMEND
	;;#ASMSTART
	v_dot2_f32_f16 v3, v10, v14, v3
	;;#ASMEND
	s_waitcnt lgkmcnt(3)
	;;#ASMSTART
	v_dot2_f32_f16 v33, v7, v15, v33
	;;#ASMEND
	;;#ASMSTART
	v_dot2_f32_f16 v33, v8, v16, v33
	;;#ASMEND
	;;#ASMSTART
	v_dot2_f32_f16 v33, v9, v17, v33
	;;#ASMEND
	;;#ASMSTART
	v_dot2_f32_f16 v33, v10, v18, v33
	;;#ASMEND
	;; [unrolled: 13-line block ×3, first 2 shown]
	;;#ASMSTART
	v_dot2_f32_f16 v34, v19, v15, v34
	;;#ASMEND
	;;#ASMSTART
	v_dot2_f32_f16 v34, v20, v16, v34
	;;#ASMEND
	;;#ASMSTART
	v_dot2_f32_f16 v34, v21, v17, v34
	;;#ASMEND
	;;#ASMSTART
	v_dot2_f32_f16 v34, v22, v18, v34
	;;#ASMEND
	s_waitcnt lgkmcnt(1)
	;;#ASMSTART
	v_dot2_f32_f16 v5, v23, v11, v5
	;;#ASMEND
	;;#ASMSTART
	v_dot2_f32_f16 v5, v24, v12, v5
	;;#ASMEND
	;; [unrolled: 3-line block ×8, first 2 shown]
	s_waitcnt lgkmcnt(0)
	;;#ASMSTART
	v_dot2_f32_f16 v6, v27, v11, v6
	;;#ASMEND
	;;#ASMSTART
	v_dot2_f32_f16 v6, v28, v12, v6
	;;#ASMEND
	;; [unrolled: 3-line block ×8, first 2 shown]
	ds_read_b128 v[7:10], v83 offset:64
	ds_read_b128 v[11:14], v86 offset:64
	ds_read_b128 v[15:18], v86 offset:320
	ds_read_b128 v[19:22], v83 offset:8768
	ds_read_b128 v[23:26], v83 offset:17472
	ds_read_b128 v[27:30], v83 offset:26176
	s_waitcnt lgkmcnt(4)
	;;#ASMSTART
	v_dot2_f32_f16 v3, v7, v11, v3
	;;#ASMEND
	;;#ASMSTART
	v_dot2_f32_f16 v3, v8, v12, v3
	;;#ASMEND
	;;#ASMSTART
	v_dot2_f32_f16 v3, v9, v13, v3
	;;#ASMEND
	;;#ASMSTART
	v_dot2_f32_f16 v3, v10, v14, v3
	;;#ASMEND
	s_waitcnt lgkmcnt(3)
	;;#ASMSTART
	v_dot2_f32_f16 v33, v7, v15, v33
	;;#ASMEND
	;;#ASMSTART
	v_dot2_f32_f16 v33, v8, v16, v33
	;;#ASMEND
	;;#ASMSTART
	v_dot2_f32_f16 v33, v9, v17, v33
	;;#ASMEND
	;;#ASMSTART
	v_dot2_f32_f16 v33, v10, v18, v33
	;;#ASMEND
	;; [unrolled: 13-line block ×3, first 2 shown]
	;;#ASMSTART
	v_dot2_f32_f16 v34, v19, v15, v34
	;;#ASMEND
	;;#ASMSTART
	v_dot2_f32_f16 v34, v20, v16, v34
	;;#ASMEND
	;;#ASMSTART
	v_dot2_f32_f16 v34, v21, v17, v34
	;;#ASMEND
	;;#ASMSTART
	v_dot2_f32_f16 v34, v22, v18, v34
	;;#ASMEND
	s_waitcnt lgkmcnt(1)
	;;#ASMSTART
	v_dot2_f32_f16 v5, v23, v11, v5
	;;#ASMEND
	;;#ASMSTART
	v_dot2_f32_f16 v5, v24, v12, v5
	;;#ASMEND
	;; [unrolled: 3-line block ×8, first 2 shown]
	s_waitcnt lgkmcnt(0)
	;;#ASMSTART
	v_dot2_f32_f16 v6, v27, v11, v6
	;;#ASMEND
	;;#ASMSTART
	v_dot2_f32_f16 v6, v28, v12, v6
	;;#ASMEND
	;; [unrolled: 3-line block ×8, first 2 shown]
	ds_read_b128 v[7:10], v83 offset:80
	ds_read_b128 v[11:14], v86 offset:80
	;; [unrolled: 1-line block ×6, first 2 shown]
	s_waitcnt lgkmcnt(4)
	;;#ASMSTART
	v_dot2_f32_f16 v3, v7, v11, v3
	;;#ASMEND
	;;#ASMSTART
	v_dot2_f32_f16 v3, v8, v12, v3
	;;#ASMEND
	;;#ASMSTART
	v_dot2_f32_f16 v3, v9, v13, v3
	;;#ASMEND
	;;#ASMSTART
	v_dot2_f32_f16 v3, v10, v14, v3
	;;#ASMEND
	s_waitcnt lgkmcnt(3)
	;;#ASMSTART
	v_dot2_f32_f16 v33, v7, v15, v33
	;;#ASMEND
	;;#ASMSTART
	v_dot2_f32_f16 v33, v8, v16, v33
	;;#ASMEND
	;;#ASMSTART
	v_dot2_f32_f16 v33, v9, v17, v33
	;;#ASMEND
	;;#ASMSTART
	v_dot2_f32_f16 v33, v10, v18, v33
	;;#ASMEND
	;; [unrolled: 13-line block ×3, first 2 shown]
	;;#ASMSTART
	v_dot2_f32_f16 v34, v19, v15, v34
	;;#ASMEND
	;;#ASMSTART
	v_dot2_f32_f16 v34, v20, v16, v34
	;;#ASMEND
	;; [unrolled: 3-line block ×4, first 2 shown]
	s_waitcnt lgkmcnt(1)
	;;#ASMSTART
	v_dot2_f32_f16 v5, v23, v11, v5
	;;#ASMEND
	;;#ASMSTART
	v_dot2_f32_f16 v5, v24, v12, v5
	;;#ASMEND
	;; [unrolled: 3-line block ×8, first 2 shown]
	s_waitcnt lgkmcnt(0)
	;;#ASMSTART
	v_dot2_f32_f16 v6, v27, v11, v6
	;;#ASMEND
	;;#ASMSTART
	v_dot2_f32_f16 v6, v28, v12, v6
	;;#ASMEND
	;; [unrolled: 3-line block ×8, first 2 shown]
	ds_read_b128 v[7:10], v83 offset:96
	ds_read_b128 v[11:14], v86 offset:96
	;; [unrolled: 1-line block ×6, first 2 shown]
	s_waitcnt lgkmcnt(4)
	;;#ASMSTART
	v_dot2_f32_f16 v3, v7, v11, v3
	;;#ASMEND
	;;#ASMSTART
	v_dot2_f32_f16 v3, v8, v12, v3
	;;#ASMEND
	;;#ASMSTART
	v_dot2_f32_f16 v3, v9, v13, v3
	;;#ASMEND
	;;#ASMSTART
	v_dot2_f32_f16 v3, v10, v14, v3
	;;#ASMEND
	s_waitcnt lgkmcnt(3)
	;;#ASMSTART
	v_dot2_f32_f16 v33, v7, v15, v33
	;;#ASMEND
	;;#ASMSTART
	v_dot2_f32_f16 v33, v8, v16, v33
	;;#ASMEND
	;;#ASMSTART
	v_dot2_f32_f16 v33, v9, v17, v33
	;;#ASMEND
	;;#ASMSTART
	v_dot2_f32_f16 v33, v10, v18, v33
	;;#ASMEND
	s_waitcnt lgkmcnt(2)
	;;#ASMSTART
	v_dot2_f32_f16 v4, v19, v11, v4
	;;#ASMEND
	;;#ASMSTART
	v_dot2_f32_f16 v4, v20, v12, v4
	;;#ASMEND
	;;#ASMSTART
	v_dot2_f32_f16 v4, v21, v13, v4
	;;#ASMEND
	;;#ASMSTART
	v_dot2_f32_f16 v4, v22, v14, v4
	;;#ASMEND
	;;#ASMSTART
	v_dot2_f32_f16 v34, v19, v15, v34
	;;#ASMEND
	;;#ASMSTART
	v_dot2_f32_f16 v34, v20, v16, v34
	;;#ASMEND
	;; [unrolled: 3-line block ×4, first 2 shown]
	s_waitcnt lgkmcnt(1)
	;;#ASMSTART
	v_dot2_f32_f16 v5, v23, v11, v5
	;;#ASMEND
	;;#ASMSTART
	v_dot2_f32_f16 v5, v24, v12, v5
	;;#ASMEND
	;; [unrolled: 3-line block ×8, first 2 shown]
	s_waitcnt lgkmcnt(0)
	;;#ASMSTART
	v_dot2_f32_f16 v6, v27, v11, v6
	;;#ASMEND
	;;#ASMSTART
	v_dot2_f32_f16 v6, v28, v12, v6
	;;#ASMEND
	;; [unrolled: 3-line block ×8, first 2 shown]
	ds_read_b128 v[7:10], v83 offset:112
	ds_read_b128 v[11:14], v86 offset:112
	;; [unrolled: 1-line block ×6, first 2 shown]
	s_waitcnt lgkmcnt(4)
	;;#ASMSTART
	v_dot2_f32_f16 v3, v7, v11, v3
	;;#ASMEND
	;;#ASMSTART
	v_dot2_f32_f16 v3, v8, v12, v3
	;;#ASMEND
	;;#ASMSTART
	v_dot2_f32_f16 v3, v9, v13, v3
	;;#ASMEND
	;;#ASMSTART
	v_dot2_f32_f16 v3, v10, v14, v3
	;;#ASMEND
	s_waitcnt lgkmcnt(3)
	;;#ASMSTART
	v_dot2_f32_f16 v33, v7, v15, v33
	;;#ASMEND
	;;#ASMSTART
	v_dot2_f32_f16 v33, v8, v16, v33
	;;#ASMEND
	;;#ASMSTART
	v_dot2_f32_f16 v33, v9, v17, v33
	;;#ASMEND
	;;#ASMSTART
	v_dot2_f32_f16 v33, v10, v18, v33
	;;#ASMEND
	;; [unrolled: 13-line block ×3, first 2 shown]
	;;#ASMSTART
	v_dot2_f32_f16 v34, v19, v15, v34
	;;#ASMEND
	;;#ASMSTART
	v_dot2_f32_f16 v34, v20, v16, v34
	;;#ASMEND
	;; [unrolled: 3-line block ×4, first 2 shown]
	s_waitcnt lgkmcnt(1)
	;;#ASMSTART
	v_dot2_f32_f16 v5, v23, v11, v5
	;;#ASMEND
	;;#ASMSTART
	v_dot2_f32_f16 v5, v24, v12, v5
	;;#ASMEND
	;; [unrolled: 3-line block ×8, first 2 shown]
	s_waitcnt lgkmcnt(0)
	;;#ASMSTART
	v_dot2_f32_f16 v6, v27, v11, v6
	;;#ASMEND
	;;#ASMSTART
	v_dot2_f32_f16 v6, v28, v12, v6
	;;#ASMEND
	;;#ASMSTART
	v_dot2_f32_f16 v6, v29, v13, v6
	;;#ASMEND
	;;#ASMSTART
	v_dot2_f32_f16 v6, v30, v14, v6
	;;#ASMEND
	;;#ASMSTART
	v_dot2_f32_f16 v113, v27, v15, v113
	;;#ASMEND
	;;#ASMSTART
	v_dot2_f32_f16 v113, v28, v16, v113
	;;#ASMEND
	;;#ASMSTART
	v_dot2_f32_f16 v113, v29, v17, v113
	;;#ASMEND
	;;#ASMSTART
	v_dot2_f32_f16 v113, v30, v18, v113
	;;#ASMEND
	ds_read_b128 v[7:10], v83 offset:128
	ds_read_b128 v[11:14], v86 offset:128
	;; [unrolled: 1-line block ×6, first 2 shown]
	s_waitcnt lgkmcnt(4)
	;;#ASMSTART
	v_dot2_f32_f16 v3, v7, v11, v3
	;;#ASMEND
	;;#ASMSTART
	v_dot2_f32_f16 v3, v8, v12, v3
	;;#ASMEND
	;;#ASMSTART
	v_dot2_f32_f16 v3, v9, v13, v3
	;;#ASMEND
	;;#ASMSTART
	v_dot2_f32_f16 v3, v10, v14, v3
	;;#ASMEND
	s_waitcnt lgkmcnt(3)
	;;#ASMSTART
	v_dot2_f32_f16 v33, v7, v15, v33
	;;#ASMEND
	;;#ASMSTART
	v_dot2_f32_f16 v33, v8, v16, v33
	;;#ASMEND
	;;#ASMSTART
	v_dot2_f32_f16 v33, v9, v17, v33
	;;#ASMEND
	;;#ASMSTART
	v_dot2_f32_f16 v33, v10, v18, v33
	;;#ASMEND
	;; [unrolled: 13-line block ×3, first 2 shown]
	;;#ASMSTART
	v_dot2_f32_f16 v34, v19, v15, v34
	;;#ASMEND
	;;#ASMSTART
	v_dot2_f32_f16 v34, v20, v16, v34
	;;#ASMEND
	;; [unrolled: 3-line block ×4, first 2 shown]
	s_waitcnt lgkmcnt(1)
	;;#ASMSTART
	v_dot2_f32_f16 v5, v23, v11, v5
	;;#ASMEND
	;;#ASMSTART
	v_dot2_f32_f16 v5, v24, v12, v5
	;;#ASMEND
	;; [unrolled: 3-line block ×8, first 2 shown]
	s_waitcnt lgkmcnt(0)
	;;#ASMSTART
	v_dot2_f32_f16 v6, v27, v11, v6
	;;#ASMEND
	;;#ASMSTART
	v_dot2_f32_f16 v6, v28, v12, v6
	;;#ASMEND
	;; [unrolled: 3-line block ×8, first 2 shown]
	ds_read_b128 v[7:10], v83 offset:144
	ds_read_b128 v[11:14], v86 offset:144
	;; [unrolled: 1-line block ×6, first 2 shown]
	s_waitcnt lgkmcnt(4)
	;;#ASMSTART
	v_dot2_f32_f16 v3, v7, v11, v3
	;;#ASMEND
	;;#ASMSTART
	v_dot2_f32_f16 v3, v8, v12, v3
	;;#ASMEND
	;;#ASMSTART
	v_dot2_f32_f16 v3, v9, v13, v3
	;;#ASMEND
	;;#ASMSTART
	v_dot2_f32_f16 v3, v10, v14, v3
	;;#ASMEND
	s_waitcnt lgkmcnt(3)
	;;#ASMSTART
	v_dot2_f32_f16 v33, v7, v15, v33
	;;#ASMEND
	;;#ASMSTART
	v_dot2_f32_f16 v33, v8, v16, v33
	;;#ASMEND
	;;#ASMSTART
	v_dot2_f32_f16 v33, v9, v17, v33
	;;#ASMEND
	;;#ASMSTART
	v_dot2_f32_f16 v33, v10, v18, v33
	;;#ASMEND
	;; [unrolled: 13-line block ×3, first 2 shown]
	;;#ASMSTART
	v_dot2_f32_f16 v34, v19, v15, v34
	;;#ASMEND
	;;#ASMSTART
	v_dot2_f32_f16 v34, v20, v16, v34
	;;#ASMEND
	;; [unrolled: 3-line block ×4, first 2 shown]
	s_waitcnt lgkmcnt(1)
	;;#ASMSTART
	v_dot2_f32_f16 v5, v23, v11, v5
	;;#ASMEND
	;;#ASMSTART
	v_dot2_f32_f16 v5, v24, v12, v5
	;;#ASMEND
	;; [unrolled: 3-line block ×8, first 2 shown]
	s_waitcnt lgkmcnt(0)
	;;#ASMSTART
	v_dot2_f32_f16 v6, v27, v11, v6
	;;#ASMEND
	;;#ASMSTART
	v_dot2_f32_f16 v6, v28, v12, v6
	;;#ASMEND
	;; [unrolled: 3-line block ×8, first 2 shown]
	ds_read_b128 v[7:10], v83 offset:160
	ds_read_b128 v[11:14], v86 offset:160
	;; [unrolled: 1-line block ×6, first 2 shown]
	s_waitcnt lgkmcnt(4)
	;;#ASMSTART
	v_dot2_f32_f16 v3, v7, v11, v3
	;;#ASMEND
	;;#ASMSTART
	v_dot2_f32_f16 v3, v8, v12, v3
	;;#ASMEND
	;;#ASMSTART
	v_dot2_f32_f16 v3, v9, v13, v3
	;;#ASMEND
	;;#ASMSTART
	v_dot2_f32_f16 v3, v10, v14, v3
	;;#ASMEND
	s_waitcnt lgkmcnt(3)
	;;#ASMSTART
	v_dot2_f32_f16 v33, v7, v15, v33
	;;#ASMEND
	;;#ASMSTART
	v_dot2_f32_f16 v33, v8, v16, v33
	;;#ASMEND
	;;#ASMSTART
	v_dot2_f32_f16 v33, v9, v17, v33
	;;#ASMEND
	;;#ASMSTART
	v_dot2_f32_f16 v33, v10, v18, v33
	;;#ASMEND
	;; [unrolled: 13-line block ×3, first 2 shown]
	;;#ASMSTART
	v_dot2_f32_f16 v34, v19, v15, v34
	;;#ASMEND
	;;#ASMSTART
	v_dot2_f32_f16 v34, v20, v16, v34
	;;#ASMEND
	;; [unrolled: 3-line block ×4, first 2 shown]
	s_waitcnt lgkmcnt(1)
	;;#ASMSTART
	v_dot2_f32_f16 v5, v23, v11, v5
	;;#ASMEND
	;;#ASMSTART
	v_dot2_f32_f16 v5, v24, v12, v5
	;;#ASMEND
	;; [unrolled: 3-line block ×8, first 2 shown]
	s_waitcnt lgkmcnt(0)
	;;#ASMSTART
	v_dot2_f32_f16 v6, v27, v11, v6
	;;#ASMEND
	;;#ASMSTART
	v_dot2_f32_f16 v6, v28, v12, v6
	;;#ASMEND
	;; [unrolled: 3-line block ×8, first 2 shown]
	ds_read_b128 v[7:10], v83 offset:176
	ds_read_b128 v[11:14], v86 offset:176
	ds_read_b128 v[15:18], v86 offset:432
	ds_read_b128 v[19:22], v83 offset:8880
	ds_read_b128 v[23:26], v83 offset:17584
	ds_read_b128 v[27:30], v83 offset:26288
	s_waitcnt lgkmcnt(4)
	;;#ASMSTART
	v_dot2_f32_f16 v3, v7, v11, v3
	;;#ASMEND
	;;#ASMSTART
	v_dot2_f32_f16 v3, v8, v12, v3
	;;#ASMEND
	;;#ASMSTART
	v_dot2_f32_f16 v3, v9, v13, v3
	;;#ASMEND
	;;#ASMSTART
	v_dot2_f32_f16 v3, v10, v14, v3
	;;#ASMEND
	s_waitcnt lgkmcnt(3)
	;;#ASMSTART
	v_dot2_f32_f16 v33, v7, v15, v33
	;;#ASMEND
	;;#ASMSTART
	v_dot2_f32_f16 v33, v8, v16, v33
	;;#ASMEND
	;;#ASMSTART
	v_dot2_f32_f16 v33, v9, v17, v33
	;;#ASMEND
	;;#ASMSTART
	v_dot2_f32_f16 v33, v10, v18, v33
	;;#ASMEND
	;; [unrolled: 13-line block ×3, first 2 shown]
	;;#ASMSTART
	v_dot2_f32_f16 v34, v19, v15, v34
	;;#ASMEND
	;;#ASMSTART
	v_dot2_f32_f16 v34, v20, v16, v34
	;;#ASMEND
	;; [unrolled: 3-line block ×4, first 2 shown]
	s_waitcnt lgkmcnt(1)
	;;#ASMSTART
	v_dot2_f32_f16 v5, v23, v11, v5
	;;#ASMEND
	;;#ASMSTART
	v_dot2_f32_f16 v5, v24, v12, v5
	;;#ASMEND
	;; [unrolled: 3-line block ×8, first 2 shown]
	s_waitcnt lgkmcnt(0)
	;;#ASMSTART
	v_dot2_f32_f16 v6, v27, v11, v6
	;;#ASMEND
	;;#ASMSTART
	v_dot2_f32_f16 v6, v28, v12, v6
	;;#ASMEND
	;; [unrolled: 3-line block ×8, first 2 shown]
	ds_read_b128 v[7:10], v83 offset:192
	ds_read_b128 v[11:14], v86 offset:192
	;; [unrolled: 1-line block ×6, first 2 shown]
	s_waitcnt lgkmcnt(4)
	;;#ASMSTART
	v_dot2_f32_f16 v3, v7, v11, v3
	;;#ASMEND
	;;#ASMSTART
	v_dot2_f32_f16 v3, v8, v12, v3
	;;#ASMEND
	;;#ASMSTART
	v_dot2_f32_f16 v3, v9, v13, v3
	;;#ASMEND
	;;#ASMSTART
	v_dot2_f32_f16 v3, v10, v14, v3
	;;#ASMEND
	s_waitcnt lgkmcnt(3)
	;;#ASMSTART
	v_dot2_f32_f16 v33, v7, v15, v33
	;;#ASMEND
	;;#ASMSTART
	v_dot2_f32_f16 v33, v8, v16, v33
	;;#ASMEND
	;;#ASMSTART
	v_dot2_f32_f16 v33, v9, v17, v33
	;;#ASMEND
	;;#ASMSTART
	v_dot2_f32_f16 v33, v10, v18, v33
	;;#ASMEND
	;; [unrolled: 13-line block ×3, first 2 shown]
	;;#ASMSTART
	v_dot2_f32_f16 v34, v19, v15, v34
	;;#ASMEND
	;;#ASMSTART
	v_dot2_f32_f16 v34, v20, v16, v34
	;;#ASMEND
	;; [unrolled: 3-line block ×4, first 2 shown]
	s_waitcnt lgkmcnt(1)
	;;#ASMSTART
	v_dot2_f32_f16 v5, v23, v11, v5
	;;#ASMEND
	;;#ASMSTART
	v_dot2_f32_f16 v5, v24, v12, v5
	;;#ASMEND
	;; [unrolled: 3-line block ×8, first 2 shown]
	s_waitcnt lgkmcnt(0)
	;;#ASMSTART
	v_dot2_f32_f16 v6, v27, v11, v6
	;;#ASMEND
	;;#ASMSTART
	v_dot2_f32_f16 v6, v28, v12, v6
	;;#ASMEND
	;; [unrolled: 3-line block ×8, first 2 shown]
	ds_read_b128 v[7:10], v83 offset:208
	ds_read_b128 v[11:14], v86 offset:208
	;; [unrolled: 1-line block ×6, first 2 shown]
	s_waitcnt lgkmcnt(4)
	;;#ASMSTART
	v_dot2_f32_f16 v3, v7, v11, v3
	;;#ASMEND
	;;#ASMSTART
	v_dot2_f32_f16 v3, v8, v12, v3
	;;#ASMEND
	;;#ASMSTART
	v_dot2_f32_f16 v3, v9, v13, v3
	;;#ASMEND
	;;#ASMSTART
	v_dot2_f32_f16 v3, v10, v14, v3
	;;#ASMEND
	s_waitcnt lgkmcnt(3)
	;;#ASMSTART
	v_dot2_f32_f16 v33, v7, v15, v33
	;;#ASMEND
	;;#ASMSTART
	v_dot2_f32_f16 v33, v8, v16, v33
	;;#ASMEND
	;;#ASMSTART
	v_dot2_f32_f16 v33, v9, v17, v33
	;;#ASMEND
	;;#ASMSTART
	v_dot2_f32_f16 v33, v10, v18, v33
	;;#ASMEND
	;; [unrolled: 13-line block ×3, first 2 shown]
	;;#ASMSTART
	v_dot2_f32_f16 v34, v19, v15, v34
	;;#ASMEND
	;;#ASMSTART
	v_dot2_f32_f16 v34, v20, v16, v34
	;;#ASMEND
	;;#ASMSTART
	v_dot2_f32_f16 v34, v21, v17, v34
	;;#ASMEND
	;;#ASMSTART
	v_dot2_f32_f16 v34, v22, v18, v34
	;;#ASMEND
	s_waitcnt lgkmcnt(1)
	;;#ASMSTART
	v_dot2_f32_f16 v5, v23, v11, v5
	;;#ASMEND
	;;#ASMSTART
	v_dot2_f32_f16 v5, v24, v12, v5
	;;#ASMEND
	;; [unrolled: 3-line block ×8, first 2 shown]
	s_waitcnt lgkmcnt(0)
	;;#ASMSTART
	v_dot2_f32_f16 v6, v27, v11, v6
	;;#ASMEND
	;;#ASMSTART
	v_dot2_f32_f16 v6, v28, v12, v6
	;;#ASMEND
	;; [unrolled: 3-line block ×8, first 2 shown]
	ds_read_b128 v[7:10], v83 offset:224
	ds_read_b128 v[11:14], v86 offset:224
	;; [unrolled: 1-line block ×6, first 2 shown]
	s_waitcnt lgkmcnt(4)
	;;#ASMSTART
	v_dot2_f32_f16 v3, v7, v11, v3
	;;#ASMEND
	;;#ASMSTART
	v_dot2_f32_f16 v3, v8, v12, v3
	;;#ASMEND
	;;#ASMSTART
	v_dot2_f32_f16 v3, v9, v13, v3
	;;#ASMEND
	;;#ASMSTART
	v_dot2_f32_f16 v3, v10, v14, v3
	;;#ASMEND
	s_waitcnt lgkmcnt(3)
	;;#ASMSTART
	v_dot2_f32_f16 v33, v7, v15, v33
	;;#ASMEND
	;;#ASMSTART
	v_dot2_f32_f16 v33, v8, v16, v33
	;;#ASMEND
	;;#ASMSTART
	v_dot2_f32_f16 v33, v9, v17, v33
	;;#ASMEND
	;;#ASMSTART
	v_dot2_f32_f16 v33, v10, v18, v33
	;;#ASMEND
	s_waitcnt lgkmcnt(2)
	;;#ASMSTART
	v_dot2_f32_f16 v4, v19, v11, v4
	;;#ASMEND
	;;#ASMSTART
	v_dot2_f32_f16 v4, v20, v12, v4
	;;#ASMEND
	;;#ASMSTART
	v_dot2_f32_f16 v4, v21, v13, v4
	;;#ASMEND
	;;#ASMSTART
	v_dot2_f32_f16 v4, v22, v14, v4
	;;#ASMEND
	;;#ASMSTART
	v_dot2_f32_f16 v34, v19, v15, v34
	;;#ASMEND
	;;#ASMSTART
	v_dot2_f32_f16 v34, v20, v16, v34
	;;#ASMEND
	;; [unrolled: 3-line block ×4, first 2 shown]
	s_waitcnt lgkmcnt(1)
	;;#ASMSTART
	v_dot2_f32_f16 v5, v23, v11, v5
	;;#ASMEND
	;;#ASMSTART
	v_dot2_f32_f16 v5, v24, v12, v5
	;;#ASMEND
	;; [unrolled: 3-line block ×8, first 2 shown]
	s_waitcnt lgkmcnt(0)
	;;#ASMSTART
	v_dot2_f32_f16 v6, v27, v11, v6
	;;#ASMEND
	;;#ASMSTART
	v_dot2_f32_f16 v6, v28, v12, v6
	;;#ASMEND
	;; [unrolled: 3-line block ×8, first 2 shown]
	ds_read_b128 v[7:10], v83 offset:240
	ds_read_b128 v[11:14], v86 offset:240
	;; [unrolled: 1-line block ×6, first 2 shown]
	s_waitcnt lgkmcnt(4)
	;;#ASMSTART
	v_dot2_f32_f16 v3, v7, v11, v3
	;;#ASMEND
	;;#ASMSTART
	v_dot2_f32_f16 v3, v8, v12, v3
	;;#ASMEND
	;;#ASMSTART
	v_dot2_f32_f16 v3, v9, v13, v3
	;;#ASMEND
	;;#ASMSTART
	v_dot2_f32_f16 v3, v10, v14, v3
	;;#ASMEND
	s_waitcnt lgkmcnt(3)
	;;#ASMSTART
	v_dot2_f32_f16 v33, v7, v15, v33
	;;#ASMEND
	;;#ASMSTART
	v_dot2_f32_f16 v33, v8, v16, v33
	;;#ASMEND
	;;#ASMSTART
	v_dot2_f32_f16 v33, v9, v17, v33
	;;#ASMEND
	;;#ASMSTART
	v_dot2_f32_f16 v33, v10, v18, v33
	;;#ASMEND
	;; [unrolled: 13-line block ×3, first 2 shown]
	;;#ASMSTART
	v_dot2_f32_f16 v34, v19, v15, v34
	;;#ASMEND
	;;#ASMSTART
	v_dot2_f32_f16 v34, v20, v16, v34
	;;#ASMEND
	;; [unrolled: 3-line block ×4, first 2 shown]
	s_waitcnt lgkmcnt(1)
	;;#ASMSTART
	v_dot2_f32_f16 v5, v23, v11, v5
	;;#ASMEND
	;;#ASMSTART
	v_dot2_f32_f16 v5, v24, v12, v5
	;;#ASMEND
	;;#ASMSTART
	v_dot2_f32_f16 v5, v25, v13, v5
	;;#ASMEND
	;;#ASMSTART
	v_dot2_f32_f16 v5, v26, v14, v5
	;;#ASMEND
	;;#ASMSTART
	v_dot2_f32_f16 v112, v23, v15, v112
	;;#ASMEND
	;;#ASMSTART
	v_dot2_f32_f16 v112, v24, v16, v112
	;;#ASMEND
	;;#ASMSTART
	v_dot2_f32_f16 v112, v25, v17, v112
	;;#ASMEND
	;;#ASMSTART
	v_dot2_f32_f16 v112, v26, v18, v112
	;;#ASMEND
	s_waitcnt lgkmcnt(0)
	;;#ASMSTART
	v_dot2_f32_f16 v6, v27, v11, v6
	;;#ASMEND
	v_cmp_ngt_f32_e64 s14, 0x3f200000, |v3|
	;;#ASMSTART
	v_dot2_f32_f16 v6, v28, v12, v6
	;;#ASMEND
	;;#ASMSTART
	v_dot2_f32_f16 v6, v29, v13, v6
	;;#ASMEND
	;; [unrolled: 3-line block ×7, first 2 shown]
                                        ; implicit-def: $vgpr8
	s_and_saveexec_b32 s15, s14
	s_xor_b32 s14, exec_lo, s15
	s_cbranch_execz .LBB88_10
; %bb.9:                                ;   in Loop: Header=BB88_8 Depth=1
	v_add_f32_e64 v1, |v3|, |v3|
	v_mul_f32_e32 v2, 0x3fb8aa3b, v1
	v_cmp_ngt_f32_e32 vcc_lo, 0xc2ce8ed0, v1
	v_rndne_f32_e32 v7, v2
	v_fma_f32 v8, 0x3fb8aa3b, v1, -v2
	v_sub_f32_e32 v2, v2, v7
	v_fmac_f32_e32 v8, 0x32a5705f, v1
	v_cvt_i32_f32_e32 v7, v7
	v_add_f32_e32 v2, v2, v8
	v_exp_f32_e32 v2, v2
	v_ldexp_f32 v2, v2, v7
	v_cndmask_b32_e32 v2, 0, v2, vcc_lo
	v_cmp_nlt_f32_e32 vcc_lo, 0x42b17218, v1
	v_cndmask_b32_e32 v1, 0x7f800000, v2, vcc_lo
	v_add_f32_e32 v1, 1.0, v1
	v_rcp_f32_e32 v1, v1
	v_fma_f32 v8, v1, -2.0, 1.0
.LBB88_10:                              ;   in Loop: Header=BB88_8 Depth=1
	s_andn2_saveexec_b32 s14, s14
	s_cbranch_execz .LBB88_12
; %bb.11:                               ;   in Loop: Header=BB88_8 Depth=1
	v_mul_f32_e32 v1, v3, v3
	v_fmaak_f32 v2, s13, v1, 0x3ca908c9
	v_fmaak_f32 v2, v1, v2, 0xbd5c1c4e
	;; [unrolled: 1-line block ×4, first 2 shown]
	v_mul_f32_e64 v2, |v3|, v2
	v_fma_f32 v8, v1, v2, |v3|
.LBB88_12:                              ;   in Loop: Header=BB88_8 Depth=1
	s_or_b32 exec_lo, exec_lo, s14
	v_add_nc_u32_e32 v7, s18, v0
	s_andn2_b32 vcc_lo, exec_lo, s11
	v_add_nc_u32_e32 v1, v7, v87
	v_ashrrev_i32_e32 v2, 31, v1
	s_cbranch_vccnz .LBB88_58
; %bb.13:                               ;   in Loop: Header=BB88_8 Depth=1
	v_lshlrev_b64 v[9:10], 1, v[1:2]
	v_add_co_u32 v9, vcc_lo, s46, v9
	v_add_co_ci_u32_e64 v10, null, s47, v10, vcc_lo
	global_load_ushort v9, v[9:10], off
	s_waitcnt vmcnt(0)
	v_cvt_f32_f16_e32 v9, v9
	v_mul_f32_e32 v114, v79, v9
	v_cmp_ngt_f32_e64 s14, 0x3f200000, |v4|
                                        ; implicit-def: $vgpr9
	s_and_saveexec_b32 s15, s14
	s_xor_b32 s14, exec_lo, s15
	s_cbranch_execz .LBB88_15
.LBB88_14:                              ;   in Loop: Header=BB88_8 Depth=1
	v_add_f32_e64 v9, |v4|, |v4|
	v_mul_f32_e32 v10, 0x3fb8aa3b, v9
	v_cmp_ngt_f32_e32 vcc_lo, 0xc2ce8ed0, v9
	v_rndne_f32_e32 v11, v10
	v_fma_f32 v12, 0x3fb8aa3b, v9, -v10
	v_sub_f32_e32 v10, v10, v11
	v_fmac_f32_e32 v12, 0x32a5705f, v9
	v_cvt_i32_f32_e32 v11, v11
	v_add_f32_e32 v10, v10, v12
	v_exp_f32_e32 v10, v10
	v_ldexp_f32 v10, v10, v11
	v_cndmask_b32_e32 v10, 0, v10, vcc_lo
	v_cmp_nlt_f32_e32 vcc_lo, 0x42b17218, v9
	v_cndmask_b32_e32 v9, 0x7f800000, v10, vcc_lo
	v_add_f32_e32 v9, 1.0, v9
	v_rcp_f32_e32 v9, v9
	v_fma_f32 v9, v9, -2.0, 1.0
.LBB88_15:                              ;   in Loop: Header=BB88_8 Depth=1
	s_andn2_saveexec_b32 s14, s14
	s_cbranch_execz .LBB88_18
; %bb.16:                               ;   in Loop: Header=BB88_8 Depth=1
	v_mul_f32_e32 v9, v4, v4
	v_fmaak_f32 v10, s13, v9, 0x3ca908c9
	v_fmaak_f32 v10, v9, v10, 0xbd5c1c4e
	;; [unrolled: 1-line block ×4, first 2 shown]
	v_mul_f32_e64 v10, |v4|, v10
	v_fma_f32 v9, v9, v10, |v4|
	s_or_b32 exec_lo, exec_lo, s14
	s_andn2_b32 vcc_lo, exec_lo, s11
	s_cbranch_vccz .LBB88_19
.LBB88_17:                              ;   in Loop: Header=BB88_8 Depth=1
	v_mov_b32_e32 v115, 0
	v_cmp_ngt_f32_e64 s14, 0x3f200000, |v5|
                                        ; implicit-def: $vgpr10
	s_and_saveexec_b32 s15, s14
	s_xor_b32 s14, exec_lo, s15
	s_cbranch_execz .LBB88_21
	s_branch .LBB88_20
.LBB88_18:                              ;   in Loop: Header=BB88_8 Depth=1
	s_or_b32 exec_lo, exec_lo, s14
	s_andn2_b32 vcc_lo, exec_lo, s11
	s_cbranch_vccnz .LBB88_17
.LBB88_19:                              ;   in Loop: Header=BB88_8 Depth=1
	v_lshlrev_b64 v[10:11], 1, v[1:2]
	v_add_co_u32 v10, vcc_lo, s46, v10
	v_add_co_ci_u32_e64 v11, null, s47, v11, vcc_lo
	global_load_ushort v10, v[10:11], off offset:64
	s_waitcnt vmcnt(0)
	v_cvt_f32_f16_e32 v10, v10
	v_mul_f32_e32 v115, v79, v10
	v_cmp_ngt_f32_e64 s14, 0x3f200000, |v5|
                                        ; implicit-def: $vgpr10
	s_and_saveexec_b32 s15, s14
	s_xor_b32 s14, exec_lo, s15
	s_cbranch_execz .LBB88_21
.LBB88_20:                              ;   in Loop: Header=BB88_8 Depth=1
	v_add_f32_e64 v10, |v5|, |v5|
	v_mul_f32_e32 v11, 0x3fb8aa3b, v10
	v_cmp_ngt_f32_e32 vcc_lo, 0xc2ce8ed0, v10
	v_rndne_f32_e32 v12, v11
	v_fma_f32 v13, 0x3fb8aa3b, v10, -v11
	v_sub_f32_e32 v11, v11, v12
	v_fmac_f32_e32 v13, 0x32a5705f, v10
	v_cvt_i32_f32_e32 v12, v12
	v_add_f32_e32 v11, v11, v13
	v_exp_f32_e32 v11, v11
	v_ldexp_f32 v11, v11, v12
	v_cndmask_b32_e32 v11, 0, v11, vcc_lo
	v_cmp_nlt_f32_e32 vcc_lo, 0x42b17218, v10
	v_cndmask_b32_e32 v10, 0x7f800000, v11, vcc_lo
	v_add_f32_e32 v10, 1.0, v10
	v_rcp_f32_e32 v10, v10
	v_fma_f32 v10, v10, -2.0, 1.0
.LBB88_21:                              ;   in Loop: Header=BB88_8 Depth=1
	s_andn2_saveexec_b32 s14, s14
	s_cbranch_execz .LBB88_24
; %bb.22:                               ;   in Loop: Header=BB88_8 Depth=1
	v_mul_f32_e32 v10, v5, v5
	v_fmaak_f32 v11, s13, v10, 0x3ca908c9
	v_fmaak_f32 v11, v10, v11, 0xbd5c1c4e
	;; [unrolled: 1-line block ×4, first 2 shown]
	v_mul_f32_e64 v11, |v5|, v11
	v_fma_f32 v10, v10, v11, |v5|
	s_or_b32 exec_lo, exec_lo, s14
	s_andn2_b32 vcc_lo, exec_lo, s11
	s_cbranch_vccz .LBB88_25
.LBB88_23:                              ;   in Loop: Header=BB88_8 Depth=1
	v_mov_b32_e32 v116, 0
	v_cmp_ngt_f32_e64 s14, 0x3f200000, |v6|
                                        ; implicit-def: $vgpr11
	s_and_saveexec_b32 s15, s14
	s_xor_b32 s14, exec_lo, s15
	s_cbranch_execz .LBB88_27
	s_branch .LBB88_26
.LBB88_24:                              ;   in Loop: Header=BB88_8 Depth=1
	s_or_b32 exec_lo, exec_lo, s14
	s_andn2_b32 vcc_lo, exec_lo, s11
	s_cbranch_vccnz .LBB88_23
.LBB88_25:                              ;   in Loop: Header=BB88_8 Depth=1
	v_lshlrev_b64 v[11:12], 1, v[1:2]
	v_add_co_u32 v11, vcc_lo, s46, v11
	v_add_co_ci_u32_e64 v12, null, s47, v12, vcc_lo
	global_load_ushort v11, v[11:12], off offset:128
	s_waitcnt vmcnt(0)
	v_cvt_f32_f16_e32 v11, v11
	v_mul_f32_e32 v116, v79, v11
	v_cmp_ngt_f32_e64 s14, 0x3f200000, |v6|
                                        ; implicit-def: $vgpr11
	s_and_saveexec_b32 s15, s14
	s_xor_b32 s14, exec_lo, s15
	s_cbranch_execz .LBB88_27
.LBB88_26:                              ;   in Loop: Header=BB88_8 Depth=1
	v_add_f32_e64 v11, |v6|, |v6|
	v_mul_f32_e32 v12, 0x3fb8aa3b, v11
	v_cmp_ngt_f32_e32 vcc_lo, 0xc2ce8ed0, v11
	v_rndne_f32_e32 v13, v12
	v_fma_f32 v14, 0x3fb8aa3b, v11, -v12
	v_sub_f32_e32 v12, v12, v13
	v_fmac_f32_e32 v14, 0x32a5705f, v11
	v_cvt_i32_f32_e32 v13, v13
	v_add_f32_e32 v12, v12, v14
	v_exp_f32_e32 v12, v12
	v_ldexp_f32 v12, v12, v13
	v_cndmask_b32_e32 v12, 0, v12, vcc_lo
	v_cmp_nlt_f32_e32 vcc_lo, 0x42b17218, v11
	v_cndmask_b32_e32 v11, 0x7f800000, v12, vcc_lo
	v_add_f32_e32 v11, 1.0, v11
	v_rcp_f32_e32 v11, v11
	v_fma_f32 v11, v11, -2.0, 1.0
.LBB88_27:                              ;   in Loop: Header=BB88_8 Depth=1
	s_andn2_saveexec_b32 s14, s14
	s_cbranch_execz .LBB88_30
; %bb.28:                               ;   in Loop: Header=BB88_8 Depth=1
	v_mul_f32_e32 v11, v6, v6
	v_fmaak_f32 v12, s13, v11, 0x3ca908c9
	v_fmaak_f32 v12, v11, v12, 0xbd5c1c4e
	;; [unrolled: 1-line block ×4, first 2 shown]
	v_mul_f32_e64 v12, |v6|, v12
	v_fma_f32 v11, v11, v12, |v6|
	s_or_b32 exec_lo, exec_lo, s14
	s_andn2_b32 vcc_lo, exec_lo, s11
	s_cbranch_vccz .LBB88_31
.LBB88_29:                              ;   in Loop: Header=BB88_8 Depth=1
	v_mov_b32_e32 v120, 0
	s_branch .LBB88_32
.LBB88_30:                              ;   in Loop: Header=BB88_8 Depth=1
	s_or_b32 exec_lo, exec_lo, s14
	s_andn2_b32 vcc_lo, exec_lo, s11
	s_cbranch_vccnz .LBB88_29
.LBB88_31:                              ;   in Loop: Header=BB88_8 Depth=1
	v_lshlrev_b64 v[1:2], 1, v[1:2]
	v_add_co_u32 v1, vcc_lo, s46, v1
	v_add_co_ci_u32_e64 v2, null, s47, v2, vcc_lo
	global_load_ushort v1, v[1:2], off offset:192
	s_waitcnt vmcnt(0)
	v_cvt_f32_f16_e32 v1, v1
	v_mul_f32_e32 v120, v79, v1
.LBB88_32:                              ;   in Loop: Header=BB88_8 Depth=1
	v_bfi_b32 v1, 0x7fffffff, v8, v3
	v_bfi_b32 v2, 0x7fffffff, v9, v4
	v_bfi_b32 v3, 0x7fffffff, v10, v5
	v_cmp_ngt_f32_e64 s14, 0x3f200000, |v33|
                                        ; implicit-def: $vgpr129
	v_fmac_f32_e32 v114, s19, v1
	v_fmac_f32_e32 v115, s19, v2
	v_bfi_b32 v1, 0x7fffffff, v11, v6
	v_xor_b32_e32 v2, 16, v106
	v_fmac_f32_e32 v116, s19, v3
	v_add_f32_e32 v3, 0x40051340, v114
	v_add_f32_e32 v4, 0x40051340, v115
	v_fmac_f32_e32 v120, s19, v1
	v_cmp_gt_i32_e32 vcc_lo, 32, v2
	v_max3_f32 v3, v111, v3, v4
	v_add_f32_e32 v4, 0x40051340, v120
	v_cndmask_b32_e32 v1, v106, v2, vcc_lo
	v_add_f32_e32 v2, 0x40051340, v116
	v_lshlrev_b32_e32 v124, 2, v1
	v_max3_f32 v1, v3, v2, v4
	v_xor_b32_e32 v3, 8, v106
	ds_bpermute_b32 v2, v124, v1
	v_cmp_gt_i32_e32 vcc_lo, 32, v3
	v_cndmask_b32_e32 v3, v106, v3, vcc_lo
	v_lshlrev_b32_e32 v125, 2, v3
	v_xor_b32_e32 v3, 4, v106
	v_cmp_gt_i32_e32 vcc_lo, 32, v3
	s_waitcnt lgkmcnt(0)
	v_max_f32_e32 v2, v2, v2
	v_cndmask_b32_e32 v3, v106, v3, vcc_lo
	v_max_f32_e32 v1, v1, v2
	v_lshlrev_b32_e32 v126, 2, v3
	v_xor_b32_e32 v3, 2, v106
	ds_bpermute_b32 v2, v125, v1
	v_cmp_gt_i32_e32 vcc_lo, 32, v3
	v_cndmask_b32_e32 v3, v106, v3, vcc_lo
	v_lshlrev_b32_e32 v118, 2, v3
	v_xor_b32_e32 v3, 1, v106
	v_cmp_gt_i32_e32 vcc_lo, 32, v3
	s_waitcnt lgkmcnt(0)
	v_max_f32_e32 v2, v2, v2
	v_cndmask_b32_e32 v3, v106, v3, vcc_lo
	v_max_f32_e32 v1, v1, v2
	v_lshlrev_b32_e32 v117, 2, v3
	ds_bpermute_b32 v2, v126, v1
	s_waitcnt lgkmcnt(0)
	v_max_f32_e32 v2, v2, v2
	v_max_f32_e32 v1, v1, v2
	ds_bpermute_b32 v2, v118, v1
	s_waitcnt lgkmcnt(0)
	v_max_f32_e32 v2, v2, v2
	v_max_f32_e32 v127, v1, v2
	ds_bpermute_b32 v128, v117, v127
	s_and_saveexec_b32 s15, s14
	s_xor_b32 s14, exec_lo, s15
	s_cbranch_execz .LBB88_34
; %bb.33:                               ;   in Loop: Header=BB88_8 Depth=1
	v_add_f32_e64 v1, |v33|, |v33|
	v_mul_f32_e32 v2, 0x3fb8aa3b, v1
	v_cmp_ngt_f32_e32 vcc_lo, 0xc2ce8ed0, v1
	v_rndne_f32_e32 v3, v2
	v_fma_f32 v4, 0x3fb8aa3b, v1, -v2
	v_sub_f32_e32 v2, v2, v3
	v_fmac_f32_e32 v4, 0x32a5705f, v1
	v_cvt_i32_f32_e32 v3, v3
	v_add_f32_e32 v2, v2, v4
	v_exp_f32_e32 v2, v2
	v_ldexp_f32 v2, v2, v3
	v_cndmask_b32_e32 v2, 0, v2, vcc_lo
	v_cmp_nlt_f32_e32 vcc_lo, 0x42b17218, v1
	v_cndmask_b32_e32 v1, 0x7f800000, v2, vcc_lo
	v_add_f32_e32 v1, 1.0, v1
	v_rcp_f32_e32 v1, v1
	v_fma_f32 v129, v1, -2.0, 1.0
.LBB88_34:                              ;   in Loop: Header=BB88_8 Depth=1
	s_andn2_saveexec_b32 s14, s14
	s_cbranch_execz .LBB88_36
; %bb.35:                               ;   in Loop: Header=BB88_8 Depth=1
	v_mul_f32_e32 v1, v33, v33
	v_fmaak_f32 v2, s13, v1, 0x3ca908c9
	v_fmaak_f32 v2, v1, v2, 0xbd5c1c4e
	;; [unrolled: 1-line block ×4, first 2 shown]
	v_mul_f32_e64 v2, |v33|, v2
	v_fma_f32 v129, v1, v2, |v33|
.LBB88_36:                              ;   in Loop: Header=BB88_8 Depth=1
	s_or_b32 exec_lo, exec_lo, s14
	v_add_nc_u32_e32 v1, v7, v98
	s_andn2_b32 vcc_lo, exec_lo, s11
	v_ashrrev_i32_e32 v2, 31, v1
	s_cbranch_vccnz .LBB88_59
; %bb.37:                               ;   in Loop: Header=BB88_8 Depth=1
	v_lshlrev_b64 v[3:4], 1, v[1:2]
	v_add_co_u32 v3, vcc_lo, s46, v3
	v_add_co_ci_u32_e64 v4, null, s47, v4, vcc_lo
	global_load_ushort v3, v[3:4], off
	s_waitcnt vmcnt(0)
	v_cvt_f32_f16_e32 v3, v3
	v_mul_f32_e32 v119, v79, v3
	v_cmp_ngt_f32_e64 s14, 0x3f200000, |v34|
                                        ; implicit-def: $vgpr130
	s_and_saveexec_b32 s15, s14
	s_xor_b32 s14, exec_lo, s15
	s_cbranch_execz .LBB88_39
.LBB88_38:                              ;   in Loop: Header=BB88_8 Depth=1
	v_add_f32_e64 v3, |v34|, |v34|
	v_mul_f32_e32 v4, 0x3fb8aa3b, v3
	v_cmp_ngt_f32_e32 vcc_lo, 0xc2ce8ed0, v3
	v_rndne_f32_e32 v5, v4
	v_fma_f32 v6, 0x3fb8aa3b, v3, -v4
	v_sub_f32_e32 v4, v4, v5
	v_fmac_f32_e32 v6, 0x32a5705f, v3
	v_cvt_i32_f32_e32 v5, v5
	v_add_f32_e32 v4, v4, v6
	v_exp_f32_e32 v4, v4
	v_ldexp_f32 v4, v4, v5
	v_cndmask_b32_e32 v4, 0, v4, vcc_lo
	v_cmp_nlt_f32_e32 vcc_lo, 0x42b17218, v3
	v_cndmask_b32_e32 v3, 0x7f800000, v4, vcc_lo
	v_add_f32_e32 v3, 1.0, v3
	v_rcp_f32_e32 v3, v3
	v_fma_f32 v130, v3, -2.0, 1.0
.LBB88_39:                              ;   in Loop: Header=BB88_8 Depth=1
	s_andn2_saveexec_b32 s14, s14
	s_cbranch_execz .LBB88_42
; %bb.40:                               ;   in Loop: Header=BB88_8 Depth=1
	v_mul_f32_e32 v3, v34, v34
	v_fmaak_f32 v4, s13, v3, 0x3ca908c9
	v_fmaak_f32 v4, v3, v4, 0xbd5c1c4e
	;; [unrolled: 1-line block ×4, first 2 shown]
	v_mul_f32_e64 v4, |v34|, v4
	v_fma_f32 v130, v3, v4, |v34|
	s_or_b32 exec_lo, exec_lo, s14
	s_andn2_b32 vcc_lo, exec_lo, s11
	s_cbranch_vccz .LBB88_43
.LBB88_41:                              ;   in Loop: Header=BB88_8 Depth=1
	v_mov_b32_e32 v121, 0
	v_cmp_ngt_f32_e64 s14, 0x3f200000, |v112|
                                        ; implicit-def: $vgpr131
	s_and_saveexec_b32 s15, s14
	s_xor_b32 s14, exec_lo, s15
	s_cbranch_execz .LBB88_45
	s_branch .LBB88_44
.LBB88_42:                              ;   in Loop: Header=BB88_8 Depth=1
	s_or_b32 exec_lo, exec_lo, s14
	s_andn2_b32 vcc_lo, exec_lo, s11
	s_cbranch_vccnz .LBB88_41
.LBB88_43:                              ;   in Loop: Header=BB88_8 Depth=1
	v_lshlrev_b64 v[3:4], 1, v[1:2]
	v_add_co_u32 v3, vcc_lo, s46, v3
	v_add_co_ci_u32_e64 v4, null, s47, v4, vcc_lo
	global_load_ushort v3, v[3:4], off offset:64
	s_waitcnt vmcnt(0)
	v_cvt_f32_f16_e32 v3, v3
	v_mul_f32_e32 v121, v79, v3
	v_cmp_ngt_f32_e64 s14, 0x3f200000, |v112|
                                        ; implicit-def: $vgpr131
	s_and_saveexec_b32 s15, s14
	s_xor_b32 s14, exec_lo, s15
	s_cbranch_execz .LBB88_45
.LBB88_44:                              ;   in Loop: Header=BB88_8 Depth=1
	v_add_f32_e64 v3, |v112|, |v112|
	v_mul_f32_e32 v4, 0x3fb8aa3b, v3
	v_cmp_ngt_f32_e32 vcc_lo, 0xc2ce8ed0, v3
	v_rndne_f32_e32 v5, v4
	v_fma_f32 v6, 0x3fb8aa3b, v3, -v4
	v_sub_f32_e32 v4, v4, v5
	v_fmac_f32_e32 v6, 0x32a5705f, v3
	v_cvt_i32_f32_e32 v5, v5
	v_add_f32_e32 v4, v4, v6
	v_exp_f32_e32 v4, v4
	v_ldexp_f32 v4, v4, v5
	v_cndmask_b32_e32 v4, 0, v4, vcc_lo
	v_cmp_nlt_f32_e32 vcc_lo, 0x42b17218, v3
	v_cndmask_b32_e32 v3, 0x7f800000, v4, vcc_lo
	v_add_f32_e32 v3, 1.0, v3
	v_rcp_f32_e32 v3, v3
	v_fma_f32 v131, v3, -2.0, 1.0
.LBB88_45:                              ;   in Loop: Header=BB88_8 Depth=1
	s_andn2_saveexec_b32 s14, s14
	s_cbranch_execz .LBB88_48
; %bb.46:                               ;   in Loop: Header=BB88_8 Depth=1
	v_mul_f32_e32 v3, v112, v112
	v_fmaak_f32 v4, s13, v3, 0x3ca908c9
	v_fmaak_f32 v4, v3, v4, 0xbd5c1c4e
	;; [unrolled: 1-line block ×4, first 2 shown]
	v_mul_f32_e64 v4, |v112|, v4
	v_fma_f32 v131, v3, v4, |v112|
	s_or_b32 exec_lo, exec_lo, s14
	s_andn2_b32 vcc_lo, exec_lo, s11
	s_cbranch_vccz .LBB88_49
.LBB88_47:                              ;   in Loop: Header=BB88_8 Depth=1
	v_mov_b32_e32 v122, 0
	v_cmp_ngt_f32_e64 s14, 0x3f200000, |v113|
                                        ; implicit-def: $vgpr132
	s_and_saveexec_b32 s15, s14
	s_xor_b32 s14, exec_lo, s15
	s_cbranch_execz .LBB88_51
	s_branch .LBB88_50
.LBB88_48:                              ;   in Loop: Header=BB88_8 Depth=1
	s_or_b32 exec_lo, exec_lo, s14
	s_andn2_b32 vcc_lo, exec_lo, s11
	s_cbranch_vccnz .LBB88_47
.LBB88_49:                              ;   in Loop: Header=BB88_8 Depth=1
	v_lshlrev_b64 v[3:4], 1, v[1:2]
	v_add_co_u32 v3, vcc_lo, s46, v3
	v_add_co_ci_u32_e64 v4, null, s47, v4, vcc_lo
	global_load_ushort v3, v[3:4], off offset:128
	s_waitcnt vmcnt(0)
	v_cvt_f32_f16_e32 v3, v3
	v_mul_f32_e32 v122, v79, v3
	v_cmp_ngt_f32_e64 s14, 0x3f200000, |v113|
                                        ; implicit-def: $vgpr132
	s_and_saveexec_b32 s15, s14
	s_xor_b32 s14, exec_lo, s15
	s_cbranch_execz .LBB88_51
.LBB88_50:                              ;   in Loop: Header=BB88_8 Depth=1
	v_add_f32_e64 v3, |v113|, |v113|
	v_mul_f32_e32 v4, 0x3fb8aa3b, v3
	v_cmp_ngt_f32_e32 vcc_lo, 0xc2ce8ed0, v3
	v_rndne_f32_e32 v5, v4
	v_fma_f32 v6, 0x3fb8aa3b, v3, -v4
	v_sub_f32_e32 v4, v4, v5
	v_fmac_f32_e32 v6, 0x32a5705f, v3
	v_cvt_i32_f32_e32 v5, v5
	v_add_f32_e32 v4, v4, v6
	v_exp_f32_e32 v4, v4
	v_ldexp_f32 v4, v4, v5
	v_cndmask_b32_e32 v4, 0, v4, vcc_lo
	v_cmp_nlt_f32_e32 vcc_lo, 0x42b17218, v3
	v_cndmask_b32_e32 v3, 0x7f800000, v4, vcc_lo
	v_add_f32_e32 v3, 1.0, v3
	v_rcp_f32_e32 v3, v3
	v_fma_f32 v132, v3, -2.0, 1.0
.LBB88_51:                              ;   in Loop: Header=BB88_8 Depth=1
	s_andn2_saveexec_b32 s14, s14
	s_cbranch_execz .LBB88_54
; %bb.52:                               ;   in Loop: Header=BB88_8 Depth=1
	v_mul_f32_e32 v3, v113, v113
	v_fmaak_f32 v4, s13, v3, 0x3ca908c9
	v_fmaak_f32 v4, v3, v4, 0xbd5c1c4e
	;; [unrolled: 1-line block ×4, first 2 shown]
	v_mul_f32_e64 v4, |v113|, v4
	v_fma_f32 v132, v3, v4, |v113|
	s_or_b32 exec_lo, exec_lo, s14
	s_andn2_b32 vcc_lo, exec_lo, s11
	s_cbranch_vccz .LBB88_55
.LBB88_53:                              ;   in Loop: Header=BB88_8 Depth=1
	v_mov_b32_e32 v123, 0
	s_branch .LBB88_56
.LBB88_54:                              ;   in Loop: Header=BB88_8 Depth=1
	s_or_b32 exec_lo, exec_lo, s14
	s_andn2_b32 vcc_lo, exec_lo, s11
	s_cbranch_vccnz .LBB88_53
.LBB88_55:                              ;   in Loop: Header=BB88_8 Depth=1
	v_lshlrev_b64 v[1:2], 1, v[1:2]
	v_add_co_u32 v1, vcc_lo, s46, v1
	v_add_co_ci_u32_e64 v2, null, s47, v2, vcc_lo
	global_load_ushort v1, v[1:2], off offset:192
	s_waitcnt vmcnt(0)
	v_cvt_f32_f16_e32 v1, v1
	v_mul_f32_e32 v123, v79, v1
.LBB88_56:                              ;   in Loop: Header=BB88_8 Depth=1
	s_mul_hi_i32 s15, s18, s36
	s_mul_i32 s14, s18, s36
	s_waitcnt lgkmcnt(0)
	s_lshl_b64 s[14:15], s[14:15], 2
	s_barrier
	s_add_u32 s14, s38, s14
	s_addc_u32 s15, s37, s15
	v_add_co_u32 v1, vcc_lo, s14, v51
	v_add_co_ci_u32_e64 v2, null, s15, v52, vcc_lo
	v_add_co_u32 v3, vcc_lo, s14, v53
	v_add_co_ci_u32_e64 v4, null, s15, v54, vcc_lo
	;; [unrolled: 2-line block ×16, first 2 shown]
	buffer_gl0_inv
	s_clause 0x7
	global_load_dwordx4 v[1:4], v[1:2], off
	global_load_dwordx4 v[5:8], v[5:6], off
	;; [unrolled: 1-line block ×8, first 2 shown]
	v_bfi_b32 v33, 0x7fffffff, v129, v33
	v_bfi_b32 v34, 0x7fffffff, v130, v34
	v_add_nc_u32_e32 v196, 0x1800, v74
	v_fmac_f32_e32 v119, s19, v33
	v_bfi_b32 v33, 0x7fffffff, v131, v112
	v_bfi_b32 v112, 0x7fffffff, v132, v113
	v_fmac_f32_e32 v121, s19, v34
	v_add_f32_e32 v34, 0x40051340, v119
	v_fmac_f32_e32 v122, s19, v33
	v_fmac_f32_e32 v123, s19, v112
	v_add_f32_e32 v33, 0x40051340, v121
	v_add_f32_e32 v112, 0x40051340, v122
	;; [unrolled: 1-line block ×3, first 2 shown]
	v_max3_f32 v33, v110, v34, v33
	v_max3_f32 v33, v33, v112, v113
	v_max_f32_e32 v112, v128, v128
	ds_bpermute_b32 v34, v124, v33
	v_add_nc_u32_e32 v124, v80, v71
	s_waitcnt lgkmcnt(0)
	v_max_f32_e32 v34, v34, v34
	v_max_f32_e32 v33, v33, v34
	ds_bpermute_b32 v34, v125, v33
	v_add_nc_u32_e32 v125, 0x800, v74
	s_waitcnt lgkmcnt(0)
	v_max_f32_e32 v34, v34, v34
	v_max_f32_e32 v34, v33, v34
	;; [unrolled: 1-line block ×3, first 2 shown]
	v_add_nc_u32_e32 v127, 0x1000, v74
	ds_bpermute_b32 v113, v126, v34
	v_max_f32_e32 v33, v33, v112
	v_add_nc_u32_e32 v126, 0x2000, v74
	v_sub_f32_e32 v112, v114, v33
	v_sub_f32_e32 v114, v115, v33
	;; [unrolled: 1-line block ×5, first 2 shown]
	v_mul_f32_e32 v115, 0x3fb8aa3b, v112
	v_mul_f32_e32 v128, 0x3fb8aa3b, v114
	;; [unrolled: 1-line block ×5, first 2 shown]
	v_fma_f32 v132, 0x3fb8aa3b, v112, -v115
	v_rndne_f32_e32 v133, v115
	v_fma_f32 v134, 0x3fb8aa3b, v114, -v128
	v_rndne_f32_e32 v135, v128
	s_waitcnt lgkmcnt(0)
	v_max_f32_e32 v113, v113, v113
	v_fmac_f32_e32 v132, 0x32a5705f, v112
	v_sub_f32_e32 v115, v115, v133
	v_rndne_f32_e32 v140, v131
	v_fmac_f32_e32 v134, 0x32a5705f, v114
	v_max_f32_e32 v34, v34, v113
	v_fma_f32 v113, 0x3fb8aa3b, v111, -v131
	v_sub_f32_e32 v128, v128, v135
	v_add_f32_e32 v115, v115, v132
	v_fma_f32 v136, 0x3fb8aa3b, v116, -v129
	ds_bpermute_b32 v118, v118, v34
	v_rndne_f32_e32 v137, v129
	v_fma_f32 v138, 0x3fb8aa3b, v120, -v130
	v_rndne_f32_e32 v139, v130
	v_fmac_f32_e32 v113, 0x32a5705f, v111
	v_sub_f32_e32 v131, v131, v140
	v_add_f32_e32 v128, v128, v134
	v_exp_f32_e32 v115, v115
	v_fmac_f32_e32 v136, 0x32a5705f, v116
	v_sub_f32_e32 v129, v129, v137
	v_fmac_f32_e32 v138, 0x32a5705f, v120
	v_sub_f32_e32 v130, v130, v139
	v_cvt_i32_f32_e32 v133, v133
	v_add_f32_e32 v113, v131, v113
	v_exp_f32_e32 v128, v128
	v_cvt_i32_f32_e32 v135, v135
	v_add_f32_e32 v129, v129, v136
	v_add_f32_e32 v130, v130, v138
	v_exp_f32_e32 v113, v113
	v_ldexp_f32 v115, v115, v133
	s_waitcnt lgkmcnt(0)
	v_max_f32_e32 v118, v118, v118
	v_cmp_ngt_f32_e32 vcc_lo, 0xc2ce8ed0, v112
	v_exp_f32_e32 v129, v129
	v_exp_f32_e32 v130, v130
	v_cvt_i32_f32_e32 v131, v140
	v_max_f32_e32 v34, v34, v118
	v_ldexp_f32 v118, v128, v135
	v_cndmask_b32_e32 v115, 0, v115, vcc_lo
	v_cmp_ngt_f32_e32 vcc_lo, 0xc2ce8ed0, v114
	v_cvt_i32_f32_e32 v132, v137
	v_cvt_i32_f32_e32 v134, v139
	v_ldexp_f32 v113, v113, v131
	ds_bpermute_b32 v117, v117, v34
	v_cndmask_b32_e32 v118, 0, v118, vcc_lo
	v_cmp_ngt_f32_e32 vcc_lo, 0xc2ce8ed0, v111
	v_ldexp_f32 v128, v129, v132
	v_ldexp_f32 v129, v130, v134
	v_cndmask_b32_e32 v130, 0, v113, vcc_lo
	v_cmp_ngt_f32_e32 vcc_lo, 0xc2ce8ed0, v116
	v_cndmask_b32_e32 v128, 0, v128, vcc_lo
	v_cmp_ngt_f32_e32 vcc_lo, 0xc2ce8ed0, v120
	v_cndmask_b32_e32 v129, 0, v129, vcc_lo
	v_cmp_nlt_f32_e32 vcc_lo, 0x42b17218, v112
	v_cndmask_b32_e32 v113, 0x7f800000, v115, vcc_lo
	v_cmp_nlt_f32_e32 vcc_lo, 0x42b17218, v114
	;; [unrolled: 2-line block ×4, first 2 shown]
	s_waitcnt lgkmcnt(0)
	v_max_f32_e32 v116, v117, v117
	v_cvt_f16_f32_e32 v117, v111
	v_cndmask_b32_e32 v114, 0x7f800000, v128, vcc_lo
	v_max_f32_e32 v34, v34, v116
	v_cmp_nlt_f32_e32 vcc_lo, 0x42b17218, v120
	v_cvt_f16_f32_e32 v120, v113
	v_mul_u32_u24_sdwa v220, v117, v107 dst_sel:DWORD dst_unused:UNUSED_PAD src0_sel:WORD_0 src1_sel:DWORD
	v_cvt_f16_f32_e32 v128, v115
	v_sub_f32_e32 v110, v110, v34
	v_sub_f32_e32 v116, v119, v34
	;; [unrolled: 1-line block ×5, first 2 shown]
	v_mul_f32_e32 v132, 0x3fb8aa3b, v110
	v_mul_f32_e32 v118, 0x3fb8aa3b, v116
	;; [unrolled: 1-line block ×5, first 2 shown]
	v_fma_f32 v141, 0x3fb8aa3b, v110, -v132
	v_rndne_f32_e32 v142, v132
	v_fma_f32 v133, 0x3fb8aa3b, v116, -v118
	v_rndne_f32_e32 v134, v118
	v_fma_f32 v135, 0x3fb8aa3b, v117, -v119
	v_fmac_f32_e32 v141, 0x32a5705f, v110
	v_sub_f32_e32 v132, v132, v142
	v_rndne_f32_e32 v136, v119
	v_fmac_f32_e32 v133, 0x32a5705f, v116
	v_sub_f32_e32 v118, v118, v134
	v_fma_f32 v137, 0x3fb8aa3b, v121, -v123
	v_add_f32_e32 v132, v132, v141
	v_rndne_f32_e32 v138, v123
	v_fmac_f32_e32 v135, 0x32a5705f, v117
	v_sub_f32_e32 v119, v119, v136
	v_add_f32_e32 v118, v118, v133
	v_exp_f32_e32 v132, v132
	v_fma_f32 v139, 0x3fb8aa3b, v122, -v131
	v_rndne_f32_e32 v140, v131
	v_fmac_f32_e32 v137, 0x32a5705f, v121
	v_sub_f32_e32 v123, v123, v138
	v_add_f32_e32 v119, v119, v135
	v_exp_f32_e32 v118, v118
	v_cvt_i32_f32_e32 v133, v142
	v_cndmask_b32_e32 v112, 0x7f800000, v129, vcc_lo
	v_fmac_f32_e32 v139, 0x32a5705f, v122
	v_sub_f32_e32 v131, v131, v140
	v_add_f32_e32 v123, v123, v137
	v_exp_f32_e32 v119, v119
	v_cvt_i32_f32_e32 v134, v134
	v_ldexp_f32 v132, v132, v133
	v_cmp_ngt_f32_e32 vcc_lo, 0xc2ce8ed0, v110
	v_add_f32_e32 v131, v131, v139
	v_exp_f32_e32 v123, v123
	v_cvt_i32_f32_e32 v135, v136
	v_ldexp_f32 v118, v118, v134
	v_cndmask_b32_e32 v132, 0, v132, vcc_lo
	v_cmp_ngt_f32_e32 vcc_lo, 0xc2ce8ed0, v116
	v_exp_f32_e32 v131, v131
	v_cvt_i32_f32_e32 v136, v138
	v_ldexp_f32 v119, v119, v135
	v_cvt_i32_f32_e32 v137, v140
	v_cndmask_b32_e32 v118, 0, v118, vcc_lo
	v_cmp_ngt_f32_e32 vcc_lo, 0xc2ce8ed0, v117
	v_ldexp_f32 v123, v123, v136
	v_cvt_f16_f32_e32 v129, v114
	v_cvt_f16_f32_e32 v130, v112
	v_pk_mul_f16 v78, v78, v220
	v_cndmask_b32_e32 v119, 0, v119, vcc_lo
	v_cmp_ngt_f32_e32 vcc_lo, 0xc2ce8ed0, v121
	v_ldexp_f32 v131, v131, v137
	v_cndmask_b32_e32 v123, 0, v123, vcc_lo
	v_cmp_ngt_f32_e32 vcc_lo, 0xc2ce8ed0, v122
	v_cndmask_b32_e32 v131, 0, v131, vcc_lo
	v_cmp_nlt_f32_e32 vcc_lo, 0x42b17218, v110
	v_cndmask_b32_e32 v110, 0x7f800000, v132, vcc_lo
	v_cmp_nlt_f32_e32 vcc_lo, 0x42b17218, v116
	;; [unrolled: 2-line block ×4, first 2 shown]
	v_cvt_f16_f32_e32 v121, v110
	v_cndmask_b32_e32 v117, 0x7f800000, v123, vcc_lo
	v_cmp_nlt_f32_e32 vcc_lo, 0x42b17218, v122
	v_cvt_f16_f32_e32 v122, v118
	v_cvt_f16_f32_e32 v123, v119
	v_mul_u32_u24_sdwa v221, v121, v107 dst_sel:DWORD dst_unused:UNUSED_PAD src0_sel:WORD_0 src1_sel:DWORD
	v_cndmask_b32_e32 v116, 0x7f800000, v131, vcc_lo
	v_cvt_f16_f32_e32 v131, v117
	v_pack_b32_f16 v121, v120, v122
	v_pack_b32_f16 v122, v128, v123
	v_add_nc_u32_e32 v120, 0x2800, v74
	v_cvt_f16_f32_e32 v132, v116
	v_pack_b32_f16 v123, v129, v131
	v_pk_mul_f16 v77, v77, v221
	v_pack_b32_f16 v128, v130, v132
	ds_write2_b32 v124, v121, v122 offset1:32
	ds_write2_b32 v124, v123, v128 offset0:64 offset1:96
	s_waitcnt vmcnt(7)
	ds_write_b128 v89, v[1:4]
	s_waitcnt vmcnt(6)
	ds_write_b128 v97, v[5:8]
	;; [unrolled: 2-line block ×8, first 2 shown]
	s_waitcnt lgkmcnt(0)
	s_barrier
	buffer_gl0_inv
	ds_read2_b64 v[29:32], v74 offset1:32
	ds_read2_b64 v[121:124], v74 offset0:64 offset1:96
	ds_read2_b64 v[128:131], v74 offset0:128 offset1:160
	ds_read_b128 v[132:135], v80
	ds_read_b128 v[136:139], v80 offset:16
	ds_read2_b64 v[140:143], v74 offset0:192 offset1:224
	ds_read2_b64 v[144:147], v125 offset1:32
	ds_read2_b64 v[148:151], v125 offset0:64 offset1:96
	ds_read2_b64 v[152:155], v125 offset0:128 offset1:160
	ds_read_b128 v[156:159], v80 offset:32
	ds_read_b128 v[160:163], v80 offset:48
	ds_read2_b64 v[164:167], v125 offset0:192 offset1:224
	ds_read2_b64 v[168:171], v127 offset1:32
	ds_read2_b64 v[172:175], v127 offset0:64 offset1:96
	ds_read2_b64 v[176:179], v127 offset0:128 offset1:160
	ds_read_b128 v[180:183], v80 offset:64
	;; [unrolled: 6-line block ×4, first 2 shown]
	ds_read_b128 v[204:207], v80 offset:144
	ds_read2_b64 v[208:211], v126 offset0:192 offset1:224
	ds_read2_b64 v[212:215], v120 offset1:32
	ds_read_b128 v[216:219], v80 offset:160
	s_waitcnt lgkmcnt(28)
	v_mul_u32_u24_sdwa v125, v132, v107 dst_sel:DWORD dst_unused:UNUSED_PAD src0_sel:WORD_0 src1_sel:DWORD
	v_mul_u32_u24_sdwa v126, v132, v107 dst_sel:DWORD dst_unused:UNUSED_PAD src0_sel:WORD_1 src1_sel:DWORD
	v_mul_u32_u24_sdwa v127, v133, v107 dst_sel:DWORD dst_unused:UNUSED_PAD src0_sel:WORD_0 src1_sel:DWORD
	v_mul_u32_u24_sdwa v132, v133, v107 dst_sel:DWORD dst_unused:UNUSED_PAD src0_sel:WORD_1 src1_sel:DWORD
	v_mul_u32_u24_sdwa v133, v134, v107 dst_sel:DWORD dst_unused:UNUSED_PAD src0_sel:WORD_0 src1_sel:DWORD
	v_pk_mul_f16 v240, v29, v125
	v_pk_mul_f16 v29, v29, v126
	v_mul_u32_u24_sdwa v134, v134, v107 dst_sel:DWORD dst_unused:UNUSED_PAD src0_sel:WORD_1 src1_sel:DWORD
	v_pk_fma_f16 v78, v30, v125, v78
	v_pk_fma_f16 v30, v30, v126, v77
	;; [unrolled: 1-line block ×4, first 2 shown]
	v_mul_u32_u24_sdwa v222, v135, v107 dst_sel:DWORD dst_unused:UNUSED_PAD src0_sel:WORD_0 src1_sel:DWORD
	v_mul_u32_u24_sdwa v135, v135, v107 dst_sel:DWORD dst_unused:UNUSED_PAD src0_sel:WORD_1 src1_sel:DWORD
	v_pk_fma_f16 v77, v32, v127, v78
	v_pk_fma_f16 v76, v31, v127, v76
	;; [unrolled: 1-line block ×4, first 2 shown]
	s_waitcnt lgkmcnt(27)
	v_mul_u32_u24_sdwa v223, v136, v107 dst_sel:DWORD dst_unused:UNUSED_PAD src0_sel:WORD_0 src1_sel:DWORD
	v_mul_u32_u24_sdwa v136, v136, v107 dst_sel:DWORD dst_unused:UNUSED_PAD src0_sel:WORD_1 src1_sel:DWORD
	v_pk_fma_f16 v32, v121, v133, v76
	v_pk_fma_f16 v29, v121, v134, v29
	;; [unrolled: 1-line block ×4, first 2 shown]
	v_mul_u32_u24_sdwa v224, v137, v107 dst_sel:DWORD dst_unused:UNUSED_PAD src0_sel:WORD_0 src1_sel:DWORD
	v_pk_fma_f16 v32, v123, v222, v32
	v_pk_fma_f16 v29, v123, v135, v29
	v_mul_u32_u24_sdwa v137, v137, v107 dst_sel:DWORD dst_unused:UNUSED_PAD src0_sel:WORD_1 src1_sel:DWORD
	v_pk_fma_f16 v31, v124, v222, v31
	v_pk_fma_f16 v30, v124, v135, v30
	v_pk_fma_f16 v32, v128, v223, v32
	v_pk_fma_f16 v29, v128, v136, v29
	v_mul_u32_u24_sdwa v225, v138, v107 dst_sel:DWORD dst_unused:UNUSED_PAD src0_sel:WORD_0 src1_sel:DWORD
	v_mul_u32_u24_sdwa v138, v138, v107 dst_sel:DWORD dst_unused:UNUSED_PAD src0_sel:WORD_1 src1_sel:DWORD
	v_pk_fma_f16 v31, v129, v223, v31
	v_pk_fma_f16 v30, v129, v136, v30
	v_pk_fma_f16 v123, v130, v224, v32
	v_pk_fma_f16 v125, v130, v137, v29
	v_mul_u32_u24_sdwa v226, v139, v107 dst_sel:DWORD dst_unused:UNUSED_PAD src0_sel:WORD_0 src1_sel:DWORD
	v_mul_u32_u24_sdwa v139, v139, v107 dst_sel:DWORD dst_unused:UNUSED_PAD src0_sel:WORD_1 src1_sel:DWORD
	v_pk_fma_f16 v122, v131, v224, v31
	v_pk_fma_f16 v124, v131, v137, v30
	s_waitcnt lgkmcnt(26)
	v_pk_fma_f16 v123, v140, v225, v123
	v_pk_fma_f16 v125, v140, v138, v125
	s_waitcnt lgkmcnt(22)
	v_mul_u32_u24_sdwa v227, v156, v107 dst_sel:DWORD dst_unused:UNUSED_PAD src0_sel:WORD_0 src1_sel:DWORD
	v_mul_u32_u24_sdwa v156, v156, v107 dst_sel:DWORD dst_unused:UNUSED_PAD src0_sel:WORD_1 src1_sel:DWORD
	v_pk_fma_f16 v122, v141, v225, v122
	v_pk_fma_f16 v124, v141, v138, v124
	v_pk_fma_f16 v123, v142, v226, v123
	v_pk_fma_f16 v125, v142, v139, v125
	v_mul_u32_u24_sdwa v228, v157, v107 dst_sel:DWORD dst_unused:UNUSED_PAD src0_sel:WORD_0 src1_sel:DWORD
	v_mul_u32_u24_sdwa v157, v157, v107 dst_sel:DWORD dst_unused:UNUSED_PAD src0_sel:WORD_1 src1_sel:DWORD
	v_pk_fma_f16 v122, v143, v226, v122
	v_pk_fma_f16 v124, v143, v139, v124
	v_pk_fma_f16 v123, v144, v227, v123
	v_pk_fma_f16 v125, v144, v156, v125
	v_mul_u32_u24_sdwa v229, v158, v107 dst_sel:DWORD dst_unused:UNUSED_PAD src0_sel:WORD_0 src1_sel:DWORD
	v_mul_u32_u24_sdwa v158, v158, v107 dst_sel:DWORD dst_unused:UNUSED_PAD src0_sel:WORD_1 src1_sel:DWORD
	v_pk_fma_f16 v122, v145, v227, v122
	v_pk_fma_f16 v124, v145, v156, v124
	v_pk_fma_f16 v123, v146, v228, v123
	v_pk_fma_f16 v125, v146, v157, v125
	v_mul_u32_u24_sdwa v230, v159, v107 dst_sel:DWORD dst_unused:UNUSED_PAD src0_sel:WORD_0 src1_sel:DWORD
	v_mul_u32_u24_sdwa v159, v159, v107 dst_sel:DWORD dst_unused:UNUSED_PAD src0_sel:WORD_1 src1_sel:DWORD
	v_pk_fma_f16 v122, v147, v228, v122
	v_pk_fma_f16 v124, v147, v157, v124
	v_pk_fma_f16 v123, v148, v229, v123
	v_pk_fma_f16 v125, v148, v158, v125
	s_waitcnt lgkmcnt(21)
	v_mul_u32_u24_sdwa v231, v160, v107 dst_sel:DWORD dst_unused:UNUSED_PAD src0_sel:WORD_0 src1_sel:DWORD
	v_mul_u32_u24_sdwa v160, v160, v107 dst_sel:DWORD dst_unused:UNUSED_PAD src0_sel:WORD_1 src1_sel:DWORD
	v_pk_fma_f16 v122, v149, v229, v122
	v_pk_fma_f16 v124, v149, v158, v124
	v_pk_fma_f16 v123, v150, v230, v123
	v_pk_fma_f16 v125, v150, v159, v125
	v_mul_u32_u24_sdwa v232, v161, v107 dst_sel:DWORD dst_unused:UNUSED_PAD src0_sel:WORD_0 src1_sel:DWORD
	v_mul_u32_u24_sdwa v161, v161, v107 dst_sel:DWORD dst_unused:UNUSED_PAD src0_sel:WORD_1 src1_sel:DWORD
	v_pk_fma_f16 v122, v151, v230, v122
	v_pk_fma_f16 v124, v151, v159, v124
	v_pk_fma_f16 v123, v152, v231, v123
	v_pk_fma_f16 v125, v152, v160, v125
	v_mul_u32_u24_sdwa v233, v162, v107 dst_sel:DWORD dst_unused:UNUSED_PAD src0_sel:WORD_0 src1_sel:DWORD
	v_mul_u32_u24_sdwa v162, v162, v107 dst_sel:DWORD dst_unused:UNUSED_PAD src0_sel:WORD_1 src1_sel:DWORD
	v_pk_fma_f16 v122, v153, v231, v122
	v_pk_fma_f16 v124, v153, v160, v124
	v_pk_fma_f16 v123, v154, v232, v123
	v_pk_fma_f16 v125, v154, v161, v125
	v_mul_u32_u24_sdwa v234, v163, v107 dst_sel:DWORD dst_unused:UNUSED_PAD src0_sel:WORD_0 src1_sel:DWORD
	v_mul_u32_u24_sdwa v163, v163, v107 dst_sel:DWORD dst_unused:UNUSED_PAD src0_sel:WORD_1 src1_sel:DWORD
	v_pk_fma_f16 v122, v155, v232, v122
	v_pk_fma_f16 v124, v155, v161, v124
	s_waitcnt lgkmcnt(20)
	v_pk_fma_f16 v123, v164, v233, v123
	v_pk_fma_f16 v125, v164, v162, v125
	s_waitcnt lgkmcnt(16)
	v_mul_u32_u24_sdwa v235, v180, v107 dst_sel:DWORD dst_unused:UNUSED_PAD src0_sel:WORD_0 src1_sel:DWORD
	v_mul_u32_u24_sdwa v180, v180, v107 dst_sel:DWORD dst_unused:UNUSED_PAD src0_sel:WORD_1 src1_sel:DWORD
	v_pk_fma_f16 v122, v165, v233, v122
	v_pk_fma_f16 v124, v165, v162, v124
	v_pk_fma_f16 v123, v166, v234, v123
	v_pk_fma_f16 v125, v166, v163, v125
	v_mul_u32_u24_sdwa v236, v181, v107 dst_sel:DWORD dst_unused:UNUSED_PAD src0_sel:WORD_0 src1_sel:DWORD
	v_mul_u32_u24_sdwa v181, v181, v107 dst_sel:DWORD dst_unused:UNUSED_PAD src0_sel:WORD_1 src1_sel:DWORD
	v_pk_fma_f16 v122, v167, v234, v122
	v_pk_fma_f16 v124, v167, v163, v124
	v_pk_fma_f16 v123, v168, v235, v123
	v_pk_fma_f16 v125, v168, v180, v125
	v_mul_u32_u24_sdwa v237, v182, v107 dst_sel:DWORD dst_unused:UNUSED_PAD src0_sel:WORD_0 src1_sel:DWORD
	v_mul_u32_u24_sdwa v182, v182, v107 dst_sel:DWORD dst_unused:UNUSED_PAD src0_sel:WORD_1 src1_sel:DWORD
	v_pk_fma_f16 v122, v169, v235, v122
	v_pk_fma_f16 v124, v169, v180, v124
	v_pk_fma_f16 v123, v170, v236, v123
	v_pk_fma_f16 v125, v170, v181, v125
	v_mul_u32_u24_sdwa v238, v183, v107 dst_sel:DWORD dst_unused:UNUSED_PAD src0_sel:WORD_0 src1_sel:DWORD
	v_mul_u32_u24_sdwa v183, v183, v107 dst_sel:DWORD dst_unused:UNUSED_PAD src0_sel:WORD_1 src1_sel:DWORD
	v_pk_fma_f16 v122, v171, v236, v122
	v_pk_fma_f16 v124, v171, v181, v124
	v_pk_fma_f16 v123, v172, v237, v123
	v_pk_fma_f16 v125, v172, v182, v125
	s_waitcnt lgkmcnt(15)
	v_mul_u32_u24_sdwa v239, v184, v107 dst_sel:DWORD dst_unused:UNUSED_PAD src0_sel:WORD_0 src1_sel:DWORD
	v_mul_u32_u24_sdwa v184, v184, v107 dst_sel:DWORD dst_unused:UNUSED_PAD src0_sel:WORD_1 src1_sel:DWORD
	v_pk_fma_f16 v122, v173, v237, v122
	v_pk_fma_f16 v124, v173, v182, v124
	v_pk_fma_f16 v123, v174, v238, v123
	v_pk_fma_f16 v125, v174, v183, v125
	v_mul_u32_u24_sdwa v241, v185, v107 dst_sel:DWORD dst_unused:UNUSED_PAD src0_sel:WORD_0 src1_sel:DWORD
	;; [unrolled: 51-line block ×4, first 2 shown]
	v_mul_u32_u24_sdwa v17, v205, v107 dst_sel:DWORD dst_unused:UNUSED_PAD src0_sel:WORD_1 src1_sel:DWORD
	v_pk_fma_f16 v13, v16, v21, v3
	v_pk_fma_f16 v11, v16, v11, v2
	;; [unrolled: 1-line block ×4, first 2 shown]
	v_mul_u32_u24_sdwa v5, v206, v107 dst_sel:DWORD dst_unused:UNUSED_PAD src0_sel:WORD_0 src1_sel:DWORD
	v_mul_u32_u24_sdwa v6, v206, v107 dst_sel:DWORD dst_unused:UNUSED_PAD src0_sel:WORD_1 src1_sel:DWORD
	v_pk_fma_f16 v9, v197, v9, v13
	v_pk_fma_f16 v11, v197, v12, v11
	;; [unrolled: 1-line block ×4, first 2 shown]
	v_mul_u32_u24_sdwa v7, v207, v107 dst_sel:DWORD dst_unused:UNUSED_PAD src0_sel:WORD_0 src1_sel:DWORD
	v_mul_u32_u24_sdwa v8, v207, v107 dst_sel:DWORD dst_unused:UNUSED_PAD src0_sel:WORD_1 src1_sel:DWORD
	v_pk_fma_f16 v9, v199, v10, v9
	v_pk_fma_f16 v10, v199, v17, v11
	s_waitcnt lgkmcnt(2)
	v_pk_fma_f16 v11, v208, v5, v12
	v_pk_fma_f16 v12, v208, v6, v13
	ds_read2_b64 v[29:32], v120 offset0:64 offset1:96
	s_waitcnt lgkmcnt(1)
	v_mul_u32_u24_sdwa v16, v216, v107 dst_sel:DWORD dst_unused:UNUSED_PAD src0_sel:WORD_0 src1_sel:DWORD
	v_mul_u32_u24_sdwa v14, v216, v107 dst_sel:DWORD dst_unused:UNUSED_PAD src0_sel:WORD_1 src1_sel:DWORD
	v_pk_fma_f16 v5, v209, v5, v9
	v_pk_fma_f16 v6, v209, v6, v10
	;; [unrolled: 1-line block ×4, first 2 shown]
	ds_read_b128 v[1:4], v80 offset:176
	v_mul_u32_u24_sdwa v13, v217, v107 dst_sel:DWORD dst_unused:UNUSED_PAD src0_sel:WORD_0 src1_sel:DWORD
	v_mul_u32_u24_sdwa v11, v217, v107 dst_sel:DWORD dst_unused:UNUSED_PAD src0_sel:WORD_1 src1_sel:DWORD
	v_pk_fma_f16 v5, v211, v7, v5
	v_pk_fma_f16 v6, v211, v8, v6
	v_pk_fma_f16 v7, v212, v16, v9
	v_pk_fma_f16 v8, v212, v14, v10
	v_mul_u32_u24_sdwa v15, v218, v107 dst_sel:DWORD dst_unused:UNUSED_PAD src0_sel:WORD_0 src1_sel:DWORD
	v_pk_fma_f16 v9, v213, v16, v5
	v_pk_fma_f16 v10, v213, v14, v6
	;; [unrolled: 1-line block ×4, first 2 shown]
	ds_read2_b64 v[5:8], v120 offset0:128 offset1:160
	v_mul_u32_u24_sdwa v16, v218, v107 dst_sel:DWORD dst_unused:UNUSED_PAD src0_sel:WORD_1 src1_sel:DWORD
	v_pk_fma_f16 v9, v215, v13, v9
	v_pk_fma_f16 v10, v215, v11, v10
	s_waitcnt lgkmcnt(2)
	v_pk_fma_f16 v11, v29, v15, v12
	v_mul_u32_u24_sdwa v13, v219, v107 dst_sel:DWORD dst_unused:UNUSED_PAD src0_sel:WORD_0 src1_sel:DWORD
	v_pk_fma_f16 v12, v29, v16, v14
	v_mul_u32_u24_sdwa v14, v219, v107 dst_sel:DWORD dst_unused:UNUSED_PAD src0_sel:WORD_1 src1_sel:DWORD
	v_pk_fma_f16 v15, v30, v15, v9
	v_pk_fma_f16 v16, v30, v16, v10
	;; [unrolled: 1-line block ×3, first 2 shown]
	s_waitcnt lgkmcnt(1)
	v_mul_u32_u24_sdwa v19, v1, v107 dst_sel:DWORD dst_unused:UNUSED_PAD src0_sel:WORD_0 src1_sel:DWORD
	v_pk_fma_f16 v18, v31, v14, v12
	ds_read2_b64 v[9:12], v120 offset0:192 offset1:224
	v_pk_fma_f16 v13, v32, v13, v15
	v_mul_u32_u24_sdwa v1, v1, v107 dst_sel:DWORD dst_unused:UNUSED_PAD src0_sel:WORD_1 src1_sel:DWORD
	v_pk_fma_f16 v20, v32, v14, v16
	v_mul_u32_u24_sdwa v22, v2, v107 dst_sel:DWORD dst_unused:UNUSED_PAD src0_sel:WORD_0 src1_sel:DWORD
	v_add_nc_u32_e32 v23, 0x3000, v74
	v_mul_u32_u24_sdwa v2, v2, v107 dst_sel:DWORD dst_unused:UNUSED_PAD src0_sel:WORD_1 src1_sel:DWORD
	s_waitcnt lgkmcnt(1)
	v_pk_fma_f16 v17, v5, v19, v17
	v_pk_fma_f16 v21, v6, v19, v13
	ds_read_b128 v[13:16], v80 offset:192
	v_pk_fma_f16 v5, v5, v1, v18
	v_pk_fma_f16 v1, v6, v1, v20
	;; [unrolled: 1-line block ×3, first 2 shown]
	ds_read2_b64 v[17:20], v23 offset1:32
	v_pk_fma_f16 v21, v8, v22, v21
	v_pk_fma_f16 v5, v7, v2, v5
	v_mul_u32_u24_sdwa v7, v3, v107 dst_sel:DWORD dst_unused:UNUSED_PAD src0_sel:WORD_0 src1_sel:DWORD
	v_mul_u32_u24_sdwa v3, v3, v107 dst_sel:DWORD dst_unused:UNUSED_PAD src0_sel:WORD_1 src1_sel:DWORD
	v_pk_fma_f16 v1, v8, v2, v1
	v_mul_u32_u24_sdwa v22, v4, v107 dst_sel:DWORD dst_unused:UNUSED_PAD src0_sel:WORD_1 src1_sel:DWORD
	s_waitcnt lgkmcnt(2)
	v_pk_fma_f16 v2, v9, v7, v6
	v_pk_fma_f16 v5, v9, v3, v5
	v_mul_u32_u24_sdwa v9, v4, v107 dst_sel:DWORD dst_unused:UNUSED_PAD src0_sel:WORD_0 src1_sel:DWORD
	v_pk_fma_f16 v21, v10, v7, v21
	v_pk_fma_f16 v10, v10, v3, v1
	;; [unrolled: 1-line block ×4, first 2 shown]
	ds_read_b128 v[1:4], v80 offset:208
	s_waitcnt lgkmcnt(2)
	v_mul_u32_u24_sdwa v25, v13, v107 dst_sel:DWORD dst_unused:UNUSED_PAD src0_sel:WORD_0 src1_sel:DWORD
	ds_read2_b64 v[5:8], v23 offset0:64 offset1:96
	v_mul_u32_u24_sdwa v13, v13, v107 dst_sel:DWORD dst_unused:UNUSED_PAD src0_sel:WORD_1 src1_sel:DWORD
	v_pk_fma_f16 v9, v12, v9, v21
	v_pk_fma_f16 v10, v12, v22, v10
	s_waitcnt lgkmcnt(2)
	v_pk_fma_f16 v12, v17, v25, v24
	v_mul_u32_u24_sdwa v22, v15, v107 dst_sel:DWORD dst_unused:UNUSED_PAD src0_sel:WORD_0 src1_sel:DWORD
	v_pk_fma_f16 v11, v17, v13, v11
	v_mul_u32_u24_sdwa v17, v14, v107 dst_sel:DWORD dst_unused:UNUSED_PAD src0_sel:WORD_0 src1_sel:DWORD
	v_mul_u32_u24_sdwa v14, v14, v107 dst_sel:DWORD dst_unused:UNUSED_PAD src0_sel:WORD_1 src1_sel:DWORD
	v_pk_fma_f16 v21, v18, v25, v9
	v_pk_fma_f16 v13, v18, v13, v10
	v_mul_u32_u24_sdwa v15, v15, v107 dst_sel:DWORD dst_unused:UNUSED_PAD src0_sel:WORD_1 src1_sel:DWORD
	v_pk_fma_f16 v18, v19, v17, v12
	v_pk_fma_f16 v19, v19, v14, v11
	ds_read2_b64 v[9:12], v23 offset0:128 offset1:160
	v_pk_fma_f16 v17, v20, v17, v21
	v_pk_fma_f16 v13, v20, v14, v13
	s_waitcnt lgkmcnt(1)
	v_pk_fma_f16 v14, v5, v22, v18
	v_pk_fma_f16 v5, v5, v15, v19
	v_mul_u32_u24_sdwa v18, v16, v107 dst_sel:DWORD dst_unused:UNUSED_PAD src0_sel:WORD_0 src1_sel:DWORD
	v_mul_u32_u24_sdwa v19, v16, v107 dst_sel:DWORD dst_unused:UNUSED_PAD src0_sel:WORD_1 src1_sel:DWORD
	v_pk_fma_f16 v17, v6, v22, v17
	v_pk_fma_f16 v6, v6, v15, v13
	v_mul_u32_u24_sdwa v22, v2, v107 dst_sel:DWORD dst_unused:UNUSED_PAD src0_sel:WORD_0 src1_sel:DWORD
	v_pk_fma_f16 v20, v7, v18, v14
	v_pk_fma_f16 v5, v7, v19, v5
	v_mul_u32_u24_sdwa v7, v1, v107 dst_sel:DWORD dst_unused:UNUSED_PAD src0_sel:WORD_0 src1_sel:DWORD
	v_mul_u32_u24_sdwa v1, v1, v107 dst_sel:DWORD dst_unused:UNUSED_PAD src0_sel:WORD_1 src1_sel:DWORD
	ds_read2_b64 v[13:16], v23 offset0:192 offset1:224
	v_pk_fma_f16 v17, v8, v18, v17
	v_pk_fma_f16 v18, v8, v19, v6
	s_waitcnt lgkmcnt(1)
	v_pk_fma_f16 v19, v9, v7, v20
	v_pk_fma_f16 v9, v9, v1, v5
	v_add_nc_u32_e32 v23, 0x3800, v74
	v_pk_fma_f16 v21, v10, v7, v17
	ds_read_b128 v[5:8], v80 offset:224
	v_mul_u32_u24_sdwa v2, v2, v107 dst_sel:DWORD dst_unused:UNUSED_PAD src0_sel:WORD_1 src1_sel:DWORD
	v_pk_fma_f16 v1, v10, v1, v18
	v_pk_fma_f16 v10, v11, v22, v19
	ds_read2_b64 v[17:20], v23 offset1:32
	v_pk_fma_f16 v21, v12, v22, v21
	v_pk_fma_f16 v9, v11, v2, v9
	v_mul_u32_u24_sdwa v11, v3, v107 dst_sel:DWORD dst_unused:UNUSED_PAD src0_sel:WORD_0 src1_sel:DWORD
	v_mul_u32_u24_sdwa v3, v3, v107 dst_sel:DWORD dst_unused:UNUSED_PAD src0_sel:WORD_1 src1_sel:DWORD
	v_pk_fma_f16 v1, v12, v2, v1
	v_mul_u32_u24_sdwa v22, v4, v107 dst_sel:DWORD dst_unused:UNUSED_PAD src0_sel:WORD_1 src1_sel:DWORD
	s_waitcnt lgkmcnt(2)
	v_pk_fma_f16 v2, v13, v11, v10
	v_pk_fma_f16 v9, v13, v3, v9
	v_mul_u32_u24_sdwa v13, v4, v107 dst_sel:DWORD dst_unused:UNUSED_PAD src0_sel:WORD_0 src1_sel:DWORD
	v_pk_fma_f16 v21, v14, v11, v21
	v_pk_fma_f16 v14, v14, v3, v1
	;; [unrolled: 1-line block ×4, first 2 shown]
	ds_read_b128 v[1:4], v80 offset:240
	s_waitcnt lgkmcnt(2)
	v_mul_u32_u24_sdwa v25, v5, v107 dst_sel:DWORD dst_unused:UNUSED_PAD src0_sel:WORD_0 src1_sel:DWORD
	ds_read2_b64 v[9:12], v23 offset0:64 offset1:96
	v_mul_u32_u24_sdwa v5, v5, v107 dst_sel:DWORD dst_unused:UNUSED_PAD src0_sel:WORD_1 src1_sel:DWORD
	v_pk_fma_f16 v13, v16, v13, v21
	v_pk_fma_f16 v14, v16, v22, v14
	s_waitcnt lgkmcnt(2)
	v_pk_fma_f16 v16, v17, v25, v24
	v_mul_u32_u24_sdwa v22, v7, v107 dst_sel:DWORD dst_unused:UNUSED_PAD src0_sel:WORD_0 src1_sel:DWORD
	v_pk_fma_f16 v15, v17, v5, v15
	v_mul_u32_u24_sdwa v17, v6, v107 dst_sel:DWORD dst_unused:UNUSED_PAD src0_sel:WORD_0 src1_sel:DWORD
	v_mul_u32_u24_sdwa v6, v6, v107 dst_sel:DWORD dst_unused:UNUSED_PAD src0_sel:WORD_1 src1_sel:DWORD
	v_pk_fma_f16 v21, v18, v25, v13
	v_pk_fma_f16 v5, v18, v5, v14
	v_mul_u32_u24_sdwa v7, v7, v107 dst_sel:DWORD dst_unused:UNUSED_PAD src0_sel:WORD_1 src1_sel:DWORD
	v_pk_fma_f16 v18, v19, v17, v16
	v_pk_fma_f16 v19, v19, v6, v15
	ds_read2_b64 v[13:16], v23 offset0:128 offset1:160
	v_pk_fma_f16 v17, v20, v17, v21
	v_pk_fma_f16 v5, v20, v6, v5
	s_waitcnt lgkmcnt(2)
	v_mul_u32_u24_sdwa v24, v4, v107 dst_sel:DWORD dst_unused:UNUSED_PAD src0_sel:WORD_1 src1_sel:DWORD
	s_waitcnt lgkmcnt(1)
	v_pk_fma_f16 v6, v9, v22, v18
	v_pk_fma_f16 v9, v9, v7, v19
	v_mul_u32_u24_sdwa v18, v8, v107 dst_sel:DWORD dst_unused:UNUSED_PAD src0_sel:WORD_0 src1_sel:DWORD
	v_mul_u32_u24_sdwa v19, v8, v107 dst_sel:DWORD dst_unused:UNUSED_PAD src0_sel:WORD_1 src1_sel:DWORD
	v_pk_fma_f16 v17, v10, v22, v17
	v_pk_fma_f16 v10, v10, v7, v5
	v_mul_u32_u24_sdwa v22, v2, v107 dst_sel:DWORD dst_unused:UNUSED_PAD src0_sel:WORD_0 src1_sel:DWORD
	v_pk_fma_f16 v20, v11, v18, v6
	v_pk_fma_f16 v9, v11, v19, v9
	v_mul_u32_u24_sdwa v11, v1, v107 dst_sel:DWORD dst_unused:UNUSED_PAD src0_sel:WORD_0 src1_sel:DWORD
	v_mul_u32_u24_sdwa v1, v1, v107 dst_sel:DWORD dst_unused:UNUSED_PAD src0_sel:WORD_1 src1_sel:DWORD
	ds_read2_b64 v[5:8], v23 offset0:192 offset1:224
	v_pk_fma_f16 v17, v12, v18, v17
	v_pk_fma_f16 v18, v12, v19, v10
	s_waitcnt lgkmcnt(1)
	v_pk_fma_f16 v19, v13, v11, v20
	v_pk_fma_f16 v13, v13, v1, v9
	v_add_nc_u32_e32 v23, 0x4000, v74
	v_pk_fma_f16 v21, v14, v11, v17
	ds_read_b128 v[9:12], v80 offset:256
	v_mul_u32_u24_sdwa v2, v2, v107 dst_sel:DWORD dst_unused:UNUSED_PAD src0_sel:WORD_1 src1_sel:DWORD
	v_pk_fma_f16 v1, v14, v1, v18
	v_pk_fma_f16 v14, v15, v22, v19
	ds_read2_b64 v[17:20], v23 offset1:32
	v_pk_fma_f16 v21, v16, v22, v21
	v_pk_fma_f16 v13, v15, v2, v13
	v_mul_u32_u24_sdwa v15, v3, v107 dst_sel:DWORD dst_unused:UNUSED_PAD src0_sel:WORD_0 src1_sel:DWORD
	v_mul_u32_u24_sdwa v3, v3, v107 dst_sel:DWORD dst_unused:UNUSED_PAD src0_sel:WORD_1 src1_sel:DWORD
	v_pk_fma_f16 v1, v16, v2, v1
	v_mul_u32_u24_sdwa v22, v4, v107 dst_sel:DWORD dst_unused:UNUSED_PAD src0_sel:WORD_0 src1_sel:DWORD
	s_waitcnt lgkmcnt(2)
	v_pk_fma_f16 v2, v5, v15, v14
	v_pk_fma_f16 v5, v5, v3, v13
	;; [unrolled: 1-line block ×4, first 2 shown]
	ds_read2_b64 v[13:16], v23 offset0:64 offset1:96
	v_pk_fma_f16 v25, v7, v22, v2
	v_pk_fma_f16 v5, v7, v24, v5
	ds_read_b128 v[1:4], v80 offset:272
	s_waitcnt lgkmcnt(3)
	v_mul_u32_u24_sdwa v7, v9, v107 dst_sel:DWORD dst_unused:UNUSED_PAD src0_sel:WORD_0 src1_sel:DWORD
	v_mul_u32_u24_sdwa v9, v9, v107 dst_sel:DWORD dst_unused:UNUSED_PAD src0_sel:WORD_1 src1_sel:DWORD
	v_pk_fma_f16 v21, v8, v22, v21
	v_pk_fma_f16 v6, v8, v24, v6
	v_mul_u32_u24_sdwa v22, v11, v107 dst_sel:DWORD dst_unused:UNUSED_PAD src0_sel:WORD_0 src1_sel:DWORD
	s_waitcnt lgkmcnt(2)
	v_pk_fma_f16 v8, v17, v7, v25
	v_pk_fma_f16 v5, v17, v9, v5
	v_mul_u32_u24_sdwa v17, v10, v107 dst_sel:DWORD dst_unused:UNUSED_PAD src0_sel:WORD_0 src1_sel:DWORD
	v_mul_u32_u24_sdwa v10, v10, v107 dst_sel:DWORD dst_unused:UNUSED_PAD src0_sel:WORD_1 src1_sel:DWORD
	v_pk_fma_f16 v21, v18, v7, v21
	v_pk_fma_f16 v9, v18, v9, v6
	v_mul_u32_u24_sdwa v11, v11, v107 dst_sel:DWORD dst_unused:UNUSED_PAD src0_sel:WORD_1 src1_sel:DWORD
	v_pk_fma_f16 v18, v19, v17, v8
	v_pk_fma_f16 v19, v19, v10, v5
	ds_read2_b64 v[5:8], v23 offset0:128 offset1:160
	v_pk_fma_f16 v17, v20, v17, v21
	v_pk_fma_f16 v9, v20, v10, v9
	s_waitcnt lgkmcnt(2)
	v_pk_fma_f16 v10, v13, v22, v18
	v_pk_fma_f16 v13, v13, v11, v19
	v_mul_u32_u24_sdwa v18, v12, v107 dst_sel:DWORD dst_unused:UNUSED_PAD src0_sel:WORD_0 src1_sel:DWORD
	v_mul_u32_u24_sdwa v19, v12, v107 dst_sel:DWORD dst_unused:UNUSED_PAD src0_sel:WORD_1 src1_sel:DWORD
	v_pk_fma_f16 v17, v14, v22, v17
	v_pk_fma_f16 v14, v14, v11, v9
	s_waitcnt lgkmcnt(1)
	v_mul_u32_u24_sdwa v22, v2, v107 dst_sel:DWORD dst_unused:UNUSED_PAD src0_sel:WORD_0 src1_sel:DWORD
	v_pk_fma_f16 v20, v15, v18, v10
	v_pk_fma_f16 v13, v15, v19, v13
	v_mul_u32_u24_sdwa v15, v1, v107 dst_sel:DWORD dst_unused:UNUSED_PAD src0_sel:WORD_0 src1_sel:DWORD
	v_mul_u32_u24_sdwa v1, v1, v107 dst_sel:DWORD dst_unused:UNUSED_PAD src0_sel:WORD_1 src1_sel:DWORD
	ds_read2_b64 v[9:12], v23 offset0:192 offset1:224
	v_pk_fma_f16 v17, v16, v18, v17
	v_pk_fma_f16 v18, v16, v19, v14
	v_add_nc_u32_e32 v23, 0x4800, v74
	v_mul_u32_u24_sdwa v2, v2, v107 dst_sel:DWORD dst_unused:UNUSED_PAD src0_sel:WORD_1 src1_sel:DWORD
	s_waitcnt lgkmcnt(1)
	v_pk_fma_f16 v19, v5, v15, v20
	v_pk_fma_f16 v5, v5, v1, v13
	;; [unrolled: 1-line block ×3, first 2 shown]
	ds_read_b128 v[13:16], v80 offset:288
	v_pk_fma_f16 v1, v6, v1, v18
	v_pk_fma_f16 v6, v7, v22, v19
	ds_read2_b64 v[17:20], v23 offset1:32
	v_pk_fma_f16 v5, v7, v2, v5
	v_mul_u32_u24_sdwa v7, v3, v107 dst_sel:DWORD dst_unused:UNUSED_PAD src0_sel:WORD_0 src1_sel:DWORD
	v_mul_u32_u24_sdwa v3, v3, v107 dst_sel:DWORD dst_unused:UNUSED_PAD src0_sel:WORD_1 src1_sel:DWORD
	v_pk_fma_f16 v21, v8, v22, v21
	v_pk_fma_f16 v1, v8, v2, v1
	v_mul_u32_u24_sdwa v22, v4, v107 dst_sel:DWORD dst_unused:UNUSED_PAD src0_sel:WORD_1 src1_sel:DWORD
	s_waitcnt lgkmcnt(2)
	v_pk_fma_f16 v2, v9, v7, v6
	v_pk_fma_f16 v5, v9, v3, v5
	v_mul_u32_u24_sdwa v9, v4, v107 dst_sel:DWORD dst_unused:UNUSED_PAD src0_sel:WORD_0 src1_sel:DWORD
	v_pk_fma_f16 v21, v10, v7, v21
	v_pk_fma_f16 v10, v10, v3, v1
	;; [unrolled: 1-line block ×4, first 2 shown]
	ds_read_b128 v[1:4], v80 offset:304
	s_waitcnt lgkmcnt(2)
	v_mul_u32_u24_sdwa v25, v13, v107 dst_sel:DWORD dst_unused:UNUSED_PAD src0_sel:WORD_0 src1_sel:DWORD
	ds_read2_b64 v[5:8], v23 offset0:64 offset1:96
	v_mul_u32_u24_sdwa v13, v13, v107 dst_sel:DWORD dst_unused:UNUSED_PAD src0_sel:WORD_1 src1_sel:DWORD
	v_pk_fma_f16 v9, v12, v9, v21
	v_pk_fma_f16 v10, v12, v22, v10
	s_waitcnt lgkmcnt(2)
	v_pk_fma_f16 v12, v17, v25, v24
	v_mul_u32_u24_sdwa v22, v15, v107 dst_sel:DWORD dst_unused:UNUSED_PAD src0_sel:WORD_0 src1_sel:DWORD
	v_pk_fma_f16 v11, v17, v13, v11
	v_mul_u32_u24_sdwa v17, v14, v107 dst_sel:DWORD dst_unused:UNUSED_PAD src0_sel:WORD_0 src1_sel:DWORD
	v_mul_u32_u24_sdwa v14, v14, v107 dst_sel:DWORD dst_unused:UNUSED_PAD src0_sel:WORD_1 src1_sel:DWORD
	v_pk_fma_f16 v21, v18, v25, v9
	v_pk_fma_f16 v13, v18, v13, v10
	v_mul_u32_u24_sdwa v15, v15, v107 dst_sel:DWORD dst_unused:UNUSED_PAD src0_sel:WORD_1 src1_sel:DWORD
	v_pk_fma_f16 v18, v19, v17, v12
	v_pk_fma_f16 v19, v19, v14, v11
	ds_read2_b64 v[9:12], v23 offset0:128 offset1:160
	v_pk_fma_f16 v17, v20, v17, v21
	v_pk_fma_f16 v13, v20, v14, v13
	s_waitcnt lgkmcnt(1)
	v_pk_fma_f16 v14, v5, v22, v18
	v_pk_fma_f16 v5, v5, v15, v19
	v_mul_u32_u24_sdwa v18, v16, v107 dst_sel:DWORD dst_unused:UNUSED_PAD src0_sel:WORD_0 src1_sel:DWORD
	v_mul_u32_u24_sdwa v19, v16, v107 dst_sel:DWORD dst_unused:UNUSED_PAD src0_sel:WORD_1 src1_sel:DWORD
	v_pk_fma_f16 v17, v6, v22, v17
	v_pk_fma_f16 v6, v6, v15, v13
	v_mul_u32_u24_sdwa v22, v2, v107 dst_sel:DWORD dst_unused:UNUSED_PAD src0_sel:WORD_0 src1_sel:DWORD
	v_pk_fma_f16 v20, v7, v18, v14
	v_pk_fma_f16 v5, v7, v19, v5
	v_mul_u32_u24_sdwa v7, v1, v107 dst_sel:DWORD dst_unused:UNUSED_PAD src0_sel:WORD_0 src1_sel:DWORD
	v_mul_u32_u24_sdwa v1, v1, v107 dst_sel:DWORD dst_unused:UNUSED_PAD src0_sel:WORD_1 src1_sel:DWORD
	ds_read2_b64 v[13:16], v23 offset0:192 offset1:224
	v_pk_fma_f16 v17, v8, v18, v17
	v_pk_fma_f16 v18, v8, v19, v6
	s_waitcnt lgkmcnt(1)
	v_pk_fma_f16 v19, v9, v7, v20
	v_pk_fma_f16 v9, v9, v1, v5
	v_add_nc_u32_e32 v23, 0x5000, v74
	v_pk_fma_f16 v21, v10, v7, v17
	ds_read_b128 v[5:8], v80 offset:320
	v_mul_u32_u24_sdwa v2, v2, v107 dst_sel:DWORD dst_unused:UNUSED_PAD src0_sel:WORD_1 src1_sel:DWORD
	v_pk_fma_f16 v1, v10, v1, v18
	v_pk_fma_f16 v10, v11, v22, v19
	ds_read2_b64 v[17:20], v23 offset1:32
	v_pk_fma_f16 v21, v12, v22, v21
	v_pk_fma_f16 v9, v11, v2, v9
	v_mul_u32_u24_sdwa v11, v3, v107 dst_sel:DWORD dst_unused:UNUSED_PAD src0_sel:WORD_0 src1_sel:DWORD
	v_mul_u32_u24_sdwa v3, v3, v107 dst_sel:DWORD dst_unused:UNUSED_PAD src0_sel:WORD_1 src1_sel:DWORD
	v_pk_fma_f16 v1, v12, v2, v1
	v_mul_u32_u24_sdwa v22, v4, v107 dst_sel:DWORD dst_unused:UNUSED_PAD src0_sel:WORD_1 src1_sel:DWORD
	s_waitcnt lgkmcnt(2)
	v_pk_fma_f16 v2, v13, v11, v10
	v_pk_fma_f16 v9, v13, v3, v9
	v_mul_u32_u24_sdwa v13, v4, v107 dst_sel:DWORD dst_unused:UNUSED_PAD src0_sel:WORD_0 src1_sel:DWORD
	v_pk_fma_f16 v21, v14, v11, v21
	v_pk_fma_f16 v14, v14, v3, v1
	;; [unrolled: 1-line block ×4, first 2 shown]
	ds_read_b128 v[1:4], v80 offset:336
	s_waitcnt lgkmcnt(2)
	v_mul_u32_u24_sdwa v25, v5, v107 dst_sel:DWORD dst_unused:UNUSED_PAD src0_sel:WORD_0 src1_sel:DWORD
	ds_read2_b64 v[9:12], v23 offset0:64 offset1:96
	v_mul_u32_u24_sdwa v5, v5, v107 dst_sel:DWORD dst_unused:UNUSED_PAD src0_sel:WORD_1 src1_sel:DWORD
	v_pk_fma_f16 v13, v16, v13, v21
	v_pk_fma_f16 v14, v16, v22, v14
	s_waitcnt lgkmcnt(2)
	v_pk_fma_f16 v16, v17, v25, v24
	v_mul_u32_u24_sdwa v22, v7, v107 dst_sel:DWORD dst_unused:UNUSED_PAD src0_sel:WORD_0 src1_sel:DWORD
	v_pk_fma_f16 v15, v17, v5, v15
	v_mul_u32_u24_sdwa v17, v6, v107 dst_sel:DWORD dst_unused:UNUSED_PAD src0_sel:WORD_0 src1_sel:DWORD
	v_mul_u32_u24_sdwa v6, v6, v107 dst_sel:DWORD dst_unused:UNUSED_PAD src0_sel:WORD_1 src1_sel:DWORD
	v_pk_fma_f16 v21, v18, v25, v13
	v_pk_fma_f16 v5, v18, v5, v14
	v_mul_u32_u24_sdwa v7, v7, v107 dst_sel:DWORD dst_unused:UNUSED_PAD src0_sel:WORD_1 src1_sel:DWORD
	v_pk_fma_f16 v18, v19, v17, v16
	v_pk_fma_f16 v19, v19, v6, v15
	ds_read2_b64 v[13:16], v23 offset0:128 offset1:160
	v_pk_fma_f16 v17, v20, v17, v21
	v_pk_fma_f16 v5, v20, v6, v5
	s_waitcnt lgkmcnt(2)
	v_mul_u32_u24_sdwa v24, v4, v107 dst_sel:DWORD dst_unused:UNUSED_PAD src0_sel:WORD_1 src1_sel:DWORD
	s_waitcnt lgkmcnt(1)
	v_pk_fma_f16 v6, v9, v22, v18
	v_pk_fma_f16 v9, v9, v7, v19
	v_mul_u32_u24_sdwa v18, v8, v107 dst_sel:DWORD dst_unused:UNUSED_PAD src0_sel:WORD_0 src1_sel:DWORD
	v_mul_u32_u24_sdwa v19, v8, v107 dst_sel:DWORD dst_unused:UNUSED_PAD src0_sel:WORD_1 src1_sel:DWORD
	v_pk_fma_f16 v17, v10, v22, v17
	v_pk_fma_f16 v10, v10, v7, v5
	v_mul_u32_u24_sdwa v22, v2, v107 dst_sel:DWORD dst_unused:UNUSED_PAD src0_sel:WORD_0 src1_sel:DWORD
	v_pk_fma_f16 v20, v11, v18, v6
	v_pk_fma_f16 v9, v11, v19, v9
	v_mul_u32_u24_sdwa v11, v1, v107 dst_sel:DWORD dst_unused:UNUSED_PAD src0_sel:WORD_0 src1_sel:DWORD
	v_mul_u32_u24_sdwa v1, v1, v107 dst_sel:DWORD dst_unused:UNUSED_PAD src0_sel:WORD_1 src1_sel:DWORD
	ds_read2_b64 v[5:8], v23 offset0:192 offset1:224
	v_pk_fma_f16 v17, v12, v18, v17
	v_pk_fma_f16 v18, v12, v19, v10
	s_waitcnt lgkmcnt(1)
	v_pk_fma_f16 v19, v13, v11, v20
	v_pk_fma_f16 v13, v13, v1, v9
	v_add_nc_u32_e32 v23, 0x5800, v74
	v_pk_fma_f16 v21, v14, v11, v17
	ds_read_b128 v[9:12], v80 offset:352
	v_mul_u32_u24_sdwa v2, v2, v107 dst_sel:DWORD dst_unused:UNUSED_PAD src0_sel:WORD_1 src1_sel:DWORD
	v_pk_fma_f16 v1, v14, v1, v18
	v_pk_fma_f16 v14, v15, v22, v19
	ds_read2_b64 v[17:20], v23 offset1:32
	v_pk_fma_f16 v21, v16, v22, v21
	v_pk_fma_f16 v13, v15, v2, v13
	v_mul_u32_u24_sdwa v15, v3, v107 dst_sel:DWORD dst_unused:UNUSED_PAD src0_sel:WORD_0 src1_sel:DWORD
	v_mul_u32_u24_sdwa v3, v3, v107 dst_sel:DWORD dst_unused:UNUSED_PAD src0_sel:WORD_1 src1_sel:DWORD
	v_pk_fma_f16 v1, v16, v2, v1
	v_mul_u32_u24_sdwa v22, v4, v107 dst_sel:DWORD dst_unused:UNUSED_PAD src0_sel:WORD_0 src1_sel:DWORD
	s_waitcnt lgkmcnt(2)
	v_pk_fma_f16 v2, v5, v15, v14
	v_pk_fma_f16 v5, v5, v3, v13
	;; [unrolled: 1-line block ×4, first 2 shown]
	ds_read2_b64 v[13:16], v23 offset0:64 offset1:96
	v_pk_fma_f16 v25, v7, v22, v2
	v_pk_fma_f16 v5, v7, v24, v5
	ds_read_b128 v[1:4], v80 offset:368
	s_waitcnt lgkmcnt(3)
	v_mul_u32_u24_sdwa v7, v9, v107 dst_sel:DWORD dst_unused:UNUSED_PAD src0_sel:WORD_0 src1_sel:DWORD
	v_mul_u32_u24_sdwa v9, v9, v107 dst_sel:DWORD dst_unused:UNUSED_PAD src0_sel:WORD_1 src1_sel:DWORD
	v_pk_fma_f16 v21, v8, v22, v21
	v_pk_fma_f16 v6, v8, v24, v6
	v_mul_u32_u24_sdwa v22, v11, v107 dst_sel:DWORD dst_unused:UNUSED_PAD src0_sel:WORD_0 src1_sel:DWORD
	s_waitcnt lgkmcnt(2)
	v_pk_fma_f16 v8, v17, v7, v25
	v_pk_fma_f16 v5, v17, v9, v5
	v_mul_u32_u24_sdwa v17, v10, v107 dst_sel:DWORD dst_unused:UNUSED_PAD src0_sel:WORD_0 src1_sel:DWORD
	v_mul_u32_u24_sdwa v10, v10, v107 dst_sel:DWORD dst_unused:UNUSED_PAD src0_sel:WORD_1 src1_sel:DWORD
	v_pk_fma_f16 v21, v18, v7, v21
	v_pk_fma_f16 v9, v18, v9, v6
	v_mul_u32_u24_sdwa v11, v11, v107 dst_sel:DWORD dst_unused:UNUSED_PAD src0_sel:WORD_1 src1_sel:DWORD
	v_pk_fma_f16 v18, v19, v17, v8
	v_pk_fma_f16 v19, v19, v10, v5
	ds_read2_b64 v[5:8], v23 offset0:128 offset1:160
	v_pk_fma_f16 v17, v20, v17, v21
	v_pk_fma_f16 v9, v20, v10, v9
	s_waitcnt lgkmcnt(2)
	v_pk_fma_f16 v10, v13, v22, v18
	v_pk_fma_f16 v13, v13, v11, v19
	v_mul_u32_u24_sdwa v18, v12, v107 dst_sel:DWORD dst_unused:UNUSED_PAD src0_sel:WORD_0 src1_sel:DWORD
	v_mul_u32_u24_sdwa v19, v12, v107 dst_sel:DWORD dst_unused:UNUSED_PAD src0_sel:WORD_1 src1_sel:DWORD
	v_pk_fma_f16 v17, v14, v22, v17
	v_pk_fma_f16 v14, v14, v11, v9
	s_waitcnt lgkmcnt(1)
	v_mul_u32_u24_sdwa v22, v2, v107 dst_sel:DWORD dst_unused:UNUSED_PAD src0_sel:WORD_0 src1_sel:DWORD
	v_pk_fma_f16 v20, v15, v18, v10
	v_pk_fma_f16 v13, v15, v19, v13
	v_mul_u32_u24_sdwa v15, v1, v107 dst_sel:DWORD dst_unused:UNUSED_PAD src0_sel:WORD_0 src1_sel:DWORD
	v_mul_u32_u24_sdwa v1, v1, v107 dst_sel:DWORD dst_unused:UNUSED_PAD src0_sel:WORD_1 src1_sel:DWORD
	ds_read2_b64 v[9:12], v23 offset0:192 offset1:224
	v_pk_fma_f16 v17, v16, v18, v17
	v_pk_fma_f16 v18, v16, v19, v14
	v_add_nc_u32_e32 v23, 0x6000, v74
	v_mul_u32_u24_sdwa v2, v2, v107 dst_sel:DWORD dst_unused:UNUSED_PAD src0_sel:WORD_1 src1_sel:DWORD
	s_waitcnt lgkmcnt(1)
	v_pk_fma_f16 v19, v5, v15, v20
	v_pk_fma_f16 v5, v5, v1, v13
	;; [unrolled: 1-line block ×3, first 2 shown]
	ds_read_b128 v[13:16], v80 offset:384
	v_pk_fma_f16 v1, v6, v1, v18
	v_pk_fma_f16 v6, v7, v22, v19
	ds_read2_b64 v[17:20], v23 offset1:32
	v_pk_fma_f16 v5, v7, v2, v5
	v_mul_u32_u24_sdwa v7, v3, v107 dst_sel:DWORD dst_unused:UNUSED_PAD src0_sel:WORD_0 src1_sel:DWORD
	v_mul_u32_u24_sdwa v3, v3, v107 dst_sel:DWORD dst_unused:UNUSED_PAD src0_sel:WORD_1 src1_sel:DWORD
	v_pk_fma_f16 v21, v8, v22, v21
	v_pk_fma_f16 v1, v8, v2, v1
	v_mul_u32_u24_sdwa v22, v4, v107 dst_sel:DWORD dst_unused:UNUSED_PAD src0_sel:WORD_1 src1_sel:DWORD
	s_waitcnt lgkmcnt(2)
	v_pk_fma_f16 v2, v9, v7, v6
	v_pk_fma_f16 v5, v9, v3, v5
	v_mul_u32_u24_sdwa v9, v4, v107 dst_sel:DWORD dst_unused:UNUSED_PAD src0_sel:WORD_0 src1_sel:DWORD
	v_pk_fma_f16 v21, v10, v7, v21
	v_pk_fma_f16 v10, v10, v3, v1
	;; [unrolled: 1-line block ×4, first 2 shown]
	ds_read_b128 v[1:4], v80 offset:400
	s_waitcnt lgkmcnt(2)
	v_mul_u32_u24_sdwa v25, v13, v107 dst_sel:DWORD dst_unused:UNUSED_PAD src0_sel:WORD_0 src1_sel:DWORD
	ds_read2_b64 v[5:8], v23 offset0:64 offset1:96
	v_mul_u32_u24_sdwa v13, v13, v107 dst_sel:DWORD dst_unused:UNUSED_PAD src0_sel:WORD_1 src1_sel:DWORD
	v_pk_fma_f16 v9, v12, v9, v21
	v_pk_fma_f16 v10, v12, v22, v10
	s_waitcnt lgkmcnt(2)
	v_pk_fma_f16 v12, v17, v25, v24
	v_mul_u32_u24_sdwa v22, v15, v107 dst_sel:DWORD dst_unused:UNUSED_PAD src0_sel:WORD_0 src1_sel:DWORD
	v_pk_fma_f16 v11, v17, v13, v11
	v_mul_u32_u24_sdwa v17, v14, v107 dst_sel:DWORD dst_unused:UNUSED_PAD src0_sel:WORD_0 src1_sel:DWORD
	v_mul_u32_u24_sdwa v14, v14, v107 dst_sel:DWORD dst_unused:UNUSED_PAD src0_sel:WORD_1 src1_sel:DWORD
	v_pk_fma_f16 v21, v18, v25, v9
	v_pk_fma_f16 v13, v18, v13, v10
	v_mul_u32_u24_sdwa v15, v15, v107 dst_sel:DWORD dst_unused:UNUSED_PAD src0_sel:WORD_1 src1_sel:DWORD
	v_pk_fma_f16 v18, v19, v17, v12
	v_pk_fma_f16 v19, v19, v14, v11
	ds_read2_b64 v[9:12], v23 offset0:128 offset1:160
	v_pk_fma_f16 v17, v20, v17, v21
	v_pk_fma_f16 v13, v20, v14, v13
	s_waitcnt lgkmcnt(1)
	v_pk_fma_f16 v14, v5, v22, v18
	v_pk_fma_f16 v5, v5, v15, v19
	v_mul_u32_u24_sdwa v18, v16, v107 dst_sel:DWORD dst_unused:UNUSED_PAD src0_sel:WORD_0 src1_sel:DWORD
	v_mul_u32_u24_sdwa v19, v16, v107 dst_sel:DWORD dst_unused:UNUSED_PAD src0_sel:WORD_1 src1_sel:DWORD
	v_pk_fma_f16 v17, v6, v22, v17
	v_pk_fma_f16 v6, v6, v15, v13
	v_mul_u32_u24_sdwa v22, v2, v107 dst_sel:DWORD dst_unused:UNUSED_PAD src0_sel:WORD_0 src1_sel:DWORD
	v_pk_fma_f16 v20, v7, v18, v14
	v_pk_fma_f16 v5, v7, v19, v5
	v_mul_u32_u24_sdwa v7, v1, v107 dst_sel:DWORD dst_unused:UNUSED_PAD src0_sel:WORD_0 src1_sel:DWORD
	v_mul_u32_u24_sdwa v1, v1, v107 dst_sel:DWORD dst_unused:UNUSED_PAD src0_sel:WORD_1 src1_sel:DWORD
	ds_read2_b64 v[13:16], v23 offset0:192 offset1:224
	v_pk_fma_f16 v17, v8, v18, v17
	v_pk_fma_f16 v18, v8, v19, v6
	s_waitcnt lgkmcnt(1)
	v_pk_fma_f16 v19, v9, v7, v20
	v_pk_fma_f16 v9, v9, v1, v5
	v_add_nc_u32_e32 v23, 0x6800, v74
	v_pk_fma_f16 v21, v10, v7, v17
	ds_read_b128 v[5:8], v80 offset:416
	v_mul_u32_u24_sdwa v2, v2, v107 dst_sel:DWORD dst_unused:UNUSED_PAD src0_sel:WORD_1 src1_sel:DWORD
	v_pk_fma_f16 v1, v10, v1, v18
	v_pk_fma_f16 v10, v11, v22, v19
	ds_read2_b64 v[17:20], v23 offset1:32
	v_pk_fma_f16 v21, v12, v22, v21
	v_pk_fma_f16 v9, v11, v2, v9
	v_mul_u32_u24_sdwa v11, v3, v107 dst_sel:DWORD dst_unused:UNUSED_PAD src0_sel:WORD_0 src1_sel:DWORD
	v_mul_u32_u24_sdwa v3, v3, v107 dst_sel:DWORD dst_unused:UNUSED_PAD src0_sel:WORD_1 src1_sel:DWORD
	v_pk_fma_f16 v1, v12, v2, v1
	v_mul_u32_u24_sdwa v22, v4, v107 dst_sel:DWORD dst_unused:UNUSED_PAD src0_sel:WORD_1 src1_sel:DWORD
	s_waitcnt lgkmcnt(2)
	v_pk_fma_f16 v2, v13, v11, v10
	v_pk_fma_f16 v9, v13, v3, v9
	v_mul_u32_u24_sdwa v13, v4, v107 dst_sel:DWORD dst_unused:UNUSED_PAD src0_sel:WORD_0 src1_sel:DWORD
	v_pk_fma_f16 v21, v14, v11, v21
	v_pk_fma_f16 v14, v14, v3, v1
	;; [unrolled: 1-line block ×4, first 2 shown]
	ds_read_b128 v[1:4], v80 offset:432
	s_waitcnt lgkmcnt(2)
	v_mul_u32_u24_sdwa v25, v5, v107 dst_sel:DWORD dst_unused:UNUSED_PAD src0_sel:WORD_0 src1_sel:DWORD
	ds_read2_b64 v[9:12], v23 offset0:64 offset1:96
	v_mul_u32_u24_sdwa v5, v5, v107 dst_sel:DWORD dst_unused:UNUSED_PAD src0_sel:WORD_1 src1_sel:DWORD
	v_pk_fma_f16 v13, v16, v13, v21
	v_pk_fma_f16 v14, v16, v22, v14
	s_waitcnt lgkmcnt(2)
	v_pk_fma_f16 v16, v17, v25, v24
	v_mul_u32_u24_sdwa v22, v7, v107 dst_sel:DWORD dst_unused:UNUSED_PAD src0_sel:WORD_0 src1_sel:DWORD
	v_pk_fma_f16 v15, v17, v5, v15
	v_mul_u32_u24_sdwa v17, v6, v107 dst_sel:DWORD dst_unused:UNUSED_PAD src0_sel:WORD_0 src1_sel:DWORD
	v_mul_u32_u24_sdwa v6, v6, v107 dst_sel:DWORD dst_unused:UNUSED_PAD src0_sel:WORD_1 src1_sel:DWORD
	v_pk_fma_f16 v21, v18, v25, v13
	v_pk_fma_f16 v5, v18, v5, v14
	v_mul_u32_u24_sdwa v7, v7, v107 dst_sel:DWORD dst_unused:UNUSED_PAD src0_sel:WORD_1 src1_sel:DWORD
	v_pk_fma_f16 v18, v19, v17, v16
	v_pk_fma_f16 v19, v19, v6, v15
	ds_read2_b64 v[13:16], v23 offset0:128 offset1:160
	v_pk_fma_f16 v17, v20, v17, v21
	v_pk_fma_f16 v5, v20, v6, v5
	s_waitcnt lgkmcnt(2)
	v_mul_u32_u24_sdwa v24, v4, v107 dst_sel:DWORD dst_unused:UNUSED_PAD src0_sel:WORD_1 src1_sel:DWORD
	s_waitcnt lgkmcnt(1)
	v_pk_fma_f16 v6, v9, v22, v18
	v_pk_fma_f16 v9, v9, v7, v19
	v_mul_u32_u24_sdwa v18, v8, v107 dst_sel:DWORD dst_unused:UNUSED_PAD src0_sel:WORD_0 src1_sel:DWORD
	v_mul_u32_u24_sdwa v19, v8, v107 dst_sel:DWORD dst_unused:UNUSED_PAD src0_sel:WORD_1 src1_sel:DWORD
	v_pk_fma_f16 v17, v10, v22, v17
	v_pk_fma_f16 v10, v10, v7, v5
	v_mul_u32_u24_sdwa v22, v2, v107 dst_sel:DWORD dst_unused:UNUSED_PAD src0_sel:WORD_0 src1_sel:DWORD
	v_pk_fma_f16 v20, v11, v18, v6
	v_pk_fma_f16 v9, v11, v19, v9
	v_mul_u32_u24_sdwa v11, v1, v107 dst_sel:DWORD dst_unused:UNUSED_PAD src0_sel:WORD_0 src1_sel:DWORD
	v_mul_u32_u24_sdwa v1, v1, v107 dst_sel:DWORD dst_unused:UNUSED_PAD src0_sel:WORD_1 src1_sel:DWORD
	ds_read2_b64 v[5:8], v23 offset0:192 offset1:224
	v_pk_fma_f16 v17, v12, v18, v17
	v_pk_fma_f16 v18, v12, v19, v10
	s_waitcnt lgkmcnt(1)
	v_pk_fma_f16 v19, v13, v11, v20
	v_pk_fma_f16 v13, v13, v1, v9
	v_add_nc_u32_e32 v23, 0x7000, v74
	v_pk_fma_f16 v21, v14, v11, v17
	ds_read_b128 v[9:12], v80 offset:448
	v_mul_u32_u24_sdwa v2, v2, v107 dst_sel:DWORD dst_unused:UNUSED_PAD src0_sel:WORD_1 src1_sel:DWORD
	v_pk_fma_f16 v1, v14, v1, v18
	v_pk_fma_f16 v14, v15, v22, v19
	ds_read2_b64 v[17:20], v23 offset1:32
	v_pk_fma_f16 v21, v16, v22, v21
	v_pk_fma_f16 v13, v15, v2, v13
	v_mul_u32_u24_sdwa v15, v3, v107 dst_sel:DWORD dst_unused:UNUSED_PAD src0_sel:WORD_0 src1_sel:DWORD
	v_mul_u32_u24_sdwa v3, v3, v107 dst_sel:DWORD dst_unused:UNUSED_PAD src0_sel:WORD_1 src1_sel:DWORD
	v_pk_fma_f16 v1, v16, v2, v1
	v_mul_u32_u24_sdwa v22, v4, v107 dst_sel:DWORD dst_unused:UNUSED_PAD src0_sel:WORD_0 src1_sel:DWORD
	s_waitcnt lgkmcnt(2)
	v_pk_fma_f16 v2, v5, v15, v14
	v_pk_fma_f16 v5, v5, v3, v13
	;; [unrolled: 1-line block ×3, first 2 shown]
	ds_read2_b64 v[13:16], v23 offset0:64 offset1:96
	v_pk_fma_f16 v6, v6, v3, v1
	v_pk_fma_f16 v25, v7, v22, v2
	;; [unrolled: 1-line block ×3, first 2 shown]
	ds_read_b128 v[1:4], v80 offset:464
	s_waitcnt lgkmcnt(3)
	v_mul_u32_u24_sdwa v7, v9, v107 dst_sel:DWORD dst_unused:UNUSED_PAD src0_sel:WORD_0 src1_sel:DWORD
	v_mul_u32_u24_sdwa v9, v9, v107 dst_sel:DWORD dst_unused:UNUSED_PAD src0_sel:WORD_1 src1_sel:DWORD
	v_pk_fma_f16 v21, v8, v22, v21
	v_pk_fma_f16 v6, v8, v24, v6
	v_mul_u32_u24_sdwa v22, v11, v107 dst_sel:DWORD dst_unused:UNUSED_PAD src0_sel:WORD_0 src1_sel:DWORD
	s_waitcnt lgkmcnt(2)
	v_pk_fma_f16 v8, v17, v7, v25
	v_pk_fma_f16 v5, v17, v9, v5
	v_mul_u32_u24_sdwa v17, v10, v107 dst_sel:DWORD dst_unused:UNUSED_PAD src0_sel:WORD_0 src1_sel:DWORD
	v_mul_u32_u24_sdwa v10, v10, v107 dst_sel:DWORD dst_unused:UNUSED_PAD src0_sel:WORD_1 src1_sel:DWORD
	v_pk_fma_f16 v21, v18, v7, v21
	v_pk_fma_f16 v9, v18, v9, v6
	v_mul_u32_u24_sdwa v11, v11, v107 dst_sel:DWORD dst_unused:UNUSED_PAD src0_sel:WORD_1 src1_sel:DWORD
	v_pk_fma_f16 v18, v19, v17, v8
	v_pk_fma_f16 v19, v19, v10, v5
	ds_read2_b64 v[5:8], v23 offset0:128 offset1:160
	v_pk_fma_f16 v17, v20, v17, v21
	v_pk_fma_f16 v9, v20, v10, v9
	s_waitcnt lgkmcnt(2)
	v_pk_fma_f16 v10, v13, v22, v18
	v_mul_u32_u24_sdwa v18, v12, v107 dst_sel:DWORD dst_unused:UNUSED_PAD src0_sel:WORD_0 src1_sel:DWORD
	v_pk_fma_f16 v13, v13, v11, v19
	v_mul_u32_u24_sdwa v19, v12, v107 dst_sel:DWORD dst_unused:UNUSED_PAD src0_sel:WORD_1 src1_sel:DWORD
	v_pk_fma_f16 v17, v14, v22, v17
	v_pk_fma_f16 v14, v14, v11, v9
	v_pk_fma_f16 v20, v15, v18, v10
	ds_read2_b64 v[9:12], v23 offset0:192 offset1:224
	v_pk_fma_f16 v13, v15, v19, v13
	s_waitcnt lgkmcnt(2)
	v_mul_u32_u24_sdwa v15, v1, v107 dst_sel:DWORD dst_unused:UNUSED_PAD src0_sel:WORD_0 src1_sel:DWORD
	v_mul_u32_u24_sdwa v1, v1, v107 dst_sel:DWORD dst_unused:UNUSED_PAD src0_sel:WORD_1 src1_sel:DWORD
	v_pk_fma_f16 v17, v16, v18, v17
	v_pk_fma_f16 v14, v16, v19, v14
	v_mul_u32_u24_sdwa v22, v2, v107 dst_sel:DWORD dst_unused:UNUSED_PAD src0_sel:WORD_0 src1_sel:DWORD
	v_mul_u32_u24_sdwa v2, v2, v107 dst_sel:DWORD dst_unused:UNUSED_PAD src0_sel:WORD_1 src1_sel:DWORD
	v_add_f32_e32 v24, v113, v115
	s_waitcnt lgkmcnt(1)
	v_pk_fma_f16 v18, v5, v15, v20
	v_pk_fma_f16 v5, v5, v1, v13
	;; [unrolled: 1-line block ×4, first 2 shown]
	ds_read_b128 v[13:16], v80 offset:480
	v_add_nc_u32_e32 v6, 0x7800, v74
	v_pk_fma_f16 v23, v7, v22, v18
	v_pk_fma_f16 v5, v7, v2, v5
	v_mul_u32_u24_sdwa v7, v3, v107 dst_sel:DWORD dst_unused:UNUSED_PAD src0_sel:WORD_0 src1_sel:DWORD
	v_mul_u32_u24_sdwa v3, v3, v107 dst_sel:DWORD dst_unused:UNUSED_PAD src0_sel:WORD_1 src1_sel:DWORD
	ds_read2_b64 v[17:20], v6 offset1:32
	v_pk_fma_f16 v21, v8, v22, v21
	v_pk_fma_f16 v1, v8, v2, v1
	s_waitcnt lgkmcnt(2)
	v_pk_fma_f16 v2, v9, v7, v23
	v_pk_fma_f16 v5, v9, v3, v5
	v_mul_u32_u24_sdwa v22, v4, v107 dst_sel:DWORD dst_unused:UNUSED_PAD src0_sel:WORD_0 src1_sel:DWORD
	v_mul_u32_u24_sdwa v23, v4, v107 dst_sel:DWORD dst_unused:UNUSED_PAD src0_sel:WORD_1 src1_sel:DWORD
	v_pk_fma_f16 v21, v10, v7, v21
	v_pk_fma_f16 v25, v10, v3, v1
	v_add_f32_e32 v24, v114, v24
	v_pk_fma_f16 v26, v11, v22, v2
	v_pk_fma_f16 v5, v11, v23, v5
	ds_read2_b64 v[8:11], v6 offset0:64 offset1:96
	ds_read_b128 v[1:4], v80 offset:496
	s_waitcnt lgkmcnt(3)
	v_mul_u32_u24_sdwa v27, v13, v107 dst_sel:DWORD dst_unused:UNUSED_PAD src0_sel:WORD_0 src1_sel:DWORD
	v_mul_u32_u24_sdwa v13, v13, v107 dst_sel:DWORD dst_unused:UNUSED_PAD src0_sel:WORD_1 src1_sel:DWORD
	v_pk_fma_f16 v21, v12, v22, v21
	v_pk_fma_f16 v12, v12, v23, v25
	v_add_f32_e32 v7, v112, v24
	s_waitcnt lgkmcnt(2)
	v_pk_fma_f16 v22, v17, v27, v26
	v_pk_fma_f16 v5, v17, v13, v5
	v_mul_u32_u24_sdwa v17, v14, v107 dst_sel:DWORD dst_unused:UNUSED_PAD src0_sel:WORD_0 src1_sel:DWORD
	v_mul_u32_u24_sdwa v14, v14, v107 dst_sel:DWORD dst_unused:UNUSED_PAD src0_sel:WORD_1 src1_sel:DWORD
	v_pk_fma_f16 v25, v18, v27, v21
	v_pk_fma_f16 v12, v18, v13, v12
	v_mul_u32_u24_sdwa v18, v15, v107 dst_sel:DWORD dst_unused:UNUSED_PAD src0_sel:WORD_0 src1_sel:DWORD
	v_pk_fma_f16 v13, v19, v17, v22
	v_pk_fma_f16 v5, v19, v14, v5
	ds_read2_b64 v[21:24], v6 offset0:128 offset1:160
	v_mul_u32_u24_sdwa v15, v15, v107 dst_sel:DWORD dst_unused:UNUSED_PAD src0_sel:WORD_1 src1_sel:DWORD
	v_pk_fma_f16 v17, v20, v17, v25
	v_pk_fma_f16 v12, v20, v14, v12
	s_waitcnt lgkmcnt(2)
	v_pk_fma_f16 v13, v8, v18, v13
	v_add_f32_e32 v19, v118, v119
	v_pk_fma_f16 v5, v8, v15, v5
	v_mul_u32_u24_sdwa v8, v16, v107 dst_sel:DWORD dst_unused:UNUSED_PAD src0_sel:WORD_0 src1_sel:DWORD
	v_mul_u32_u24_sdwa v16, v16, v107 dst_sel:DWORD dst_unused:UNUSED_PAD src0_sel:WORD_1 src1_sel:DWORD
	v_pk_fma_f16 v17, v9, v18, v17
	v_pk_fma_f16 v9, v9, v15, v12
	v_add_f32_e32 v19, v117, v19
	v_pk_fma_f16 v18, v10, v8, v13
	ds_read2_b64 v[12:15], v6 offset0:192 offset1:224
	s_waitcnt lgkmcnt(0)
	s_barrier
	buffer_gl0_inv
	s_load_dword s14, s[6:7], 0x4
	v_pk_fma_f16 v5, v10, v16, v5
	v_mul_u32_u24_sdwa v10, v1, v107 dst_sel:DWORD dst_unused:UNUSED_PAD src0_sel:WORD_0 src1_sel:DWORD
	v_mul_u32_u24_sdwa v1, v1, v107 dst_sel:DWORD dst_unused:UNUSED_PAD src0_sel:WORD_1 src1_sel:DWORD
	v_pk_fma_f16 v6, v11, v8, v17
	v_pk_fma_f16 v8, v11, v16, v9
	v_mul_u32_u24_sdwa v11, v2, v107 dst_sel:DWORD dst_unused:UNUSED_PAD src0_sel:WORD_0 src1_sel:DWORD
	v_pk_fma_f16 v9, v21, v10, v18
	v_pk_fma_f16 v5, v21, v1, v5
	v_mul_u32_u24_sdwa v2, v2, v107 dst_sel:DWORD dst_unused:UNUSED_PAD src0_sel:WORD_1 src1_sel:DWORD
	v_pk_fma_f16 v6, v22, v10, v6
	v_pk_fma_f16 v1, v22, v1, v8
	;; [unrolled: 1-line block ×3, first 2 shown]
	v_mul_u32_u24_sdwa v10, v3, v107 dst_sel:DWORD dst_unused:UNUSED_PAD src0_sel:WORD_0 src1_sel:DWORD
	v_pk_fma_f16 v5, v23, v2, v5
	v_mul_u32_u24_sdwa v3, v3, v107 dst_sel:DWORD dst_unused:UNUSED_PAD src0_sel:WORD_1 src1_sel:DWORD
	v_pk_fma_f16 v6, v24, v11, v6
	v_pk_fma_f16 v1, v24, v2, v1
	v_add_f32_e32 v8, v116, v19
	v_pk_fma_f16 v2, v12, v10, v9
	v_pk_fma_f16 v5, v12, v3, v5
	v_mul_u32_u24_sdwa v9, v4, v107 dst_sel:DWORD dst_unused:UNUSED_PAD src0_sel:WORD_0 src1_sel:DWORD
	v_mul_u32_u24_sdwa v4, v4, v107 dst_sel:DWORD dst_unused:UNUSED_PAD src0_sel:WORD_1 src1_sel:DWORD
	v_pk_fma_f16 v6, v13, v10, v6
	v_pk_fma_f16 v1, v13, v3, v1
	s_waitcnt lgkmcnt(0)
	s_lshl_b32 s14, s14, 7
	v_fmac_f32_e32 v7, v109, v111
	v_fmac_f32_e32 v8, v108, v110
	v_pk_fma_f16 v76, v14, v9, v2
	v_pk_fma_f16 v75, v14, v4, v5
	;; [unrolled: 1-line block ×4, first 2 shown]
	s_add_i32 s18, s14, s18
	s_cmp_lt_i32 s18, s10
	s_cbranch_scc0 .LBB88_61
; %bb.57:                               ;   in Loop: Header=BB88_8 Depth=1
	v_mov_b32_e32 v111, v33
	v_mov_b32_e32 v110, v34
	;; [unrolled: 1-line block ×4, first 2 shown]
	s_branch .LBB88_8
.LBB88_58:                              ;   in Loop: Header=BB88_8 Depth=1
	v_mov_b32_e32 v114, 0
	v_cmp_ngt_f32_e64 s14, 0x3f200000, |v4|
                                        ; implicit-def: $vgpr9
	s_and_saveexec_b32 s15, s14
	s_xor_b32 s14, exec_lo, s15
	s_cbranch_execz .LBB88_15
	s_branch .LBB88_14
.LBB88_59:                              ;   in Loop: Header=BB88_8 Depth=1
	v_mov_b32_e32 v119, 0
	v_cmp_ngt_f32_e64 s14, 0x3f200000, |v34|
                                        ; implicit-def: $vgpr130
	s_and_saveexec_b32 s15, s14
	s_xor_b32 s14, exec_lo, s15
	s_cbranch_execz .LBB88_39
	s_branch .LBB88_38
.LBB88_60:
	v_mov_b32_e32 v33, 0xfeffffff
	v_mov_b32_e32 v76, 0
	;; [unrolled: 1-line block ×7, first 2 shown]
.LBB88_61:
	s_cmp_gt_i32 s48, s18
	s_cbranch_scc1 .LBB88_64
; %bb.62:
	v_mbcnt_lo_u32_b32 v1, -1, 0
	v_mov_b32_e32 v12, 32
	v_xor_b32_e32 v10, 16, v1
	v_xor_b32_e32 v9, 8, v1
	;; [unrolled: 1-line block ×5, first 2 shown]
	s_cbranch_execz .LBB88_65
; %bb.63:
	v_mov_b32_e32 v72, v1
	s_branch .LBB88_138
.LBB88_64:
                                        ; implicit-def: $vgpr1
                                        ; implicit-def: $vgpr12
                                        ; implicit-def: $vgpr10
                                        ; implicit-def: $vgpr9
                                        ; implicit-def: $vgpr11
                                        ; implicit-def: $vgpr13
                                        ; implicit-def: $vgpr14
.LBB88_65:
	v_add_nc_u32_e32 v20, v85, v69
	s_mul_hi_i32 s7, s18, s12
	s_mul_i32 s6, s18, s12
	s_sub_i32 s39, s48, s18
	s_lshl_b64 s[6:7], s[6:7], 2
	v_mul_lo_u32 v5, s12, v20
	s_add_u32 s6, s8, s6
	s_mov_b64 s[14:15], src_private_base
	v_lshlrev_b32_e32 v15, 2, v84
	s_addc_u32 s14, s9, s7
	v_cmp_gt_i32_e64 s13, s39, v20
	s_lshl_b32 s16, s12, 4
	v_add_nc_u32_e32 v23, 16, v20
	v_ashrrev_i32_e32 v6, 31, v5
	v_add_nc_u32_e32 v9, s16, v5
	v_mad_u32_u24 v12, 0x110, v20, v15
	v_add_nc_u32_e32 v22, 32, v20
	v_cmp_gt_i32_e64 s12, s39, v23
	v_lshlrev_b64 v[1:2], 2, v[5:6]
	v_mov_b32_e32 v6, 0
	v_ashrrev_i32_e32 v10, 31, v9
	v_cmp_gt_i32_e64 s11, s39, v22
	v_add_nc_u32_e32 v21, 48, v20
	buffer_store_dword v6, off, s[0:3], 0
	buffer_store_dword v6, off, s[0:3], 0 offset:4
	buffer_store_dword v6, off, s[0:3], 0 offset:8
	;; [unrolled: 1-line block ×3, first 2 shown]
	v_add_co_u32 v1, vcc_lo, s6, v1
	v_add_co_ci_u32_e64 v2, null, s14, v2, vcc_lo
	v_lshlrev_b64 v[10:11], 2, v[9:10]
	v_add_co_u32 v1, vcc_lo, v1, v15
	v_add_co_ci_u32_e64 v2, null, 0, v2, vcc_lo
	v_add_nc_u32_e32 v9, s16, v9
	v_cndmask_b32_e64 v1, 0, v1, s13
	v_add_co_u32 v5, vcc_lo, s6, v10
	v_cndmask_b32_e64 v2, s15, v2, s13
	v_add_co_ci_u32_e64 v10, null, s14, v11, vcc_lo
	v_add_co_u32 v5, vcc_lo, v5, v15
	flat_load_dwordx4 v[1:4], v[1:2]
	v_add_co_ci_u32_e64 v10, null, 0, v10, vcc_lo
	buffer_store_dword v6, off, s[0:3], 0
	buffer_store_dword v6, off, s[0:3], 0 offset:4
	buffer_store_dword v6, off, s[0:3], 0 offset:8
	;; [unrolled: 1-line block ×3, first 2 shown]
	v_cmp_gt_i32_e64 s10, s39, v21
	v_cndmask_b32_e64 v11, s15, v10, s12
	v_cndmask_b32_e64 v10, 0, v5, s12
	v_add_nc_u32_e32 v19, 64, v20
	v_add_nc_u32_e32 v18, 0x50, v20
	;; [unrolled: 1-line block ×4, first 2 shown]
	v_mov_b32_e32 v25, 0
	v_cmp_gt_i32_e64 s9, s39, v19
	v_cmp_gt_i32_e64 s8, s39, v18
	;; [unrolled: 1-line block ×3, first 2 shown]
	v_mov_b32_e32 v24, 0
	s_waitcnt vmcnt(0) lgkmcnt(0)
	ds_write_b128 v12, v[1:4]
	flat_load_dwordx4 v[1:4], v[10:11]
	v_ashrrev_i32_e32 v10, 31, v9
	buffer_store_dword v6, off, s[0:3], 0
	buffer_store_dword v6, off, s[0:3], 0 offset:4
	buffer_store_dword v6, off, s[0:3], 0 offset:8
	buffer_store_dword v6, off, s[0:3], 0 offset:12
	v_lshlrev_b64 v[10:11], 2, v[9:10]
	v_add_nc_u32_e32 v9, s16, v9
	v_add_co_u32 v5, vcc_lo, s6, v10
	v_add_co_ci_u32_e64 v10, null, s14, v11, vcc_lo
	v_add_co_u32 v5, vcc_lo, v5, v15
	v_add_co_ci_u32_e64 v10, null, 0, v10, vcc_lo
	v_cndmask_b32_e64 v11, s15, v10, s11
	v_cndmask_b32_e64 v10, 0, v5, s11
	s_waitcnt vmcnt(0) lgkmcnt(0)
	ds_write_b128 v12, v[1:4] offset:4352
	flat_load_dwordx4 v[1:4], v[10:11]
	v_ashrrev_i32_e32 v10, 31, v9
	buffer_store_dword v6, off, s[0:3], 0
	buffer_store_dword v6, off, s[0:3], 0 offset:4
	buffer_store_dword v6, off, s[0:3], 0 offset:8
	buffer_store_dword v6, off, s[0:3], 0 offset:12
	v_lshlrev_b64 v[10:11], 2, v[9:10]
	v_add_nc_u32_e32 v9, s16, v9
	v_add_co_u32 v5, vcc_lo, s6, v10
	v_add_co_ci_u32_e64 v10, null, s14, v11, vcc_lo
	v_add_co_u32 v5, vcc_lo, v5, v15
	v_add_co_ci_u32_e64 v10, null, 0, v10, vcc_lo
	v_cndmask_b32_e64 v11, s15, v10, s10
	v_cndmask_b32_e64 v10, 0, v5, s10
	s_waitcnt vmcnt(0) lgkmcnt(0)
	ds_write_b128 v12, v[1:4] offset:8704
	flat_load_dwordx4 v[1:4], v[10:11]
	v_ashrrev_i32_e32 v10, 31, v9
	buffer_store_dword v6, off, s[0:3], 0
	buffer_store_dword v6, off, s[0:3], 0 offset:4
	buffer_store_dword v6, off, s[0:3], 0 offset:8
	buffer_store_dword v6, off, s[0:3], 0 offset:12
	v_lshlrev_b64 v[10:11], 2, v[9:10]
	v_add_nc_u32_e32 v9, s16, v9
	v_add_co_u32 v5, vcc_lo, s6, v10
	v_add_co_ci_u32_e64 v10, null, s14, v11, vcc_lo
	v_add_co_u32 v5, vcc_lo, v5, v15
	v_add_co_ci_u32_e64 v10, null, 0, v10, vcc_lo
	v_cndmask_b32_e64 v11, s15, v10, s9
	v_cndmask_b32_e64 v10, 0, v5, s9
	s_waitcnt vmcnt(0) lgkmcnt(0)
	ds_write_b128 v12, v[1:4] offset:13056
	flat_load_dwordx4 v[1:4], v[10:11]
	v_ashrrev_i32_e32 v10, 31, v9
	buffer_store_dword v6, off, s[0:3], 0
	buffer_store_dword v6, off, s[0:3], 0 offset:4
	buffer_store_dword v6, off, s[0:3], 0 offset:8
	buffer_store_dword v6, off, s[0:3], 0 offset:12
	v_lshlrev_b64 v[10:11], 2, v[9:10]
	v_add_nc_u32_e32 v9, s16, v9
	v_add_co_u32 v5, vcc_lo, s6, v10
	v_add_co_ci_u32_e64 v10, null, s14, v11, vcc_lo
	v_add_co_u32 v5, vcc_lo, v5, v15
	v_add_co_ci_u32_e64 v10, null, 0, v10, vcc_lo
	v_cndmask_b32_e64 v11, s15, v10, s8
	v_cndmask_b32_e64 v10, 0, v5, s8
	s_waitcnt vmcnt(0) lgkmcnt(0)
	ds_write_b128 v12, v[1:4] offset:17408
	flat_load_dwordx4 v[1:4], v[10:11]
	v_ashrrev_i32_e32 v10, 31, v9
	buffer_store_dword v6, off, s[0:3], 0
	buffer_store_dword v6, off, s[0:3], 0 offset:4
	buffer_store_dword v6, off, s[0:3], 0 offset:8
	buffer_store_dword v6, off, s[0:3], 0 offset:12
	v_lshlrev_b64 v[10:11], 2, v[9:10]
	v_add_nc_u32_e32 v9, s16, v9
	v_add_co_u32 v5, vcc_lo, s6, v10
	v_add_co_ci_u32_e64 v10, null, s14, v11, vcc_lo
	v_add_co_u32 v5, vcc_lo, v5, v15
	v_add_co_ci_u32_e64 v10, null, 0, v10, vcc_lo
	v_cndmask_b32_e64 v11, s15, v10, s7
	v_cndmask_b32_e64 v10, 0, v5, s7
	s_waitcnt vmcnt(0) lgkmcnt(0)
	ds_write_b128 v12, v[1:4] offset:21760
	flat_load_dwordx4 v[1:4], v[10:11]
	v_ashrrev_i32_e32 v10, 31, v9
	buffer_store_dword v6, off, s[0:3], 0
	buffer_store_dword v6, off, s[0:3], 0 offset:4
	buffer_store_dword v6, off, s[0:3], 0 offset:8
	buffer_store_dword v6, off, s[0:3], 0 offset:12
	v_mov_b32_e32 v11, 0
	v_lshlrev_b64 v[9:10], 2, v[9:10]
	v_add_co_u32 v5, vcc_lo, s6, v9
	v_add_co_ci_u32_e64 v9, null, s14, v10, vcc_lo
	v_cmp_gt_i32_e64 s6, s39, v16
	v_add_co_u32 v5, vcc_lo, v5, v15
	v_add_co_ci_u32_e64 v9, null, 0, v9, vcc_lo
	v_cndmask_b32_e64 v10, s15, v9, s6
	v_cndmask_b32_e64 v9, 0, v5, s6
	v_mov_b32_e32 v5, 0
	s_waitcnt vmcnt(0) lgkmcnt(0)
	ds_write_b128 v12, v[1:4] offset:26112
	flat_load_dwordx4 v[1:4], v[9:10]
	v_mov_b32_e32 v10, 0
	v_mov_b32_e32 v9, 0
	s_waitcnt vmcnt(0) lgkmcnt(0)
	ds_write_b128 v12, v[1:4] offset:30464
	s_waitcnt lgkmcnt(0)
	s_waitcnt_vscnt null, 0x0
	s_barrier
	buffer_gl0_inv
	ds_read_b128 v[26:29], v83
	ds_read_b128 v[35:38], v73 offset:38912
	ds_read_b128 v[39:42], v73 offset:39168
	;; [unrolled: 1-line block ×3, first 2 shown]
	v_mov_b32_e32 v1, 0
	ds_read_b128 v[47:50], v83 offset:17408
	ds_read_b128 v[51:54], v83 offset:26112
                                        ; implicit-def: $vgpr2
	s_waitcnt lgkmcnt(4)
	;;#ASMSTART
	v_dot2_f32_f16 v1, v26, v35, v1
	;;#ASMEND
	;;#ASMSTART
	v_dot2_f32_f16 v1, v27, v36, v1
	;;#ASMEND
	;;#ASMSTART
	v_dot2_f32_f16 v1, v28, v37, v1
	;;#ASMEND
	;;#ASMSTART
	v_dot2_f32_f16 v1, v29, v38, v1
	;;#ASMEND
	s_waitcnt lgkmcnt(3)
	;;#ASMSTART
	v_dot2_f32_f16 v5, v26, v39, v5
	;;#ASMEND
	;;#ASMSTART
	v_dot2_f32_f16 v5, v27, v40, v5
	;;#ASMEND
	;;#ASMSTART
	v_dot2_f32_f16 v5, v28, v41, v5
	;;#ASMEND
	;;#ASMSTART
	v_dot2_f32_f16 v5, v29, v42, v5
	;;#ASMEND
	s_waitcnt lgkmcnt(2)
	;;#ASMSTART
	v_dot2_f32_f16 v11, v43, v35, v11
	;;#ASMEND
	;;#ASMSTART
	v_dot2_f32_f16 v11, v44, v36, v11
	;;#ASMEND
	;;#ASMSTART
	v_dot2_f32_f16 v11, v45, v37, v11
	;;#ASMEND
	;;#ASMSTART
	v_dot2_f32_f16 v11, v46, v38, v11
	;;#ASMEND
	;;#ASMSTART
	v_dot2_f32_f16 v25, v43, v39, v25
	;;#ASMEND
	;;#ASMSTART
	v_dot2_f32_f16 v25, v44, v40, v25
	;;#ASMEND
	;; [unrolled: 3-line block ×4, first 2 shown]
	s_waitcnt lgkmcnt(1)
	;;#ASMSTART
	v_dot2_f32_f16 v10, v47, v35, v10
	;;#ASMEND
	;;#ASMSTART
	v_dot2_f32_f16 v10, v48, v36, v10
	;;#ASMEND
	;; [unrolled: 3-line block ×8, first 2 shown]
	s_waitcnt lgkmcnt(0)
	;;#ASMSTART
	v_dot2_f32_f16 v9, v51, v35, v9
	;;#ASMEND
	;;#ASMSTART
	v_dot2_f32_f16 v9, v52, v36, v9
	;;#ASMEND
	;; [unrolled: 3-line block ×8, first 2 shown]
	ds_read_b128 v[26:29], v83 offset:16
	ds_read_b128 v[35:38], v73 offset:38928
	;; [unrolled: 1-line block ×6, first 2 shown]
	s_waitcnt lgkmcnt(4)
	;;#ASMSTART
	v_dot2_f32_f16 v1, v26, v35, v1
	;;#ASMEND
	;;#ASMSTART
	v_dot2_f32_f16 v1, v27, v36, v1
	;;#ASMEND
	;;#ASMSTART
	v_dot2_f32_f16 v1, v28, v37, v1
	;;#ASMEND
	;;#ASMSTART
	v_dot2_f32_f16 v1, v29, v38, v1
	;;#ASMEND
	s_waitcnt lgkmcnt(3)
	;;#ASMSTART
	v_dot2_f32_f16 v5, v26, v39, v5
	;;#ASMEND
	;;#ASMSTART
	v_dot2_f32_f16 v5, v27, v40, v5
	;;#ASMEND
	;;#ASMSTART
	v_dot2_f32_f16 v5, v28, v41, v5
	;;#ASMEND
	;;#ASMSTART
	v_dot2_f32_f16 v5, v29, v42, v5
	;;#ASMEND
	;; [unrolled: 13-line block ×3, first 2 shown]
	;;#ASMSTART
	v_dot2_f32_f16 v25, v43, v39, v25
	;;#ASMEND
	;;#ASMSTART
	v_dot2_f32_f16 v25, v44, v40, v25
	;;#ASMEND
	;; [unrolled: 3-line block ×4, first 2 shown]
	s_waitcnt lgkmcnt(1)
	;;#ASMSTART
	v_dot2_f32_f16 v10, v47, v35, v10
	;;#ASMEND
	;;#ASMSTART
	v_dot2_f32_f16 v10, v48, v36, v10
	;;#ASMEND
	;;#ASMSTART
	v_dot2_f32_f16 v10, v49, v37, v10
	;;#ASMEND
	;;#ASMSTART
	v_dot2_f32_f16 v10, v50, v38, v10
	;;#ASMEND
	;;#ASMSTART
	v_dot2_f32_f16 v24, v47, v39, v24
	;;#ASMEND
	;;#ASMSTART
	v_dot2_f32_f16 v24, v48, v40, v24
	;;#ASMEND
	;;#ASMSTART
	v_dot2_f32_f16 v24, v49, v41, v24
	;;#ASMEND
	;;#ASMSTART
	v_dot2_f32_f16 v24, v50, v42, v24
	;;#ASMEND
	s_waitcnt lgkmcnt(0)
	;;#ASMSTART
	v_dot2_f32_f16 v9, v51, v35, v9
	;;#ASMEND
	;;#ASMSTART
	v_dot2_f32_f16 v9, v52, v36, v9
	;;#ASMEND
	;; [unrolled: 3-line block ×8, first 2 shown]
	ds_read_b128 v[26:29], v83 offset:32
	ds_read_b128 v[35:38], v73 offset:38944
	;; [unrolled: 1-line block ×6, first 2 shown]
	s_waitcnt lgkmcnt(4)
	;;#ASMSTART
	v_dot2_f32_f16 v1, v26, v35, v1
	;;#ASMEND
	;;#ASMSTART
	v_dot2_f32_f16 v1, v27, v36, v1
	;;#ASMEND
	;;#ASMSTART
	v_dot2_f32_f16 v1, v28, v37, v1
	;;#ASMEND
	;;#ASMSTART
	v_dot2_f32_f16 v1, v29, v38, v1
	;;#ASMEND
	s_waitcnt lgkmcnt(3)
	;;#ASMSTART
	v_dot2_f32_f16 v5, v26, v39, v5
	;;#ASMEND
	;;#ASMSTART
	v_dot2_f32_f16 v5, v27, v40, v5
	;;#ASMEND
	;;#ASMSTART
	v_dot2_f32_f16 v5, v28, v41, v5
	;;#ASMEND
	;;#ASMSTART
	v_dot2_f32_f16 v5, v29, v42, v5
	;;#ASMEND
	;; [unrolled: 13-line block ×3, first 2 shown]
	;;#ASMSTART
	v_dot2_f32_f16 v25, v43, v39, v25
	;;#ASMEND
	;;#ASMSTART
	v_dot2_f32_f16 v25, v44, v40, v25
	;;#ASMEND
	;; [unrolled: 3-line block ×4, first 2 shown]
	s_waitcnt lgkmcnt(1)
	;;#ASMSTART
	v_dot2_f32_f16 v10, v47, v35, v10
	;;#ASMEND
	;;#ASMSTART
	v_dot2_f32_f16 v10, v48, v36, v10
	;;#ASMEND
	;; [unrolled: 3-line block ×8, first 2 shown]
	s_waitcnt lgkmcnt(0)
	;;#ASMSTART
	v_dot2_f32_f16 v9, v51, v35, v9
	;;#ASMEND
	;;#ASMSTART
	v_dot2_f32_f16 v9, v52, v36, v9
	;;#ASMEND
	;; [unrolled: 3-line block ×8, first 2 shown]
	ds_read_b128 v[26:29], v83 offset:48
	ds_read_b128 v[35:38], v73 offset:38960
	;; [unrolled: 1-line block ×6, first 2 shown]
	s_waitcnt lgkmcnt(4)
	;;#ASMSTART
	v_dot2_f32_f16 v1, v26, v35, v1
	;;#ASMEND
	;;#ASMSTART
	v_dot2_f32_f16 v1, v27, v36, v1
	;;#ASMEND
	;;#ASMSTART
	v_dot2_f32_f16 v1, v28, v37, v1
	;;#ASMEND
	;;#ASMSTART
	v_dot2_f32_f16 v1, v29, v38, v1
	;;#ASMEND
	s_waitcnt lgkmcnt(3)
	;;#ASMSTART
	v_dot2_f32_f16 v5, v26, v39, v5
	;;#ASMEND
	;;#ASMSTART
	v_dot2_f32_f16 v5, v27, v40, v5
	;;#ASMEND
	;;#ASMSTART
	v_dot2_f32_f16 v5, v28, v41, v5
	;;#ASMEND
	;;#ASMSTART
	v_dot2_f32_f16 v5, v29, v42, v5
	;;#ASMEND
	;; [unrolled: 13-line block ×3, first 2 shown]
	;;#ASMSTART
	v_dot2_f32_f16 v25, v43, v39, v25
	;;#ASMEND
	;;#ASMSTART
	v_dot2_f32_f16 v25, v44, v40, v25
	;;#ASMEND
	;; [unrolled: 3-line block ×4, first 2 shown]
	s_waitcnt lgkmcnt(1)
	;;#ASMSTART
	v_dot2_f32_f16 v10, v47, v35, v10
	;;#ASMEND
	;;#ASMSTART
	v_dot2_f32_f16 v10, v48, v36, v10
	;;#ASMEND
	;; [unrolled: 3-line block ×8, first 2 shown]
	s_waitcnt lgkmcnt(0)
	;;#ASMSTART
	v_dot2_f32_f16 v9, v51, v35, v9
	;;#ASMEND
	;;#ASMSTART
	v_dot2_f32_f16 v9, v52, v36, v9
	;;#ASMEND
	;; [unrolled: 3-line block ×8, first 2 shown]
	ds_read_b128 v[26:29], v83 offset:64
	ds_read_b128 v[35:38], v73 offset:38976
	;; [unrolled: 1-line block ×6, first 2 shown]
	s_waitcnt lgkmcnt(4)
	;;#ASMSTART
	v_dot2_f32_f16 v1, v26, v35, v1
	;;#ASMEND
	;;#ASMSTART
	v_dot2_f32_f16 v1, v27, v36, v1
	;;#ASMEND
	;;#ASMSTART
	v_dot2_f32_f16 v1, v28, v37, v1
	;;#ASMEND
	;;#ASMSTART
	v_dot2_f32_f16 v1, v29, v38, v1
	;;#ASMEND
	s_waitcnt lgkmcnt(3)
	;;#ASMSTART
	v_dot2_f32_f16 v5, v26, v39, v5
	;;#ASMEND
	;;#ASMSTART
	v_dot2_f32_f16 v5, v27, v40, v5
	;;#ASMEND
	;;#ASMSTART
	v_dot2_f32_f16 v5, v28, v41, v5
	;;#ASMEND
	;;#ASMSTART
	v_dot2_f32_f16 v5, v29, v42, v5
	;;#ASMEND
	;; [unrolled: 13-line block ×3, first 2 shown]
	;;#ASMSTART
	v_dot2_f32_f16 v25, v43, v39, v25
	;;#ASMEND
	;;#ASMSTART
	v_dot2_f32_f16 v25, v44, v40, v25
	;;#ASMEND
	;; [unrolled: 3-line block ×4, first 2 shown]
	s_waitcnt lgkmcnt(1)
	;;#ASMSTART
	v_dot2_f32_f16 v10, v47, v35, v10
	;;#ASMEND
	;;#ASMSTART
	v_dot2_f32_f16 v10, v48, v36, v10
	;;#ASMEND
	;; [unrolled: 3-line block ×8, first 2 shown]
	s_waitcnt lgkmcnt(0)
	;;#ASMSTART
	v_dot2_f32_f16 v9, v51, v35, v9
	;;#ASMEND
	;;#ASMSTART
	v_dot2_f32_f16 v9, v52, v36, v9
	;;#ASMEND
	;; [unrolled: 3-line block ×8, first 2 shown]
	ds_read_b128 v[26:29], v83 offset:80
	ds_read_b128 v[35:38], v73 offset:38992
	;; [unrolled: 1-line block ×6, first 2 shown]
	s_waitcnt lgkmcnt(4)
	;;#ASMSTART
	v_dot2_f32_f16 v1, v26, v35, v1
	;;#ASMEND
	;;#ASMSTART
	v_dot2_f32_f16 v1, v27, v36, v1
	;;#ASMEND
	;;#ASMSTART
	v_dot2_f32_f16 v1, v28, v37, v1
	;;#ASMEND
	;;#ASMSTART
	v_dot2_f32_f16 v1, v29, v38, v1
	;;#ASMEND
	s_waitcnt lgkmcnt(3)
	;;#ASMSTART
	v_dot2_f32_f16 v5, v26, v39, v5
	;;#ASMEND
	;;#ASMSTART
	v_dot2_f32_f16 v5, v27, v40, v5
	;;#ASMEND
	;;#ASMSTART
	v_dot2_f32_f16 v5, v28, v41, v5
	;;#ASMEND
	;;#ASMSTART
	v_dot2_f32_f16 v5, v29, v42, v5
	;;#ASMEND
	;; [unrolled: 13-line block ×3, first 2 shown]
	;;#ASMSTART
	v_dot2_f32_f16 v25, v43, v39, v25
	;;#ASMEND
	;;#ASMSTART
	v_dot2_f32_f16 v25, v44, v40, v25
	;;#ASMEND
	;; [unrolled: 3-line block ×4, first 2 shown]
	s_waitcnt lgkmcnt(1)
	;;#ASMSTART
	v_dot2_f32_f16 v10, v47, v35, v10
	;;#ASMEND
	;;#ASMSTART
	v_dot2_f32_f16 v10, v48, v36, v10
	;;#ASMEND
	;; [unrolled: 3-line block ×8, first 2 shown]
	s_waitcnt lgkmcnt(0)
	;;#ASMSTART
	v_dot2_f32_f16 v9, v51, v35, v9
	;;#ASMEND
	;;#ASMSTART
	v_dot2_f32_f16 v9, v52, v36, v9
	;;#ASMEND
	;; [unrolled: 3-line block ×8, first 2 shown]
	ds_read_b128 v[26:29], v83 offset:96
	ds_read_b128 v[35:38], v73 offset:39008
	;; [unrolled: 1-line block ×6, first 2 shown]
	s_waitcnt lgkmcnt(4)
	;;#ASMSTART
	v_dot2_f32_f16 v1, v26, v35, v1
	;;#ASMEND
	;;#ASMSTART
	v_dot2_f32_f16 v1, v27, v36, v1
	;;#ASMEND
	;;#ASMSTART
	v_dot2_f32_f16 v1, v28, v37, v1
	;;#ASMEND
	;;#ASMSTART
	v_dot2_f32_f16 v1, v29, v38, v1
	;;#ASMEND
	s_waitcnt lgkmcnt(3)
	;;#ASMSTART
	v_dot2_f32_f16 v5, v26, v39, v5
	;;#ASMEND
	;;#ASMSTART
	v_dot2_f32_f16 v5, v27, v40, v5
	;;#ASMEND
	;;#ASMSTART
	v_dot2_f32_f16 v5, v28, v41, v5
	;;#ASMEND
	;;#ASMSTART
	v_dot2_f32_f16 v5, v29, v42, v5
	;;#ASMEND
	;; [unrolled: 13-line block ×3, first 2 shown]
	;;#ASMSTART
	v_dot2_f32_f16 v25, v43, v39, v25
	;;#ASMEND
	;;#ASMSTART
	v_dot2_f32_f16 v25, v44, v40, v25
	;;#ASMEND
	;;#ASMSTART
	v_dot2_f32_f16 v25, v45, v41, v25
	;;#ASMEND
	;;#ASMSTART
	v_dot2_f32_f16 v25, v46, v42, v25
	;;#ASMEND
	s_waitcnt lgkmcnt(1)
	;;#ASMSTART
	v_dot2_f32_f16 v10, v47, v35, v10
	;;#ASMEND
	;;#ASMSTART
	v_dot2_f32_f16 v10, v48, v36, v10
	;;#ASMEND
	;; [unrolled: 3-line block ×8, first 2 shown]
	s_waitcnt lgkmcnt(0)
	;;#ASMSTART
	v_dot2_f32_f16 v9, v51, v35, v9
	;;#ASMEND
	;;#ASMSTART
	v_dot2_f32_f16 v9, v52, v36, v9
	;;#ASMEND
	;;#ASMSTART
	v_dot2_f32_f16 v9, v53, v37, v9
	;;#ASMEND
	;;#ASMSTART
	v_dot2_f32_f16 v9, v54, v38, v9
	;;#ASMEND
	;;#ASMSTART
	v_dot2_f32_f16 v6, v51, v39, v6
	;;#ASMEND
	;;#ASMSTART
	v_dot2_f32_f16 v6, v52, v40, v6
	;;#ASMEND
	;;#ASMSTART
	v_dot2_f32_f16 v6, v53, v41, v6
	;;#ASMEND
	;;#ASMSTART
	v_dot2_f32_f16 v6, v54, v42, v6
	;;#ASMEND
	ds_read_b128 v[26:29], v83 offset:112
	ds_read_b128 v[35:38], v73 offset:39024
	;; [unrolled: 1-line block ×6, first 2 shown]
	s_waitcnt lgkmcnt(4)
	;;#ASMSTART
	v_dot2_f32_f16 v1, v26, v35, v1
	;;#ASMEND
	;;#ASMSTART
	v_dot2_f32_f16 v1, v27, v36, v1
	;;#ASMEND
	;;#ASMSTART
	v_dot2_f32_f16 v1, v28, v37, v1
	;;#ASMEND
	;;#ASMSTART
	v_dot2_f32_f16 v1, v29, v38, v1
	;;#ASMEND
	s_waitcnt lgkmcnt(3)
	;;#ASMSTART
	v_dot2_f32_f16 v5, v26, v39, v5
	;;#ASMEND
	;;#ASMSTART
	v_dot2_f32_f16 v5, v27, v40, v5
	;;#ASMEND
	;;#ASMSTART
	v_dot2_f32_f16 v5, v28, v41, v5
	;;#ASMEND
	;;#ASMSTART
	v_dot2_f32_f16 v5, v29, v42, v5
	;;#ASMEND
	;; [unrolled: 13-line block ×3, first 2 shown]
	;;#ASMSTART
	v_dot2_f32_f16 v25, v43, v39, v25
	;;#ASMEND
	;;#ASMSTART
	v_dot2_f32_f16 v25, v44, v40, v25
	;;#ASMEND
	;; [unrolled: 3-line block ×4, first 2 shown]
	s_waitcnt lgkmcnt(1)
	;;#ASMSTART
	v_dot2_f32_f16 v10, v47, v35, v10
	;;#ASMEND
	;;#ASMSTART
	v_dot2_f32_f16 v10, v48, v36, v10
	;;#ASMEND
	;; [unrolled: 3-line block ×8, first 2 shown]
	s_waitcnt lgkmcnt(0)
	;;#ASMSTART
	v_dot2_f32_f16 v9, v51, v35, v9
	;;#ASMEND
	;;#ASMSTART
	v_dot2_f32_f16 v9, v52, v36, v9
	;;#ASMEND
	;; [unrolled: 3-line block ×8, first 2 shown]
	ds_read_b128 v[26:29], v83 offset:128
	ds_read_b128 v[35:38], v73 offset:39040
	;; [unrolled: 1-line block ×6, first 2 shown]
	s_waitcnt lgkmcnt(4)
	;;#ASMSTART
	v_dot2_f32_f16 v1, v26, v35, v1
	;;#ASMEND
	;;#ASMSTART
	v_dot2_f32_f16 v1, v27, v36, v1
	;;#ASMEND
	;;#ASMSTART
	v_dot2_f32_f16 v1, v28, v37, v1
	;;#ASMEND
	;;#ASMSTART
	v_dot2_f32_f16 v1, v29, v38, v1
	;;#ASMEND
	s_waitcnt lgkmcnt(3)
	;;#ASMSTART
	v_dot2_f32_f16 v5, v26, v39, v5
	;;#ASMEND
	;;#ASMSTART
	v_dot2_f32_f16 v5, v27, v40, v5
	;;#ASMEND
	;;#ASMSTART
	v_dot2_f32_f16 v5, v28, v41, v5
	;;#ASMEND
	;;#ASMSTART
	v_dot2_f32_f16 v5, v29, v42, v5
	;;#ASMEND
	;; [unrolled: 13-line block ×3, first 2 shown]
	;;#ASMSTART
	v_dot2_f32_f16 v25, v43, v39, v25
	;;#ASMEND
	;;#ASMSTART
	v_dot2_f32_f16 v25, v44, v40, v25
	;;#ASMEND
	;; [unrolled: 3-line block ×4, first 2 shown]
	s_waitcnt lgkmcnt(1)
	;;#ASMSTART
	v_dot2_f32_f16 v10, v47, v35, v10
	;;#ASMEND
	;;#ASMSTART
	v_dot2_f32_f16 v10, v48, v36, v10
	;;#ASMEND
	;; [unrolled: 3-line block ×8, first 2 shown]
	s_waitcnt lgkmcnt(0)
	;;#ASMSTART
	v_dot2_f32_f16 v9, v51, v35, v9
	;;#ASMEND
	;;#ASMSTART
	v_dot2_f32_f16 v9, v52, v36, v9
	;;#ASMEND
	;; [unrolled: 3-line block ×8, first 2 shown]
	ds_read_b128 v[26:29], v83 offset:144
	ds_read_b128 v[35:38], v73 offset:39056
	;; [unrolled: 1-line block ×6, first 2 shown]
	s_waitcnt lgkmcnt(4)
	;;#ASMSTART
	v_dot2_f32_f16 v1, v26, v35, v1
	;;#ASMEND
	;;#ASMSTART
	v_dot2_f32_f16 v1, v27, v36, v1
	;;#ASMEND
	;;#ASMSTART
	v_dot2_f32_f16 v1, v28, v37, v1
	;;#ASMEND
	;;#ASMSTART
	v_dot2_f32_f16 v1, v29, v38, v1
	;;#ASMEND
	s_waitcnt lgkmcnt(3)
	;;#ASMSTART
	v_dot2_f32_f16 v5, v26, v39, v5
	;;#ASMEND
	;;#ASMSTART
	v_dot2_f32_f16 v5, v27, v40, v5
	;;#ASMEND
	;;#ASMSTART
	v_dot2_f32_f16 v5, v28, v41, v5
	;;#ASMEND
	;;#ASMSTART
	v_dot2_f32_f16 v5, v29, v42, v5
	;;#ASMEND
	;; [unrolled: 13-line block ×3, first 2 shown]
	;;#ASMSTART
	v_dot2_f32_f16 v25, v43, v39, v25
	;;#ASMEND
	;;#ASMSTART
	v_dot2_f32_f16 v25, v44, v40, v25
	;;#ASMEND
	;; [unrolled: 3-line block ×4, first 2 shown]
	s_waitcnt lgkmcnt(1)
	;;#ASMSTART
	v_dot2_f32_f16 v10, v47, v35, v10
	;;#ASMEND
	;;#ASMSTART
	v_dot2_f32_f16 v10, v48, v36, v10
	;;#ASMEND
	;;#ASMSTART
	v_dot2_f32_f16 v10, v49, v37, v10
	;;#ASMEND
	;;#ASMSTART
	v_dot2_f32_f16 v10, v50, v38, v10
	;;#ASMEND
	;;#ASMSTART
	v_dot2_f32_f16 v24, v47, v39, v24
	;;#ASMEND
	;;#ASMSTART
	v_dot2_f32_f16 v24, v48, v40, v24
	;;#ASMEND
	;;#ASMSTART
	v_dot2_f32_f16 v24, v49, v41, v24
	;;#ASMEND
	;;#ASMSTART
	v_dot2_f32_f16 v24, v50, v42, v24
	;;#ASMEND
	s_waitcnt lgkmcnt(0)
	;;#ASMSTART
	v_dot2_f32_f16 v9, v51, v35, v9
	;;#ASMEND
	;;#ASMSTART
	v_dot2_f32_f16 v9, v52, v36, v9
	;;#ASMEND
	;; [unrolled: 3-line block ×8, first 2 shown]
	ds_read_b128 v[26:29], v83 offset:160
	ds_read_b128 v[35:38], v73 offset:39072
	;; [unrolled: 1-line block ×6, first 2 shown]
	s_waitcnt lgkmcnt(4)
	;;#ASMSTART
	v_dot2_f32_f16 v1, v26, v35, v1
	;;#ASMEND
	;;#ASMSTART
	v_dot2_f32_f16 v1, v27, v36, v1
	;;#ASMEND
	;;#ASMSTART
	v_dot2_f32_f16 v1, v28, v37, v1
	;;#ASMEND
	;;#ASMSTART
	v_dot2_f32_f16 v1, v29, v38, v1
	;;#ASMEND
	s_waitcnt lgkmcnt(3)
	;;#ASMSTART
	v_dot2_f32_f16 v5, v26, v39, v5
	;;#ASMEND
	;;#ASMSTART
	v_dot2_f32_f16 v5, v27, v40, v5
	;;#ASMEND
	;;#ASMSTART
	v_dot2_f32_f16 v5, v28, v41, v5
	;;#ASMEND
	;;#ASMSTART
	v_dot2_f32_f16 v5, v29, v42, v5
	;;#ASMEND
	;; [unrolled: 13-line block ×3, first 2 shown]
	;;#ASMSTART
	v_dot2_f32_f16 v25, v43, v39, v25
	;;#ASMEND
	;;#ASMSTART
	v_dot2_f32_f16 v25, v44, v40, v25
	;;#ASMEND
	;; [unrolled: 3-line block ×4, first 2 shown]
	s_waitcnt lgkmcnt(1)
	;;#ASMSTART
	v_dot2_f32_f16 v10, v47, v35, v10
	;;#ASMEND
	;;#ASMSTART
	v_dot2_f32_f16 v10, v48, v36, v10
	;;#ASMEND
	;; [unrolled: 3-line block ×8, first 2 shown]
	s_waitcnt lgkmcnt(0)
	;;#ASMSTART
	v_dot2_f32_f16 v9, v51, v35, v9
	;;#ASMEND
	;;#ASMSTART
	v_dot2_f32_f16 v9, v52, v36, v9
	;;#ASMEND
	;;#ASMSTART
	v_dot2_f32_f16 v9, v53, v37, v9
	;;#ASMEND
	;;#ASMSTART
	v_dot2_f32_f16 v9, v54, v38, v9
	;;#ASMEND
	;;#ASMSTART
	v_dot2_f32_f16 v6, v51, v39, v6
	;;#ASMEND
	;;#ASMSTART
	v_dot2_f32_f16 v6, v52, v40, v6
	;;#ASMEND
	;;#ASMSTART
	v_dot2_f32_f16 v6, v53, v41, v6
	;;#ASMEND
	;;#ASMSTART
	v_dot2_f32_f16 v6, v54, v42, v6
	;;#ASMEND
	ds_read_b128 v[26:29], v83 offset:176
	ds_read_b128 v[35:38], v73 offset:39088
	;; [unrolled: 1-line block ×6, first 2 shown]
	s_waitcnt lgkmcnt(4)
	;;#ASMSTART
	v_dot2_f32_f16 v1, v26, v35, v1
	;;#ASMEND
	;;#ASMSTART
	v_dot2_f32_f16 v1, v27, v36, v1
	;;#ASMEND
	;;#ASMSTART
	v_dot2_f32_f16 v1, v28, v37, v1
	;;#ASMEND
	;;#ASMSTART
	v_dot2_f32_f16 v1, v29, v38, v1
	;;#ASMEND
	s_waitcnt lgkmcnt(3)
	;;#ASMSTART
	v_dot2_f32_f16 v5, v26, v39, v5
	;;#ASMEND
	;;#ASMSTART
	v_dot2_f32_f16 v5, v27, v40, v5
	;;#ASMEND
	;;#ASMSTART
	v_dot2_f32_f16 v5, v28, v41, v5
	;;#ASMEND
	;;#ASMSTART
	v_dot2_f32_f16 v5, v29, v42, v5
	;;#ASMEND
	;; [unrolled: 13-line block ×3, first 2 shown]
	;;#ASMSTART
	v_dot2_f32_f16 v25, v43, v39, v25
	;;#ASMEND
	;;#ASMSTART
	v_dot2_f32_f16 v25, v44, v40, v25
	;;#ASMEND
	;; [unrolled: 3-line block ×4, first 2 shown]
	s_waitcnt lgkmcnt(1)
	;;#ASMSTART
	v_dot2_f32_f16 v10, v47, v35, v10
	;;#ASMEND
	;;#ASMSTART
	v_dot2_f32_f16 v10, v48, v36, v10
	;;#ASMEND
	;; [unrolled: 3-line block ×8, first 2 shown]
	s_waitcnt lgkmcnt(0)
	;;#ASMSTART
	v_dot2_f32_f16 v9, v51, v35, v9
	;;#ASMEND
	;;#ASMSTART
	v_dot2_f32_f16 v9, v52, v36, v9
	;;#ASMEND
	;; [unrolled: 3-line block ×8, first 2 shown]
	ds_read_b128 v[26:29], v83 offset:192
	ds_read_b128 v[35:38], v73 offset:39104
	;; [unrolled: 1-line block ×6, first 2 shown]
	s_waitcnt lgkmcnt(4)
	;;#ASMSTART
	v_dot2_f32_f16 v1, v26, v35, v1
	;;#ASMEND
	;;#ASMSTART
	v_dot2_f32_f16 v1, v27, v36, v1
	;;#ASMEND
	;;#ASMSTART
	v_dot2_f32_f16 v1, v28, v37, v1
	;;#ASMEND
	;;#ASMSTART
	v_dot2_f32_f16 v1, v29, v38, v1
	;;#ASMEND
	s_waitcnt lgkmcnt(3)
	;;#ASMSTART
	v_dot2_f32_f16 v5, v26, v39, v5
	;;#ASMEND
	;;#ASMSTART
	v_dot2_f32_f16 v5, v27, v40, v5
	;;#ASMEND
	;;#ASMSTART
	v_dot2_f32_f16 v5, v28, v41, v5
	;;#ASMEND
	;;#ASMSTART
	v_dot2_f32_f16 v5, v29, v42, v5
	;;#ASMEND
	;; [unrolled: 13-line block ×3, first 2 shown]
	;;#ASMSTART
	v_dot2_f32_f16 v25, v43, v39, v25
	;;#ASMEND
	;;#ASMSTART
	v_dot2_f32_f16 v25, v44, v40, v25
	;;#ASMEND
	;; [unrolled: 3-line block ×4, first 2 shown]
	s_waitcnt lgkmcnt(1)
	;;#ASMSTART
	v_dot2_f32_f16 v10, v47, v35, v10
	;;#ASMEND
	;;#ASMSTART
	v_dot2_f32_f16 v10, v48, v36, v10
	;;#ASMEND
	;;#ASMSTART
	v_dot2_f32_f16 v10, v49, v37, v10
	;;#ASMEND
	;;#ASMSTART
	v_dot2_f32_f16 v10, v50, v38, v10
	;;#ASMEND
	;;#ASMSTART
	v_dot2_f32_f16 v24, v47, v39, v24
	;;#ASMEND
	;;#ASMSTART
	v_dot2_f32_f16 v24, v48, v40, v24
	;;#ASMEND
	;;#ASMSTART
	v_dot2_f32_f16 v24, v49, v41, v24
	;;#ASMEND
	;;#ASMSTART
	v_dot2_f32_f16 v24, v50, v42, v24
	;;#ASMEND
	s_waitcnt lgkmcnt(0)
	;;#ASMSTART
	v_dot2_f32_f16 v9, v51, v35, v9
	;;#ASMEND
	;;#ASMSTART
	v_dot2_f32_f16 v9, v52, v36, v9
	;;#ASMEND
	;; [unrolled: 3-line block ×8, first 2 shown]
	ds_read_b128 v[26:29], v83 offset:208
	ds_read_b128 v[35:38], v73 offset:39120
	;; [unrolled: 1-line block ×6, first 2 shown]
	s_waitcnt lgkmcnt(4)
	;;#ASMSTART
	v_dot2_f32_f16 v1, v26, v35, v1
	;;#ASMEND
	;;#ASMSTART
	v_dot2_f32_f16 v1, v27, v36, v1
	;;#ASMEND
	;;#ASMSTART
	v_dot2_f32_f16 v1, v28, v37, v1
	;;#ASMEND
	;;#ASMSTART
	v_dot2_f32_f16 v1, v29, v38, v1
	;;#ASMEND
	s_waitcnt lgkmcnt(3)
	;;#ASMSTART
	v_dot2_f32_f16 v5, v26, v39, v5
	;;#ASMEND
	;;#ASMSTART
	v_dot2_f32_f16 v5, v27, v40, v5
	;;#ASMEND
	;;#ASMSTART
	v_dot2_f32_f16 v5, v28, v41, v5
	;;#ASMEND
	;;#ASMSTART
	v_dot2_f32_f16 v5, v29, v42, v5
	;;#ASMEND
	;; [unrolled: 13-line block ×3, first 2 shown]
	;;#ASMSTART
	v_dot2_f32_f16 v25, v43, v39, v25
	;;#ASMEND
	;;#ASMSTART
	v_dot2_f32_f16 v25, v44, v40, v25
	;;#ASMEND
	;; [unrolled: 3-line block ×4, first 2 shown]
	s_waitcnt lgkmcnt(1)
	;;#ASMSTART
	v_dot2_f32_f16 v10, v47, v35, v10
	;;#ASMEND
	;;#ASMSTART
	v_dot2_f32_f16 v10, v48, v36, v10
	;;#ASMEND
	;;#ASMSTART
	v_dot2_f32_f16 v10, v49, v37, v10
	;;#ASMEND
	;;#ASMSTART
	v_dot2_f32_f16 v10, v50, v38, v10
	;;#ASMEND
	;;#ASMSTART
	v_dot2_f32_f16 v24, v47, v39, v24
	;;#ASMEND
	;;#ASMSTART
	v_dot2_f32_f16 v24, v48, v40, v24
	;;#ASMEND
	;;#ASMSTART
	v_dot2_f32_f16 v24, v49, v41, v24
	;;#ASMEND
	;;#ASMSTART
	v_dot2_f32_f16 v24, v50, v42, v24
	;;#ASMEND
	s_waitcnt lgkmcnt(0)
	;;#ASMSTART
	v_dot2_f32_f16 v9, v51, v35, v9
	;;#ASMEND
	;;#ASMSTART
	v_dot2_f32_f16 v9, v52, v36, v9
	;;#ASMEND
	;; [unrolled: 3-line block ×8, first 2 shown]
	ds_read_b128 v[26:29], v83 offset:224
	ds_read_b128 v[35:38], v73 offset:39136
	;; [unrolled: 1-line block ×6, first 2 shown]
	s_waitcnt lgkmcnt(4)
	;;#ASMSTART
	v_dot2_f32_f16 v1, v26, v35, v1
	;;#ASMEND
	;;#ASMSTART
	v_dot2_f32_f16 v1, v27, v36, v1
	;;#ASMEND
	;;#ASMSTART
	v_dot2_f32_f16 v1, v28, v37, v1
	;;#ASMEND
	;;#ASMSTART
	v_dot2_f32_f16 v1, v29, v38, v1
	;;#ASMEND
	s_waitcnt lgkmcnt(3)
	;;#ASMSTART
	v_dot2_f32_f16 v5, v26, v39, v5
	;;#ASMEND
	;;#ASMSTART
	v_dot2_f32_f16 v5, v27, v40, v5
	;;#ASMEND
	;;#ASMSTART
	v_dot2_f32_f16 v5, v28, v41, v5
	;;#ASMEND
	;;#ASMSTART
	v_dot2_f32_f16 v5, v29, v42, v5
	;;#ASMEND
	;; [unrolled: 13-line block ×3, first 2 shown]
	;;#ASMSTART
	v_dot2_f32_f16 v25, v43, v39, v25
	;;#ASMEND
	;;#ASMSTART
	v_dot2_f32_f16 v25, v44, v40, v25
	;;#ASMEND
	;; [unrolled: 3-line block ×4, first 2 shown]
	s_waitcnt lgkmcnt(1)
	;;#ASMSTART
	v_dot2_f32_f16 v10, v47, v35, v10
	;;#ASMEND
	;;#ASMSTART
	v_dot2_f32_f16 v10, v48, v36, v10
	;;#ASMEND
	;; [unrolled: 3-line block ×8, first 2 shown]
	s_waitcnt lgkmcnt(0)
	;;#ASMSTART
	v_dot2_f32_f16 v9, v51, v35, v9
	;;#ASMEND
	;;#ASMSTART
	v_dot2_f32_f16 v9, v52, v36, v9
	;;#ASMEND
	;; [unrolled: 3-line block ×8, first 2 shown]
	ds_read_b128 v[26:29], v83 offset:240
	ds_read_b128 v[35:38], v73 offset:39152
	;; [unrolled: 1-line block ×6, first 2 shown]
	s_waitcnt lgkmcnt(4)
	;;#ASMSTART
	v_dot2_f32_f16 v1, v26, v35, v1
	;;#ASMEND
	;;#ASMSTART
	v_dot2_f32_f16 v1, v27, v36, v1
	;;#ASMEND
	;;#ASMSTART
	v_dot2_f32_f16 v1, v28, v37, v1
	;;#ASMEND
	;;#ASMSTART
	v_dot2_f32_f16 v1, v29, v38, v1
	;;#ASMEND
	s_waitcnt lgkmcnt(3)
	;;#ASMSTART
	v_dot2_f32_f16 v5, v26, v39, v5
	;;#ASMEND
	;;#ASMSTART
	v_dot2_f32_f16 v5, v27, v40, v5
	;;#ASMEND
	;;#ASMSTART
	v_dot2_f32_f16 v5, v28, v41, v5
	;;#ASMEND
	;;#ASMSTART
	v_dot2_f32_f16 v5, v29, v42, v5
	;;#ASMEND
	;; [unrolled: 13-line block ×3, first 2 shown]
	;;#ASMSTART
	v_dot2_f32_f16 v25, v43, v39, v25
	;;#ASMEND
	;;#ASMSTART
	v_dot2_f32_f16 v25, v44, v40, v25
	;;#ASMEND
	;; [unrolled: 3-line block ×4, first 2 shown]
	s_waitcnt lgkmcnt(1)
	;;#ASMSTART
	v_dot2_f32_f16 v10, v47, v35, v10
	;;#ASMEND
	;;#ASMSTART
	v_dot2_f32_f16 v10, v48, v36, v10
	;;#ASMEND
	;; [unrolled: 3-line block ×8, first 2 shown]
	s_waitcnt lgkmcnt(0)
	;;#ASMSTART
	v_dot2_f32_f16 v9, v51, v35, v9
	;;#ASMEND
	v_cmp_ngt_f32_e64 s14, 0x3f200000, |v1|
	;;#ASMSTART
	v_dot2_f32_f16 v9, v52, v36, v9
	;;#ASMEND
	;;#ASMSTART
	v_dot2_f32_f16 v9, v53, v37, v9
	;;#ASMEND
	;; [unrolled: 3-line block ×7, first 2 shown]
	s_and_saveexec_b32 s15, s14
	s_xor_b32 s14, exec_lo, s15
	s_cbranch_execz .LBB88_67
; %bb.66:
	v_add_f32_e64 v2, |v1|, |v1|
	v_mul_f32_e32 v3, 0x3fb8aa3b, v2
	v_cmp_ngt_f32_e32 vcc_lo, 0xc2ce8ed0, v2
	v_rndne_f32_e32 v4, v3
	v_fma_f32 v12, 0x3fb8aa3b, v2, -v3
	v_sub_f32_e32 v3, v3, v4
	v_fmamk_f32 v12, v2, 0x32a5705f, v12
	v_cvt_i32_f32_e32 v4, v4
	v_add_f32_e32 v3, v3, v12
	v_exp_f32_e32 v3, v3
	v_ldexp_f32 v3, v3, v4
	v_cndmask_b32_e32 v3, 0, v3, vcc_lo
	v_cmp_nlt_f32_e32 vcc_lo, 0x42b17218, v2
	v_cndmask_b32_e32 v2, 0x7f800000, v3, vcc_lo
	v_add_f32_e32 v2, 1.0, v2
	v_rcp_f32_e32 v2, v2
	v_fma_f32 v2, v2, -2.0, 1.0
.LBB88_67:
	s_andn2_saveexec_b32 s14, s14
	s_cbranch_execz .LBB88_69
; %bb.68:
	v_mul_f32_e32 v2, v1, v1
	s_mov_b32 s15, 0xbbbac73d
	v_fmaak_f32 v3, s15, v2, 0x3ca908c9
	v_fmaak_f32 v3, v2, v3, 0xbd5c1c4e
	;; [unrolled: 1-line block ×4, first 2 shown]
	v_mul_f32_e64 v3, |v1|, v3
	v_fma_f32 v2, v2, v3, |v1|
.LBB88_69:
	s_or_b32 exec_lo, exec_lo, s14
	v_bfi_b32 v1, 0x7fffffff, v2, v1
	s_cmp_lg_u64 s[46:47], 0
	v_mad_u64_u32 v[3:4], null, v82, s22, s[18:19]
	s_cselect_b32 s16, -1, 0
	v_mul_f32_e32 v30, s19, v1
	v_mov_b32_e32 v1, v33
	v_cmp_gt_i32_e64 s14, s39, v0
	v_cndmask_b32_e64 v32, 0, 1, s16
	v_mov_b32_e32 v2, v34
	s_and_saveexec_b32 s15, s14
	s_cbranch_execz .LBB88_74
; %bb.70:
	s_andn2_b32 vcc_lo, exec_lo, s16
	s_cbranch_vccnz .LBB88_72
; %bb.71:
	v_add_nc_u32_e32 v1, v3, v0
	v_ashrrev_i32_e32 v2, 31, v1
	v_lshlrev_b64 v[1:2], 1, v[1:2]
	v_add_co_u32 v1, vcc_lo, s46, v1
	v_add_co_ci_u32_e64 v2, null, s47, v2, vcc_lo
	global_load_ushort v1, v[1:2], off
	s_waitcnt vmcnt(0)
	v_cvt_f32_f16_e32 v1, v1
	v_mul_f32_e32 v1, v79, v1
	s_branch .LBB88_73
.LBB88_72:
	v_mov_b32_e32 v1, 0
.LBB88_73:
	v_add_f32_e32 v30, v30, v1
	v_max_f32_e32 v1, v33, v33
	v_add_f32_e32 v2, 0x40051340, v30
	v_max_f32_e32 v1, v1, v2
	v_mov_b32_e32 v2, v34
.LBB88_74:
	s_or_b32 exec_lo, exec_lo, s15
	v_cmp_ngt_f32_e64 s15, 0x3f200000, |v11|
                                        ; implicit-def: $vgpr4
	s_and_saveexec_b32 s16, s15
	s_xor_b32 s15, exec_lo, s16
	s_cbranch_execz .LBB88_76
; %bb.75:
	v_add_f32_e64 v4, |v11|, |v11|
	v_mul_f32_e32 v12, 0x3fb8aa3b, v4
	v_cmp_ngt_f32_e32 vcc_lo, 0xc2ce8ed0, v4
	v_rndne_f32_e32 v13, v12
	v_fma_f32 v14, 0x3fb8aa3b, v4, -v12
	v_sub_f32_e32 v12, v12, v13
	v_fmamk_f32 v14, v4, 0x32a5705f, v14
	v_cvt_i32_f32_e32 v13, v13
	v_add_f32_e32 v12, v12, v14
	v_exp_f32_e32 v12, v12
	v_ldexp_f32 v12, v12, v13
	v_cndmask_b32_e32 v12, 0, v12, vcc_lo
	v_cmp_nlt_f32_e32 vcc_lo, 0x42b17218, v4
	v_cndmask_b32_e32 v4, 0x7f800000, v12, vcc_lo
	v_add_f32_e32 v4, 1.0, v4
	v_rcp_f32_e32 v4, v4
	v_fma_f32 v4, v4, -2.0, 1.0
.LBB88_76:
	s_andn2_saveexec_b32 s15, s15
	s_cbranch_execz .LBB88_78
; %bb.77:
	v_mul_f32_e32 v4, v11, v11
	s_mov_b32 s16, 0xbbbac73d
	v_fmaak_f32 v12, s16, v4, 0x3ca908c9
	v_fmaak_f32 v12, v4, v12, 0xbd5c1c4e
	;; [unrolled: 1-line block ×4, first 2 shown]
	v_mul_f32_e64 v12, |v11|, v12
	v_fma_f32 v4, v4, v12, |v11|
.LBB88_78:
	s_or_b32 exec_lo, exec_lo, s15
	v_bfi_b32 v4, 0x7fffffff, v4, v11
	v_add_nc_u32_e32 v26, 32, v0
	v_mul_f32_e32 v31, s19, v4
	v_cmp_gt_i32_e64 s15, s39, v26
	s_and_saveexec_b32 s16, s15
	s_cbranch_execz .LBB88_83
; %bb.79:
	v_cmp_ne_u32_e32 vcc_lo, 1, v32
	s_cbranch_vccnz .LBB88_81
; %bb.80:
	v_ashrrev_i32_e32 v4, 31, v3
	v_add_co_u32 v11, vcc_lo, v3, v0
	v_add_co_ci_u32_e64 v12, null, 0, v4, vcc_lo
	v_lshlrev_b64 v[11:12], 1, v[11:12]
	v_add_co_u32 v11, vcc_lo, s46, v11
	v_add_co_ci_u32_e64 v12, null, s47, v12, vcc_lo
	global_load_ushort v4, v[11:12], off offset:64
	s_waitcnt vmcnt(0)
	v_cvt_f32_f16_e32 v4, v4
	v_mul_f32_e32 v4, v79, v4
	s_branch .LBB88_82
.LBB88_81:
	v_mov_b32_e32 v4, 0
.LBB88_82:
	v_add_f32_e32 v31, v31, v4
	v_max_f32_e32 v1, v1, v1
	v_add_f32_e32 v4, 0x40051340, v31
	v_max_f32_e32 v1, v1, v4
.LBB88_83:
	s_or_b32 exec_lo, exec_lo, s16
	v_cmp_ngt_f32_e64 s16, 0x3f200000, |v10|
                                        ; implicit-def: $vgpr4
	s_and_saveexec_b32 s17, s16
	s_xor_b32 s16, exec_lo, s17
	s_cbranch_execz .LBB88_85
; %bb.84:
	v_add_f32_e64 v4, |v10|, |v10|
	v_mul_f32_e32 v11, 0x3fb8aa3b, v4
	v_cmp_ngt_f32_e32 vcc_lo, 0xc2ce8ed0, v4
	v_rndne_f32_e32 v12, v11
	v_fma_f32 v13, 0x3fb8aa3b, v4, -v11
	v_sub_f32_e32 v11, v11, v12
	v_fmamk_f32 v13, v4, 0x32a5705f, v13
	v_cvt_i32_f32_e32 v12, v12
	v_add_f32_e32 v11, v11, v13
	v_exp_f32_e32 v11, v11
	v_ldexp_f32 v11, v11, v12
	v_cndmask_b32_e32 v11, 0, v11, vcc_lo
	v_cmp_nlt_f32_e32 vcc_lo, 0x42b17218, v4
	v_cndmask_b32_e32 v4, 0x7f800000, v11, vcc_lo
	v_add_f32_e32 v4, 1.0, v4
	v_rcp_f32_e32 v4, v4
	v_fma_f32 v4, v4, -2.0, 1.0
.LBB88_85:
	s_andn2_saveexec_b32 s16, s16
	s_cbranch_execz .LBB88_87
; %bb.86:
	v_mul_f32_e32 v4, v10, v10
	s_mov_b32 s17, 0xbbbac73d
	v_fmaak_f32 v11, s17, v4, 0x3ca908c9
	v_fmaak_f32 v11, v4, v11, 0xbd5c1c4e
	;; [unrolled: 1-line block ×4, first 2 shown]
	v_mul_f32_e64 v11, |v10|, v11
	v_fma_f32 v4, v4, v11, |v10|
.LBB88_87:
	s_or_b32 exec_lo, exec_lo, s16
	v_bfi_b32 v4, 0x7fffffff, v4, v10
	v_add_nc_u32_e32 v27, 64, v0
	v_mul_f32_e32 v36, s19, v4
	v_cmp_gt_i32_e64 s16, s39, v27
	s_and_saveexec_b32 s17, s16
	s_cbranch_execz .LBB88_92
; %bb.88:
	v_cmp_ne_u32_e32 vcc_lo, 1, v32
	s_cbranch_vccnz .LBB88_90
; %bb.89:
	v_ashrrev_i32_e32 v4, 31, v3
	v_add_co_u32 v10, vcc_lo, v3, v0
	v_add_co_ci_u32_e64 v11, null, 0, v4, vcc_lo
	v_lshlrev_b64 v[10:11], 1, v[10:11]
	v_add_co_u32 v10, vcc_lo, s46, v10
	v_add_co_ci_u32_e64 v11, null, s47, v11, vcc_lo
	global_load_ushort v4, v[10:11], off offset:128
	s_waitcnt vmcnt(0)
	v_cvt_f32_f16_e32 v4, v4
	v_mul_f32_e32 v4, v79, v4
	s_branch .LBB88_91
.LBB88_90:
	v_mov_b32_e32 v4, 0
.LBB88_91:
	v_add_f32_e32 v36, v36, v4
	v_max_f32_e32 v1, v1, v1
	v_add_f32_e32 v4, 0x40051340, v36
	v_max_f32_e32 v1, v1, v4
.LBB88_92:
	s_or_b32 exec_lo, exec_lo, s17
	v_cmp_ngt_f32_e64 s17, 0x3f200000, |v9|
                                        ; implicit-def: $vgpr4
	s_and_saveexec_b32 s23, s17
	s_xor_b32 s17, exec_lo, s23
	s_cbranch_execz .LBB88_94
; %bb.93:
	v_add_f32_e64 v4, |v9|, |v9|
	v_mul_f32_e32 v10, 0x3fb8aa3b, v4
	v_cmp_ngt_f32_e32 vcc_lo, 0xc2ce8ed0, v4
	v_rndne_f32_e32 v11, v10
	v_fma_f32 v12, 0x3fb8aa3b, v4, -v10
	v_sub_f32_e32 v10, v10, v11
	v_fmamk_f32 v12, v4, 0x32a5705f, v12
	v_cvt_i32_f32_e32 v11, v11
	v_add_f32_e32 v10, v10, v12
	v_exp_f32_e32 v10, v10
	v_ldexp_f32 v10, v10, v11
	v_cndmask_b32_e32 v10, 0, v10, vcc_lo
	v_cmp_nlt_f32_e32 vcc_lo, 0x42b17218, v4
	v_cndmask_b32_e32 v4, 0x7f800000, v10, vcc_lo
	v_add_f32_e32 v4, 1.0, v4
	v_rcp_f32_e32 v4, v4
	v_fma_f32 v4, v4, -2.0, 1.0
.LBB88_94:
	s_andn2_saveexec_b32 s17, s17
	s_cbranch_execz .LBB88_96
; %bb.95:
	v_mul_f32_e32 v4, v9, v9
	s_mov_b32 s23, 0xbbbac73d
	v_fmaak_f32 v10, s23, v4, 0x3ca908c9
	v_fmaak_f32 v10, v4, v10, 0xbd5c1c4e
	;; [unrolled: 1-line block ×4, first 2 shown]
	v_mul_f32_e64 v10, |v9|, v10
	v_fma_f32 v4, v4, v10, |v9|
.LBB88_96:
	s_or_b32 exec_lo, exec_lo, s17
	v_bfi_b32 v4, 0x7fffffff, v4, v9
	v_add_nc_u32_e32 v28, 0x60, v0
	v_mul_f32_e32 v37, s19, v4
	v_cmp_gt_i32_e64 s17, s39, v28
	s_and_saveexec_b32 s23, s17
	s_cbranch_execz .LBB88_101
; %bb.97:
	v_cmp_ne_u32_e32 vcc_lo, 1, v32
	s_cbranch_vccnz .LBB88_99
; %bb.98:
	v_ashrrev_i32_e32 v4, 31, v3
	v_add_co_u32 v3, vcc_lo, v3, v0
	v_add_co_ci_u32_e64 v4, null, 0, v4, vcc_lo
	v_lshlrev_b64 v[3:4], 1, v[3:4]
	v_add_co_u32 v3, vcc_lo, s46, v3
	v_add_co_ci_u32_e64 v4, null, s47, v4, vcc_lo
	global_load_ushort v3, v[3:4], off offset:192
	s_waitcnt vmcnt(0)
	v_cvt_f32_f16_e32 v3, v3
	v_mul_f32_e32 v3, v79, v3
	s_branch .LBB88_100
.LBB88_99:
	v_mov_b32_e32 v3, 0
.LBB88_100:
	v_add_f32_e32 v37, v37, v3
	v_max_f32_e32 v1, v1, v1
	v_add_f32_e32 v3, 0x40051340, v37
	v_max_f32_e32 v1, v1, v3
.LBB88_101:
	s_or_b32 exec_lo, exec_lo, s23
	v_xor_b32_e32 v10, 16, v72
	v_xor_b32_e32 v9, 8, v72
	;; [unrolled: 1-line block ×5, first 2 shown]
	v_cmp_gt_i32_e32 vcc_lo, 32, v10
	v_cmp_ngt_f32_e64 s23, 0x3f200000, |v5|
                                        ; implicit-def: $vgpr35
	v_cndmask_b32_e32 v3, v72, v10, vcc_lo
	v_cmp_gt_i32_e32 vcc_lo, 32, v9
	v_lshlrev_b32_e32 v39, 2, v3
	v_cndmask_b32_e32 v4, v72, v9, vcc_lo
	v_cmp_gt_i32_e32 vcc_lo, 32, v11
	ds_bpermute_b32 v3, v39, v1
	v_max_f32_e32 v1, v1, v1
	v_lshlrev_b32_e32 v40, 2, v4
	v_cndmask_b32_e32 v4, v72, v11, vcc_lo
	v_cmp_gt_i32_e32 vcc_lo, 32, v13
	v_lshlrev_b32_e32 v38, 2, v4
	v_cndmask_b32_e32 v4, v72, v13, vcc_lo
	v_cmp_gt_i32_e32 vcc_lo, 32, v14
	v_lshlrev_b32_e32 v29, 2, v4
	v_cndmask_b32_e32 v4, v72, v14, vcc_lo
	s_waitcnt lgkmcnt(0)
	v_max_f32_e32 v3, v3, v3
	v_max_f32_e32 v1, v1, v3
	ds_bpermute_b32 v3, v40, v1
	s_waitcnt lgkmcnt(0)
	v_max_f32_e32 v3, v3, v3
	v_max_f32_e32 v1, v1, v3
	ds_bpermute_b32 v3, v38, v1
	;; [unrolled: 4-line block ×3, first 2 shown]
	s_waitcnt lgkmcnt(0)
	v_max_f32_e32 v12, v1, v1
	v_lshlrev_b32_e32 v1, 2, v4
	v_max_f32_e32 v3, v3, v12
	v_mov_b32_e32 v12, 32
	ds_bpermute_b32 v4, v1, v3
	s_and_saveexec_b32 s40, s23
	s_xor_b32 s23, exec_lo, s40
	s_cbranch_execz .LBB88_103
; %bb.102:
	v_add_f32_e64 v35, |v5|, |v5|
	v_mul_f32_e32 v41, 0x3fb8aa3b, v35
	v_cmp_ngt_f32_e32 vcc_lo, 0xc2ce8ed0, v35
	v_rndne_f32_e32 v42, v41
	v_fma_f32 v43, 0x3fb8aa3b, v35, -v41
	v_sub_f32_e32 v41, v41, v42
	v_fmamk_f32 v43, v35, 0x32a5705f, v43
	v_cvt_i32_f32_e32 v42, v42
	v_add_f32_e32 v41, v41, v43
	v_exp_f32_e32 v41, v41
	v_ldexp_f32 v41, v41, v42
	v_cndmask_b32_e32 v41, 0, v41, vcc_lo
	v_cmp_nlt_f32_e32 vcc_lo, 0x42b17218, v35
	v_cndmask_b32_e32 v35, 0x7f800000, v41, vcc_lo
	v_add_f32_e32 v35, 1.0, v35
	v_rcp_f32_e32 v35, v35
	v_fma_f32 v35, v35, -2.0, 1.0
.LBB88_103:
	s_andn2_saveexec_b32 s23, s23
	s_cbranch_execz .LBB88_105
; %bb.104:
	v_mul_f32_e32 v35, v5, v5
	s_mov_b32 s40, 0xbbbac73d
	v_fmaak_f32 v41, s40, v35, 0x3ca908c9
	v_fmaak_f32 v41, v35, v41, 0xbd5c1c4e
	v_fmaak_f32 v41, v35, v41, 0x3e088382
	v_fmaak_f32 v41, v35, v41, 0xbeaaaa99
	v_mul_f32_e64 v41, |v5|, v41
	v_fma_f32 v35, v35, v41, |v5|
.LBB88_105:
	s_or_b32 exec_lo, exec_lo, s23
	v_mul_hi_u32 v41, s28, v81
	s_waitcnt lgkmcnt(0)
	v_max_f32_e32 v42, v4, v4
	v_max_f32_e32 v43, v3, v3
	v_bfi_b32 v35, 0x7fffffff, v35, v5
	v_max_f32_e32 v5, v43, v42
	v_add_nc_u32_e32 v41, v81, v41
	v_lshrrev_b32_e32 v41, s29, v41
	v_mul_lo_u32 v41, v41, s30
	v_sub_nc_u32_e32 v41, v81, v41
	v_mad_u64_u32 v[3:4], null, v41, s22, s[18:19]
	v_mul_f32_e32 v4, s19, v35
	s_and_saveexec_b32 s22, s14
	s_cbranch_execz .LBB88_110
; %bb.106:
	v_cmp_ne_u32_e32 vcc_lo, 1, v32
	s_cbranch_vccnz .LBB88_108
; %bb.107:
	v_add_nc_u32_e32 v41, v3, v0
	v_ashrrev_i32_e32 v42, 31, v41
	v_lshlrev_b64 v[41:42], 1, v[41:42]
	v_add_co_u32 v41, vcc_lo, s46, v41
	v_add_co_ci_u32_e64 v42, null, s47, v42, vcc_lo
	global_load_ushort v35, v[41:42], off
	s_waitcnt vmcnt(0)
	v_cvt_f32_f16_e32 v35, v35
	v_mul_f32_e32 v35, v79, v35
	s_branch .LBB88_109
.LBB88_108:
	v_mov_b32_e32 v35, 0
.LBB88_109:
	v_add_f32_e32 v4, v4, v35
	v_max_f32_e32 v2, v2, v2
	v_add_f32_e32 v35, 0x40051340, v4
	v_max_f32_e32 v2, v2, v35
.LBB88_110:
	s_or_b32 exec_lo, exec_lo, s22
	v_cmp_ngt_f32_e64 s14, 0x3f200000, |v25|
                                        ; implicit-def: $vgpr35
	s_and_saveexec_b32 s22, s14
	s_xor_b32 s14, exec_lo, s22
	s_cbranch_execz .LBB88_112
; %bb.111:
	v_add_f32_e64 v35, |v25|, |v25|
	v_mul_f32_e32 v41, 0x3fb8aa3b, v35
	v_cmp_ngt_f32_e32 vcc_lo, 0xc2ce8ed0, v35
	v_rndne_f32_e32 v42, v41
	v_fma_f32 v43, 0x3fb8aa3b, v35, -v41
	v_sub_f32_e32 v41, v41, v42
	v_fmamk_f32 v43, v35, 0x32a5705f, v43
	v_cvt_i32_f32_e32 v42, v42
	v_add_f32_e32 v41, v41, v43
	v_exp_f32_e32 v41, v41
	v_ldexp_f32 v41, v41, v42
	v_cndmask_b32_e32 v41, 0, v41, vcc_lo
	v_cmp_nlt_f32_e32 vcc_lo, 0x42b17218, v35
	v_cndmask_b32_e32 v35, 0x7f800000, v41, vcc_lo
	v_add_f32_e32 v35, 1.0, v35
	v_rcp_f32_e32 v35, v35
	v_fma_f32 v35, v35, -2.0, 1.0
.LBB88_112:
	s_andn2_saveexec_b32 s14, s14
	s_cbranch_execz .LBB88_114
; %bb.113:
	v_mul_f32_e32 v35, v25, v25
	s_mov_b32 s22, 0xbbbac73d
	v_fmaak_f32 v41, s22, v35, 0x3ca908c9
	v_fmaak_f32 v41, v35, v41, 0xbd5c1c4e
	;; [unrolled: 1-line block ×4, first 2 shown]
	v_mul_f32_e64 v41, |v25|, v41
	v_fma_f32 v35, v35, v41, |v25|
.LBB88_114:
	s_or_b32 exec_lo, exec_lo, s14
	v_bfi_b32 v25, 0x7fffffff, v35, v25
	v_mul_f32_e32 v25, s19, v25
	s_and_saveexec_b32 s14, s15
	s_cbranch_execz .LBB88_119
; %bb.115:
	v_cmp_ne_u32_e32 vcc_lo, 1, v32
	s_cbranch_vccnz .LBB88_117
; %bb.116:
	v_ashrrev_i32_e32 v35, 31, v3
	v_add_co_u32 v41, vcc_lo, v3, v0
	v_add_co_ci_u32_e64 v42, null, 0, v35, vcc_lo
	v_lshlrev_b64 v[41:42], 1, v[41:42]
	v_add_co_u32 v41, vcc_lo, s46, v41
	v_add_co_ci_u32_e64 v42, null, s47, v42, vcc_lo
	global_load_ushort v35, v[41:42], off offset:64
	s_waitcnt vmcnt(0)
	v_cvt_f32_f16_e32 v35, v35
	v_mul_f32_e32 v35, v79, v35
	s_branch .LBB88_118
.LBB88_117:
	v_mov_b32_e32 v35, 0
.LBB88_118:
	v_add_f32_e32 v25, v25, v35
	v_max_f32_e32 v2, v2, v2
	v_add_f32_e32 v35, 0x40051340, v25
	v_max_f32_e32 v2, v2, v35
.LBB88_119:
	s_or_b32 exec_lo, exec_lo, s14
	v_cmp_ngt_f32_e64 s14, 0x3f200000, |v24|
                                        ; implicit-def: $vgpr35
	s_and_saveexec_b32 s15, s14
	s_xor_b32 s14, exec_lo, s15
	s_cbranch_execz .LBB88_121
; %bb.120:
	v_add_f32_e64 v35, |v24|, |v24|
	v_mul_f32_e32 v41, 0x3fb8aa3b, v35
	v_cmp_ngt_f32_e32 vcc_lo, 0xc2ce8ed0, v35
	v_rndne_f32_e32 v42, v41
	v_fma_f32 v43, 0x3fb8aa3b, v35, -v41
	v_sub_f32_e32 v41, v41, v42
	v_fmamk_f32 v43, v35, 0x32a5705f, v43
	v_cvt_i32_f32_e32 v42, v42
	v_add_f32_e32 v41, v41, v43
	v_exp_f32_e32 v41, v41
	v_ldexp_f32 v41, v41, v42
	v_cndmask_b32_e32 v41, 0, v41, vcc_lo
	v_cmp_nlt_f32_e32 vcc_lo, 0x42b17218, v35
	v_cndmask_b32_e32 v35, 0x7f800000, v41, vcc_lo
	v_add_f32_e32 v35, 1.0, v35
	v_rcp_f32_e32 v35, v35
	v_fma_f32 v35, v35, -2.0, 1.0
.LBB88_121:
	s_andn2_saveexec_b32 s14, s14
	s_cbranch_execz .LBB88_123
; %bb.122:
	v_mul_f32_e32 v35, v24, v24
	s_mov_b32 s15, 0xbbbac73d
	v_fmaak_f32 v41, s15, v35, 0x3ca908c9
	v_fmaak_f32 v41, v35, v41, 0xbd5c1c4e
	;; [unrolled: 1-line block ×4, first 2 shown]
	v_mul_f32_e64 v41, |v24|, v41
	v_fma_f32 v35, v35, v41, |v24|
.LBB88_123:
	s_or_b32 exec_lo, exec_lo, s14
	v_bfi_b32 v24, 0x7fffffff, v35, v24
	v_mul_f32_e32 v24, s19, v24
	s_and_saveexec_b32 s14, s16
	s_cbranch_execz .LBB88_128
; %bb.124:
	v_cmp_ne_u32_e32 vcc_lo, 1, v32
	s_cbranch_vccnz .LBB88_126
; %bb.125:
	v_ashrrev_i32_e32 v35, 31, v3
	v_add_co_u32 v41, vcc_lo, v3, v0
	v_add_co_ci_u32_e64 v42, null, 0, v35, vcc_lo
	v_lshlrev_b64 v[41:42], 1, v[41:42]
	v_add_co_u32 v41, vcc_lo, s46, v41
	v_add_co_ci_u32_e64 v42, null, s47, v42, vcc_lo
	global_load_ushort v35, v[41:42], off offset:128
	s_waitcnt vmcnt(0)
	v_cvt_f32_f16_e32 v35, v35
	v_mul_f32_e32 v35, v79, v35
	s_branch .LBB88_127
.LBB88_126:
	v_mov_b32_e32 v35, 0
.LBB88_127:
	v_add_f32_e32 v24, v24, v35
	v_max_f32_e32 v2, v2, v2
	v_add_f32_e32 v35, 0x40051340, v24
	v_max_f32_e32 v2, v2, v35
.LBB88_128:
	s_or_b32 exec_lo, exec_lo, s14
	v_cmp_ngt_f32_e64 s14, 0x3f200000, |v6|
                                        ; implicit-def: $vgpr35
	s_and_saveexec_b32 s15, s14
	s_xor_b32 s14, exec_lo, s15
	s_cbranch_execz .LBB88_130
; %bb.129:
	v_add_f32_e64 v35, |v6|, |v6|
	v_mul_f32_e32 v41, 0x3fb8aa3b, v35
	v_cmp_ngt_f32_e32 vcc_lo, 0xc2ce8ed0, v35
	v_rndne_f32_e32 v42, v41
	v_fma_f32 v43, 0x3fb8aa3b, v35, -v41
	v_sub_f32_e32 v41, v41, v42
	v_fmamk_f32 v43, v35, 0x32a5705f, v43
	v_cvt_i32_f32_e32 v42, v42
	v_add_f32_e32 v41, v41, v43
	v_exp_f32_e32 v41, v41
	v_ldexp_f32 v41, v41, v42
	v_cndmask_b32_e32 v41, 0, v41, vcc_lo
	v_cmp_nlt_f32_e32 vcc_lo, 0x42b17218, v35
	v_cndmask_b32_e32 v35, 0x7f800000, v41, vcc_lo
	v_add_f32_e32 v35, 1.0, v35
	v_rcp_f32_e32 v35, v35
	v_fma_f32 v35, v35, -2.0, 1.0
.LBB88_130:
	s_andn2_saveexec_b32 s14, s14
	s_cbranch_execz .LBB88_132
; %bb.131:
	v_mul_f32_e32 v35, v6, v6
	s_mov_b32 s15, 0xbbbac73d
	v_fmaak_f32 v41, s15, v35, 0x3ca908c9
	v_fmaak_f32 v41, v35, v41, 0xbd5c1c4e
	;; [unrolled: 1-line block ×4, first 2 shown]
	v_mul_f32_e64 v41, |v6|, v41
	v_fma_f32 v35, v35, v41, |v6|
.LBB88_132:
	s_or_b32 exec_lo, exec_lo, s14
	v_bfi_b32 v6, 0x7fffffff, v35, v6
	v_mul_f32_e32 v35, s19, v6
	s_and_saveexec_b32 s14, s17
	s_cbranch_execz .LBB88_137
; %bb.133:
	v_cmp_ne_u32_e32 vcc_lo, 1, v32
	s_cbranch_vccnz .LBB88_135
; %bb.134:
	v_ashrrev_i32_e32 v6, 31, v3
	v_add_co_u32 v41, vcc_lo, v3, v0
	v_add_co_ci_u32_e64 v42, null, 0, v6, vcc_lo
	v_lshlrev_b64 v[41:42], 1, v[41:42]
	v_add_co_u32 v41, vcc_lo, s46, v41
	v_add_co_ci_u32_e64 v42, null, s47, v42, vcc_lo
	global_load_ushort v3, v[41:42], off offset:192
	s_waitcnt vmcnt(0)
	v_cvt_f32_f16_e32 v3, v3
	v_mul_f32_e32 v3, v79, v3
	s_branch .LBB88_136
.LBB88_135:
	v_mov_b32_e32 v3, 0
.LBB88_136:
	v_add_f32_e32 v35, v35, v3
	v_max_f32_e32 v2, v2, v2
	v_add_f32_e32 v3, 0x40051340, v35
	v_max_f32_e32 v2, v2, v3
.LBB88_137:
	s_or_b32 exec_lo, exec_lo, s14
	ds_bpermute_b32 v3, v39, v2
	v_max_f32_e32 v2, v2, v2
	v_sub_f32_e32 v6, v31, v5
	v_sub_f32_e32 v31, v36, v5
	s_mul_hi_i32 s15, s18, s36
	s_mul_i32 s14, s18, s36
	v_lshl_add_u32 v32, v26, 2, v80
	v_mul_f32_e32 v44, 0x3fb8aa3b, v6
	v_mul_f32_e32 v45, 0x3fb8aa3b, v31
	s_lshl_b64 s[14:15], s[14:15], 2
	v_lshl_add_u32 v36, v27, 2, v80
	s_add_u32 s18, s38, s14
	v_fma_f32 v49, 0x3fb8aa3b, v6, -v44
	v_rndne_f32_e32 v50, v44
	v_fma_f32 v51, 0x3fb8aa3b, v31, -v45
	v_rndne_f32_e32 v52, v45
	s_addc_u32 s19, s37, s15
	v_fmac_f32_e32 v49, 0x32a5705f, v6
	v_sub_f32_e32 v44, v44, v50
	v_fmac_f32_e32 v51, 0x32a5705f, v31
	s_waitcnt lgkmcnt(0)
	v_max_f32_e32 v3, v3, v3
	v_sub_f32_e32 v45, v45, v52
	v_cvt_i32_f32_e32 v50, v50
	v_add_f32_e32 v44, v44, v49
	v_cvt_i32_f32_e32 v52, v52
	v_max_f32_e32 v2, v2, v3
	v_add_f32_e32 v45, v45, v51
	v_cmp_gt_u32_e64 s14, s39, v26
	v_cmp_gt_u32_e64 s15, s39, v27
	;; [unrolled: 1-line block ×3, first 2 shown]
	ds_bpermute_b32 v3, v40, v2
	v_mul_lo_u32 v40, s36, v20
	s_mov_b64 s[22:23], src_private_base
	s_waitcnt lgkmcnt(0)
	s_barrier
	buffer_gl0_inv
	v_lshl_or_b32 v20, v20, 8, v15
	v_lshl_or_b32 v19, v19, 8, v15
	;; [unrolled: 1-line block ×4, first 2 shown]
	v_max_f32_e32 v3, v3, v3
	v_max_f32_e32 v39, v2, v3
	v_add_nc_u32_e32 v3, v80, v71
	v_mov_b32_e32 v2, 0
	buffer_store_dword v2, off, s[0:3], 0
	buffer_store_dword v2, off, s[0:3], 0 offset:4
	ds_bpermute_b32 v41, v38, v39
	v_sub_f32_e32 v38, v30, v5
	v_sub_f32_e32 v30, v37, v5
	v_lshl_add_u32 v37, v28, 2, v80
	buffer_store_dword v2, off, s[0:3], 0 offset:8
	buffer_store_dword v2, off, s[0:3], 0 offset:12
	v_mul_f32_e32 v43, 0x3fb8aa3b, v38
	v_mul_f32_e32 v46, 0x3fb8aa3b, v30
	v_fma_f32 v47, 0x3fb8aa3b, v38, -v43
	v_rndne_f32_e32 v48, v43
	v_fma_f32 v53, 0x3fb8aa3b, v30, -v46
	v_rndne_f32_e32 v54, v46
	v_fmac_f32_e32 v47, 0x32a5705f, v38
	v_sub_f32_e32 v43, v43, v48
	v_cvt_i32_f32_e32 v48, v48
	v_fmac_f32_e32 v53, 0x32a5705f, v30
	s_waitcnt lgkmcnt(0)
	v_max_f32_e32 v41, v41, v41
	v_sub_f32_e32 v46, v46, v54
	v_add_f32_e32 v43, v43, v47
	v_max_f32_e32 v39, v39, v41
	v_ashrrev_i32_e32 v41, 31, v40
	v_add_f32_e32 v46, v46, v53
	ds_bpermute_b32 v29, v29, v39
	v_lshlrev_b64 v[41:42], 2, v[40:41]
	v_add_co_u32 v41, vcc_lo, s18, v41
	v_add_co_ci_u32_e64 v42, null, s19, v42, vcc_lo
	v_add_co_u32 v41, vcc_lo, v41, v15
	v_add_co_ci_u32_e64 v42, null, 0, v42, vcc_lo
	v_cmp_ngt_f32_e32 vcc_lo, 0xc2ce8ed0, v38
	s_waitcnt lgkmcnt(0)
	v_max_f32_e32 v29, v29, v29
	v_max_f32_e32 v29, v39, v29
	v_exp_f32_e32 v39, v43
	v_exp_f32_e32 v43, v44
	;; [unrolled: 1-line block ×4, first 2 shown]
	ds_bpermute_b32 v1, v1, v29
	v_cvt_i32_f32_e32 v46, v54
	v_ldexp_f32 v39, v39, v48
	v_ldexp_f32 v43, v43, v50
	;; [unrolled: 1-line block ×4, first 2 shown]
	v_cndmask_b32_e32 v39, 0, v39, vcc_lo
	v_cmp_ngt_f32_e32 vcc_lo, 0xc2ce8ed0, v6
	v_cndmask_b32_e32 v43, 0, v43, vcc_lo
	v_cmp_ngt_f32_e32 vcc_lo, 0xc2ce8ed0, v31
	s_waitcnt lgkmcnt(0)
	v_max_f32_e32 v1, v1, v1
	v_cndmask_b32_e32 v44, 0, v44, vcc_lo
	v_cmp_ngt_f32_e32 vcc_lo, 0xc2ce8ed0, v30
	v_cndmask_b32_e32 v45, 0, v45, vcc_lo
	v_cmp_nlt_f32_e32 vcc_lo, 0x42b17218, v38
	v_cndmask_b32_e32 v38, 0x7f800000, v39, vcc_lo
	v_cmp_nlt_f32_e32 vcc_lo, 0x42b17218, v6
	v_max_f32_e32 v6, v29, v1
	v_cndmask_b32_e32 v39, 0x7f800000, v43, vcc_lo
	v_cmp_nlt_f32_e32 vcc_lo, 0x42b17218, v31
	v_sub_f32_e32 v4, v4, v6
	v_sub_f32_e32 v35, v35, v6
	;; [unrolled: 1-line block ×3, first 2 shown]
	v_cndmask_b32_e64 v31, 0, v39, s14
	v_cndmask_b32_e32 v1, 0x7f800000, v44, vcc_lo
	v_cmp_nlt_f32_e32 vcc_lo, 0x42b17218, v30
	v_mul_f32_e32 v43, 0x3fb8aa3b, v35
	v_mul_f32_e32 v39, 0x3fb8aa3b, v24
	v_cmp_ngt_f32_e64 s17, 0xc2ce8ed0, v4
	v_cndmask_b32_e64 v27, 0, v1, s15
	v_cndmask_b32_e32 v29, 0x7f800000, v45, vcc_lo
	v_cmp_gt_u32_e32 vcc_lo, s39, v0
	v_fma_f32 v50, 0x3fb8aa3b, v35, -v43
	v_rndne_f32_e32 v51, v43
	v_fma_f32 v48, 0x3fb8aa3b, v24, -v39
	v_rndne_f32_e32 v49, v39
	v_cndmask_b32_e32 v30, 0, v38, vcc_lo
	v_sub_f32_e32 v38, v25, v6
	v_mul_f32_e32 v25, 0x3fb8aa3b, v4
	v_fmac_f32_e32 v50, 0x32a5705f, v35
	v_sub_f32_e32 v43, v43, v51
	v_fmac_f32_e32 v48, 0x32a5705f, v24
	v_mul_f32_e32 v26, 0x3fb8aa3b, v38
	v_fma_f32 v44, 0x3fb8aa3b, v4, -v25
	v_rndne_f32_e32 v45, v25
	v_sub_f32_e32 v39, v39, v49
	v_add_f32_e32 v43, v43, v50
	v_fma_f32 v46, 0x3fb8aa3b, v38, -v26
	v_rndne_f32_e32 v47, v26
	v_fmac_f32_e32 v44, 0x32a5705f, v4
	v_sub_f32_e32 v25, v25, v45
	v_add_f32_e32 v39, v39, v48
	v_fmac_f32_e32 v46, 0x32a5705f, v38
	v_sub_f32_e32 v26, v26, v47
	v_add_f32_e32 v1, v25, v44
	v_cndmask_b32_e64 v25, 0, v29, s16
	v_exp_f32_e32 v29, v43
	v_add_f32_e32 v26, v26, v46
	v_cvt_i32_f32_e32 v43, v45
	v_exp_f32_e32 v1, v1
	v_exp_f32_e32 v28, v39
	v_cvt_i32_f32_e32 v44, v47
	v_exp_f32_e32 v26, v26
	v_cvt_i32_f32_e32 v45, v49
	v_cvt_i32_f32_e32 v46, v51
	v_cvt_f16_f32_e32 v39, v30
	v_cvt_f16_f32_e32 v47, v31
	v_add_f32_e32 v31, v30, v31
	v_add_nc_u32_e32 v30, 0x6800, v74
	v_ldexp_f32 v1, v1, v43
	v_ldexp_f32 v28, v28, v45
	;; [unrolled: 1-line block ×4, first 2 shown]
	v_cvt_f16_f32_e32 v43, v27
	v_cndmask_b32_e64 v1, 0, v1, s17
	v_cmp_ngt_f32_e64 s17, 0xc2ce8ed0, v38
	v_add_f32_e32 v31, v27, v31
	v_cndmask_b32_e64 v26, 0, v26, s17
	v_cmp_ngt_f32_e64 s17, 0xc2ce8ed0, v24
	v_cndmask_b32_e64 v28, 0, v28, s17
	v_cmp_ngt_f32_e64 s17, 0xc2ce8ed0, v35
	v_cndmask_b32_e64 v29, 0, v29, s17
	v_cmp_nlt_f32_e64 s17, 0x42b17218, v4
	v_cndmask_b32_e64 v1, 0x7f800000, v1, s17
	v_cmp_nlt_f32_e64 s17, 0x42b17218, v38
	v_cndmask_b32_e64 v38, 0, v41, s13
	v_cndmask_b32_e64 v4, 0x7f800000, v26, s17
	v_cmp_nlt_f32_e64 s17, 0x42b17218, v24
	v_cndmask_b32_e64 v24, 0x7f800000, v28, s17
	v_cmp_nlt_f32_e64 s17, 0x42b17218, v35
	v_cndmask_b32_e32 v28, 0, v1, vcc_lo
	v_cvt_f16_f32_e32 v1, v25
	v_add_f32_e32 v25, v25, v31
	v_cndmask_b32_e64 v26, 0, v24, s15
	v_cndmask_b32_e64 v35, 0x7f800000, v29, s17
	;; [unrolled: 1-line block ×3, first 2 shown]
	v_cvt_f16_f32_e32 v4, v28
	v_cvt_f16_f32_e32 v44, v26
	v_cndmask_b32_e64 v24, 0, v35, s16
	v_cvt_f16_f32_e32 v35, v29
	v_pack_b32_f16 v4, v39, v4
	v_cndmask_b32_e64 v39, s23, v42, s13
	v_pack_b32_f16 v41, v43, v44
	v_cvt_f16_f32_e32 v45, v24
	v_pack_b32_f16 v35, v47, v35
	s_lshl_b32 s13, s36, 4
	v_pack_b32_f16 v1, v1, v45
	ds_write_b32 v3, v4
	ds_write_b32 v32, v35
	;; [unrolled: 1-line block ×4, first 2 shown]
	flat_load_dwordx4 v[35:38], v[38:39]
	v_add_nc_u32_e32 v3, s13, v40
	buffer_store_dword v2, off, s[0:3], 0
	buffer_store_dword v2, off, s[0:3], 0 offset:4
	buffer_store_dword v2, off, s[0:3], 0 offset:8
	;; [unrolled: 1-line block ×3, first 2 shown]
	v_add_nc_u32_e32 v32, 0x3000, v74
	v_ashrrev_i32_e32 v4, 31, v3
	v_lshlrev_b64 v[39:40], 2, v[3:4]
	v_add_nc_u32_e32 v3, s13, v3
	v_add_co_u32 v1, vcc_lo, s18, v39
	v_add_co_ci_u32_e64 v4, null, s19, v40, vcc_lo
	v_add_co_u32 v1, vcc_lo, v1, v15
	v_add_co_ci_u32_e64 v4, null, 0, v4, vcc_lo
	v_cndmask_b32_e64 v39, 0, v1, s12
	v_cndmask_b32_e64 v40, s23, v4, s12
	v_ashrrev_i32_e32 v4, 31, v3
	s_waitcnt vmcnt(0) lgkmcnt(0)
	ds_write_b128 v20, v[35:38]
	flat_load_dwordx4 v[35:38], v[39:40]
	v_lshlrev_b64 v[39:40], 2, v[3:4]
	v_lshl_or_b32 v20, v23, 8, v15
	buffer_store_dword v2, off, s[0:3], 0
	buffer_store_dword v2, off, s[0:3], 0 offset:4
	buffer_store_dword v2, off, s[0:3], 0 offset:8
	;; [unrolled: 1-line block ×3, first 2 shown]
	v_add_nc_u32_e32 v3, s13, v3
	v_add_co_u32 v1, vcc_lo, s18, v39
	v_add_co_ci_u32_e64 v4, null, s19, v40, vcc_lo
	v_add_co_u32 v1, vcc_lo, v1, v15
	v_add_co_ci_u32_e64 v4, null, 0, v4, vcc_lo
	v_cndmask_b32_e64 v39, 0, v1, s11
	v_cndmask_b32_e64 v40, s23, v4, s11
	v_ashrrev_i32_e32 v4, 31, v3
	s_waitcnt vmcnt(0) lgkmcnt(0)
	ds_write_b128 v20, v[35:38]
	flat_load_dwordx4 v[35:38], v[39:40]
	v_lshlrev_b64 v[39:40], 2, v[3:4]
	v_lshl_or_b32 v20, v22, 8, v15
	buffer_store_dword v2, off, s[0:3], 0
	buffer_store_dword v2, off, s[0:3], 0 offset:4
	buffer_store_dword v2, off, s[0:3], 0 offset:8
	;; [unrolled: 1-line block ×3, first 2 shown]
	v_add_nc_u32_e32 v3, s13, v3
	v_add_co_u32 v1, vcc_lo, s18, v39
	v_add_co_ci_u32_e64 v4, null, s19, v40, vcc_lo
	v_add_co_u32 v1, vcc_lo, v1, v15
	v_add_co_ci_u32_e64 v4, null, 0, v4, vcc_lo
	v_cndmask_b32_e64 v22, 0, v1, s10
	v_cndmask_b32_e64 v23, s23, v4, s10
	v_ashrrev_i32_e32 v4, 31, v3
	s_waitcnt vmcnt(0) lgkmcnt(0)
	ds_write_b128 v20, v[35:38]
	flat_load_dwordx4 v[35:38], v[22:23]
	v_lshlrev_b64 v[22:23], 2, v[3:4]
	buffer_store_dword v2, off, s[0:3], 0
	buffer_store_dword v2, off, s[0:3], 0 offset:4
	buffer_store_dword v2, off, s[0:3], 0 offset:8
	;; [unrolled: 1-line block ×3, first 2 shown]
	v_add_nc_u32_e32 v3, s13, v3
	v_add_co_u32 v1, vcc_lo, s18, v22
	v_add_co_ci_u32_e64 v4, null, s19, v23, vcc_lo
	v_lshl_or_b32 v22, v21, 8, v15
	v_add_co_u32 v1, vcc_lo, v1, v15
	v_add_co_ci_u32_e64 v4, null, 0, v4, vcc_lo
	v_cndmask_b32_e64 v20, 0, v1, s9
	v_cndmask_b32_e64 v21, s23, v4, s9
	v_ashrrev_i32_e32 v4, 31, v3
	s_waitcnt vmcnt(0) lgkmcnt(0)
	ds_write_b128 v22, v[35:38]
	flat_load_dwordx4 v[20:23], v[20:21]
	v_lshlrev_b64 v[35:36], 2, v[3:4]
	buffer_store_dword v2, off, s[0:3], 0
	buffer_store_dword v2, off, s[0:3], 0 offset:4
	buffer_store_dword v2, off, s[0:3], 0 offset:8
	;; [unrolled: 1-line block ×3, first 2 shown]
	v_add_nc_u32_e32 v3, s13, v3
	v_add_co_u32 v1, vcc_lo, s18, v35
	v_add_co_ci_u32_e64 v4, null, s19, v36, vcc_lo
	v_add_co_u32 v1, vcc_lo, v1, v15
	v_add_co_ci_u32_e64 v4, null, 0, v4, vcc_lo
	v_cndmask_b32_e64 v35, 0, v1, s8
	v_cndmask_b32_e64 v36, s23, v4, s8
	v_ashrrev_i32_e32 v4, 31, v3
	s_waitcnt vmcnt(0) lgkmcnt(0)
	ds_write_b128 v19, v[20:23]
	flat_load_dwordx4 v[19:22], v[35:36]
	v_lshlrev_b64 v[35:36], 2, v[3:4]
	buffer_store_dword v2, off, s[0:3], 0
	buffer_store_dword v2, off, s[0:3], 0 offset:4
	buffer_store_dword v2, off, s[0:3], 0 offset:8
	;; [unrolled: 1-line block ×3, first 2 shown]
	v_add_nc_u32_e32 v3, s13, v3
	v_lshl_or_b32 v23, v16, 8, v15
	v_add_nc_u32_e32 v16, 0x800, v74
	v_add_co_u32 v1, vcc_lo, s18, v35
	v_add_co_ci_u32_e64 v4, null, s19, v36, vcc_lo
	v_add_co_u32 v1, vcc_lo, v1, v15
	v_add_co_ci_u32_e64 v4, null, 0, v4, vcc_lo
	v_cndmask_b32_e64 v35, 0, v1, s7
	v_cndmask_b32_e64 v36, s23, v4, s7
	v_ashrrev_i32_e32 v4, 31, v3
	v_lshlrev_b64 v[3:4], 2, v[3:4]
	v_add_co_u32 v1, vcc_lo, s18, v3
	v_add_co_ci_u32_e64 v3, null, s19, v4, vcc_lo
	v_add_co_u32 v1, vcc_lo, v1, v15
	v_add_co_ci_u32_e64 v4, null, 0, v3, vcc_lo
	v_mov_b32_e32 v15, 0x10001
	v_cndmask_b32_e64 v3, 0, v1, s6
	v_cndmask_b32_e64 v4, s23, v4, s6
	s_waitcnt vmcnt(0) lgkmcnt(0)
	ds_write_b128 v18, v[19:22]
	flat_load_dwordx4 v[18:21], v[35:36]
	buffer_store_dword v2, off, s[0:3], 0
	buffer_store_dword v2, off, s[0:3], 0 offset:4
	buffer_store_dword v2, off, s[0:3], 0 offset:8
	;; [unrolled: 1-line block ×3, first 2 shown]
	v_sub_f32_e32 v22, v33, v5
	v_cmp_ngt_f32_e32 vcc_lo, 0xc2ce8ed0, v22
	s_waitcnt vmcnt(0) lgkmcnt(0)
	ds_write_b128 v17, v[18:21]
	flat_load_dwordx4 v[1:4], v[3:4]
	v_mul_f32_e32 v17, 0x3fb8aa3b, v22
	v_sub_f32_e32 v21, v34, v6
	v_fma_f32 v18, 0x3fb8aa3b, v22, -v17
	v_rndne_f32_e32 v35, v17
	v_mul_f32_e32 v19, 0x3fb8aa3b, v21
	v_fmac_f32_e32 v18, 0x32a5705f, v22
	v_sub_f32_e32 v20, v17, v35
	v_fma_f32 v33, 0x3fb8aa3b, v21, -v19
	v_rndne_f32_e32 v34, v19
	v_cvt_i32_f32_e32 v39, v35
	v_add_nc_u32_e32 v17, 0x1000, v74
	v_add_f32_e32 v20, v20, v18
	v_fmac_f32_e32 v33, 0x32a5705f, v21
	v_sub_f32_e32 v36, v19, v34
	v_cvt_i32_f32_e32 v34, v34
	v_add_nc_u32_e32 v18, 0x1800, v74
	v_exp_f32_e32 v38, v20
	v_add_nc_u32_e32 v19, 0x2000, v74
	v_add_f32_e32 v37, v36, v33
	v_add_nc_u32_e32 v20, 0x2800, v74
	v_add_nc_u32_e32 v33, 0x3800, v74
	;; [unrolled: 1-line block ×4, first 2 shown]
	v_exp_f32_e32 v40, v37
	v_add_nc_u32_e32 v37, 0x5000, v74
	v_ldexp_f32 v41, v38, v39
	v_add_nc_u32_e32 v38, 0x5800, v74
	v_add_nc_u32_e32 v39, 0x6000, v74
	v_cndmask_b32_e32 v41, 0, v41, vcc_lo
	v_cmp_nlt_f32_e32 vcc_lo, 0x42b17218, v22
	v_ldexp_f32 v34, v40, v34
	v_cndmask_b32_e32 v44, 0x7f800000, v41, vcc_lo
	v_cmp_ngt_f32_e32 vcc_lo, 0xc2ce8ed0, v21
	v_fmac_f32_e32 v25, v7, v44
	v_cndmask_b32_e32 v22, 0, v34, vcc_lo
	v_cmp_nlt_f32_e32 vcc_lo, 0x42b17218, v21
	v_add_f32_e32 v21, v28, v29
	v_mov_b32_e32 v7, v25
	v_cndmask_b32_e32 v27, 0x7f800000, v22, vcc_lo
	v_add_f32_e32 v21, v26, v21
	v_add_nc_u32_e32 v22, 0x7000, v74
	v_cvt_f16_f32_e32 v28, v27
	v_add_f32_e32 v21, v24, v21
	v_mul_u32_u24_sdwa v28, v28, v15 dst_sel:DWORD dst_unused:UNUSED_PAD src0_sel:WORD_0 src1_sel:DWORD
	v_fmac_f32_e32 v21, v8, v27
	v_pk_mul_f16 v34, v77, v28
	s_waitcnt vmcnt(0) lgkmcnt(0)
	ds_write_b128 v23, v[1:4]
	s_waitcnt lgkmcnt(0)
	s_waitcnt_vscnt null, 0x0
	s_barrier
	buffer_gl0_inv
	ds_read_b128 v[1:4], v73 offset:34816
	ds_read_b128 v[40:43], v73 offset:34832
	v_cvt_f16_f32_e32 v23, v44
	ds_read2_b64 v[44:47], v74 offset1:32
	ds_read2_b64 v[24:27], v74 offset0:64 offset1:96
	v_mul_u32_u24_sdwa v29, v23, v15 dst_sel:DWORD dst_unused:UNUSED_PAD src0_sel:WORD_0 src1_sel:DWORD
	v_add_nc_u32_e32 v23, 0x7800, v74
	v_pk_mul_f16 v31, v78, v29
	s_waitcnt lgkmcnt(3)
	v_mul_u32_u24_sdwa v8, v1, v15 dst_sel:DWORD dst_unused:UNUSED_PAD src0_sel:WORD_0 src1_sel:DWORD
	v_mul_u32_u24_sdwa v48, v1, v15 dst_sel:DWORD dst_unused:UNUSED_PAD src0_sel:WORD_1 src1_sel:DWORD
	s_waitcnt lgkmcnt(2)
	v_mul_u32_u24_sdwa v57, v40, v15 dst_sel:DWORD dst_unused:UNUSED_PAD src0_sel:WORD_0 src1_sel:DWORD
	v_mul_u32_u24_sdwa v58, v40, v15 dst_sel:DWORD dst_unused:UNUSED_PAD src0_sel:WORD_1 src1_sel:DWORD
	v_mul_u32_u24_sdwa v49, v2, v15 dst_sel:DWORD dst_unused:UNUSED_PAD src0_sel:WORD_0 src1_sel:DWORD
	s_waitcnt lgkmcnt(1)
	v_pk_mul_f16 v40, v44, v8
	v_pk_mul_f16 v44, v44, v48
	v_mul_u32_u24_sdwa v52, v2, v15 dst_sel:DWORD dst_unused:UNUSED_PAD src0_sel:WORD_1 src1_sel:DWORD
	v_mul_u32_u24_sdwa v53, v3, v15 dst_sel:DWORD dst_unused:UNUSED_PAD src0_sel:WORD_0 src1_sel:DWORD
	v_mul_u32_u24_sdwa v54, v3, v15 dst_sel:DWORD dst_unused:UNUSED_PAD src0_sel:WORD_1 src1_sel:DWORD
	v_mul_u32_u24_sdwa v55, v4, v15 dst_sel:DWORD dst_unused:UNUSED_PAD src0_sel:WORD_0 src1_sel:DWORD
	v_mul_u32_u24_sdwa v56, v4, v15 dst_sel:DWORD dst_unused:UNUSED_PAD src0_sel:WORD_1 src1_sel:DWORD
	ds_read2_b64 v[1:4], v74 offset0:128 offset1:160
	v_pk_fma_f16 v8, v45, v8, v31
	v_pk_fma_f16 v29, v76, v29, v40
	;; [unrolled: 1-line block ×4, first 2 shown]
	v_mul_u32_u24_sdwa v59, v41, v15 dst_sel:DWORD dst_unused:UNUSED_PAD src0_sel:WORD_0 src1_sel:DWORD
	v_pk_fma_f16 v8, v47, v49, v8
	v_pk_fma_f16 v29, v46, v49, v29
	;; [unrolled: 1-line block ×4, first 2 shown]
	v_mul_u32_u24_sdwa v60, v41, v15 dst_sel:DWORD dst_unused:UNUSED_PAD src0_sel:WORD_1 src1_sel:DWORD
	v_mul_u32_u24_sdwa v61, v42, v15 dst_sel:DWORD dst_unused:UNUSED_PAD src0_sel:WORD_0 src1_sel:DWORD
	v_mul_u32_u24_sdwa v62, v42, v15 dst_sel:DWORD dst_unused:UNUSED_PAD src0_sel:WORD_1 src1_sel:DWORD
	v_mul_u32_u24_sdwa v63, v43, v15 dst_sel:DWORD dst_unused:UNUSED_PAD src0_sel:WORD_0 src1_sel:DWORD
	v_mul_u32_u24_sdwa v64, v43, v15 dst_sel:DWORD dst_unused:UNUSED_PAD src0_sel:WORD_1 src1_sel:DWORD
	ds_read2_b64 v[40:43], v74 offset0:192 offset1:224
	s_waitcnt lgkmcnt(2)
	v_pk_fma_f16 v8, v25, v53, v8
	v_pk_fma_f16 v29, v24, v53, v29
	;; [unrolled: 1-line block ×4, first 2 shown]
	ds_read_b128 v[48:51], v73 offset:34848
	v_pk_fma_f16 v8, v27, v55, v8
	v_pk_fma_f16 v28, v26, v55, v29
	;; [unrolled: 1-line block ×4, first 2 shown]
	ds_read2_b64 v[44:47], v16 offset1:32
	s_waitcnt lgkmcnt(3)
	v_pk_fma_f16 v8, v2, v57, v8
	v_pk_fma_f16 v28, v1, v57, v28
	;; [unrolled: 1-line block ×4, first 2 shown]
	ds_read2_b64 v[52:55], v16 offset0:64 offset1:96
	v_pk_fma_f16 v8, v4, v59, v8
	v_pk_fma_f16 v28, v3, v59, v28
	;; [unrolled: 1-line block ×4, first 2 shown]
	ds_read2_b64 v[24:27], v16 offset0:128 offset1:160
	s_waitcnt lgkmcnt(4)
	v_pk_fma_f16 v8, v41, v61, v8
	v_pk_fma_f16 v28, v40, v61, v28
	;; [unrolled: 1-line block ×4, first 2 shown]
	ds_read_b128 v[56:59], v73 offset:34864
	ds_read2_b64 v[1:4], v16 offset0:192 offset1:224
	s_waitcnt lgkmcnt(5)
	v_mul_u32_u24_sdwa v16, v48, v15 dst_sel:DWORD dst_unused:UNUSED_PAD src0_sel:WORD_0 src1_sel:DWORD
	v_mul_u32_u24_sdwa v34, v48, v15 dst_sel:DWORD dst_unused:UNUSED_PAD src0_sel:WORD_1 src1_sel:DWORD
	v_pk_fma_f16 v8, v43, v63, v8
	v_pk_fma_f16 v28, v42, v63, v28
	;; [unrolled: 1-line block ×4, first 2 shown]
	v_mul_u32_u24_sdwa v60, v49, v15 dst_sel:DWORD dst_unused:UNUSED_PAD src0_sel:WORD_0 src1_sel:DWORD
	v_mul_u32_u24_sdwa v61, v49, v15 dst_sel:DWORD dst_unused:UNUSED_PAD src0_sel:WORD_1 src1_sel:DWORD
	s_waitcnt lgkmcnt(4)
	v_pk_fma_f16 v8, v45, v16, v8
	v_pk_fma_f16 v29, v45, v34, v29
	;; [unrolled: 1-line block ×4, first 2 shown]
	v_mul_u32_u24_sdwa v62, v50, v15 dst_sel:DWORD dst_unused:UNUSED_PAD src0_sel:WORD_0 src1_sel:DWORD
	v_mul_u32_u24_sdwa v63, v50, v15 dst_sel:DWORD dst_unused:UNUSED_PAD src0_sel:WORD_1 src1_sel:DWORD
	v_pk_fma_f16 v8, v47, v60, v8
	v_pk_fma_f16 v16, v46, v60, v16
	;; [unrolled: 1-line block ×4, first 2 shown]
	v_mul_u32_u24_sdwa v64, v51, v15 dst_sel:DWORD dst_unused:UNUSED_PAD src0_sel:WORD_0 src1_sel:DWORD
	v_mul_u32_u24_sdwa v65, v51, v15 dst_sel:DWORD dst_unused:UNUSED_PAD src0_sel:WORD_1 src1_sel:DWORD
	s_waitcnt lgkmcnt(3)
	v_pk_fma_f16 v8, v53, v62, v8
	v_pk_fma_f16 v16, v52, v62, v16
	;; [unrolled: 1-line block ×4, first 2 shown]
	s_waitcnt lgkmcnt(1)
	v_mul_u32_u24_sdwa v31, v56, v15 dst_sel:DWORD dst_unused:UNUSED_PAD src0_sel:WORD_0 src1_sel:DWORD
	v_pk_fma_f16 v8, v55, v64, v8
	v_pk_fma_f16 v16, v54, v64, v16
	;; [unrolled: 1-line block ×4, first 2 shown]
	v_mul_u32_u24_sdwa v34, v56, v15 dst_sel:DWORD dst_unused:UNUSED_PAD src0_sel:WORD_1 src1_sel:DWORD
	ds_read_b128 v[40:43], v73 offset:34880
	ds_read_b128 v[48:51], v73 offset:34896
	ds_read2_b64 v[44:47], v17 offset1:32
	v_mul_u32_u24_sdwa v56, v57, v15 dst_sel:DWORD dst_unused:UNUSED_PAD src0_sel:WORD_0 src1_sel:DWORD
	v_mul_u32_u24_sdwa v57, v57, v15 dst_sel:DWORD dst_unused:UNUSED_PAD src0_sel:WORD_1 src1_sel:DWORD
	v_pk_fma_f16 v8, v25, v31, v8
	v_pk_fma_f16 v16, v24, v31, v16
	;; [unrolled: 1-line block ×4, first 2 shown]
	ds_read2_b64 v[60:63], v17 offset0:64 offset1:96
	ds_read2_b64 v[52:55], v17 offset0:128 offset1:160
	v_pk_fma_f16 v8, v27, v56, v8
	v_pk_fma_f16 v16, v26, v56, v16
	v_mul_u32_u24_sdwa v28, v58, v15 dst_sel:DWORD dst_unused:UNUSED_PAD src0_sel:WORD_0 src1_sel:DWORD
	v_pk_fma_f16 v29, v27, v57, v25
	v_pk_fma_f16 v31, v26, v57, v24
	ds_read2_b64 v[24:27], v17 offset0:192 offset1:224
	v_mul_u32_u24_sdwa v17, v58, v15 dst_sel:DWORD dst_unused:UNUSED_PAD src0_sel:WORD_1 src1_sel:DWORD
	v_mul_u32_u24_sdwa v34, v59, v15 dst_sel:DWORD dst_unused:UNUSED_PAD src0_sel:WORD_0 src1_sel:DWORD
	v_mul_u32_u24_sdwa v64, v59, v15 dst_sel:DWORD dst_unused:UNUSED_PAD src0_sel:WORD_1 src1_sel:DWORD
	s_waitcnt lgkmcnt(6)
	v_pk_fma_f16 v8, v2, v28, v8
	v_pk_fma_f16 v16, v1, v28, v16
	;; [unrolled: 1-line block ×4, first 2 shown]
	s_waitcnt lgkmcnt(5)
	v_mul_u32_u24_sdwa v17, v40, v15 dst_sel:DWORD dst_unused:UNUSED_PAD src0_sel:WORD_0 src1_sel:DWORD
	v_pk_fma_f16 v8, v4, v34, v8
	v_pk_fma_f16 v16, v3, v34, v16
	v_mul_u32_u24_sdwa v28, v40, v15 dst_sel:DWORD dst_unused:UNUSED_PAD src0_sel:WORD_1 src1_sel:DWORD
	v_pk_fma_f16 v2, v4, v64, v2
	v_pk_fma_f16 v29, v3, v64, v1
	v_mul_u32_u24_sdwa v31, v41, v15 dst_sel:DWORD dst_unused:UNUSED_PAD src0_sel:WORD_0 src1_sel:DWORD
	v_mul_u32_u24_sdwa v34, v41, v15 dst_sel:DWORD dst_unused:UNUSED_PAD src0_sel:WORD_1 src1_sel:DWORD
	s_waitcnt lgkmcnt(3)
	v_pk_fma_f16 v8, v45, v17, v8
	v_pk_fma_f16 v40, v45, v28, v2
	;; [unrolled: 1-line block ×4, first 2 shown]
	ds_read_b128 v[1:4], v73 offset:34912
	v_mul_u32_u24_sdwa v28, v42, v15 dst_sel:DWORD dst_unused:UNUSED_PAD src0_sel:WORD_0 src1_sel:DWORD
	v_pk_fma_f16 v8, v47, v31, v8
	v_pk_fma_f16 v29, v47, v34, v40
	v_pk_fma_f16 v16, v46, v31, v16
	v_pk_fma_f16 v17, v46, v34, v17
	v_mul_u32_u24_sdwa v31, v42, v15 dst_sel:DWORD dst_unused:UNUSED_PAD src0_sel:WORD_1 src1_sel:DWORD
	v_mul_u32_u24_sdwa v34, v43, v15 dst_sel:DWORD dst_unused:UNUSED_PAD src0_sel:WORD_0 src1_sel:DWORD
	v_mul_u32_u24_sdwa v64, v43, v15 dst_sel:DWORD dst_unused:UNUSED_PAD src0_sel:WORD_1 src1_sel:DWORD
	s_waitcnt lgkmcnt(3)
	v_pk_fma_f16 v8, v61, v28, v8
	v_pk_fma_f16 v16, v60, v28, v16
	;; [unrolled: 1-line block ×4, first 2 shown]
	v_mul_u32_u24_sdwa v29, v48, v15 dst_sel:DWORD dst_unused:UNUSED_PAD src0_sel:WORD_0 src1_sel:DWORD
	v_pk_fma_f16 v8, v63, v34, v8
	v_pk_fma_f16 v16, v62, v34, v16
	v_mul_u32_u24_sdwa v31, v48, v15 dst_sel:DWORD dst_unused:UNUSED_PAD src0_sel:WORD_1 src1_sel:DWORD
	v_pk_fma_f16 v28, v63, v64, v28
	v_pk_fma_f16 v17, v62, v64, v17
	ds_read2_b64 v[56:59], v18 offset1:32
	v_mul_u32_u24_sdwa v34, v49, v15 dst_sel:DWORD dst_unused:UNUSED_PAD src0_sel:WORD_0 src1_sel:DWORD
	v_mul_u32_u24_sdwa v60, v49, v15 dst_sel:DWORD dst_unused:UNUSED_PAD src0_sel:WORD_1 src1_sel:DWORD
	s_waitcnt lgkmcnt(3)
	v_pk_fma_f16 v8, v53, v29, v8
	v_pk_fma_f16 v16, v52, v29, v16
	;; [unrolled: 1-line block ×4, first 2 shown]
	v_mul_u32_u24_sdwa v61, v50, v15 dst_sel:DWORD dst_unused:UNUSED_PAD src0_sel:WORD_0 src1_sel:DWORD
	v_mul_u32_u24_sdwa v62, v50, v15 dst_sel:DWORD dst_unused:UNUSED_PAD src0_sel:WORD_1 src1_sel:DWORD
	v_mul_u32_u24_sdwa v63, v51, v15 dst_sel:DWORD dst_unused:UNUSED_PAD src0_sel:WORD_0 src1_sel:DWORD
	v_mul_u32_u24_sdwa v64, v51, v15 dst_sel:DWORD dst_unused:UNUSED_PAD src0_sel:WORD_1 src1_sel:DWORD
	ds_read_b128 v[48:51], v73 offset:34928
	s_waitcnt lgkmcnt(2)
	v_mul_u32_u24_sdwa v29, v1, v15 dst_sel:DWORD dst_unused:UNUSED_PAD src0_sel:WORD_0 src1_sel:DWORD
	v_pk_fma_f16 v8, v55, v34, v8
	v_pk_fma_f16 v16, v54, v34, v16
	v_mul_u32_u24_sdwa v31, v1, v15 dst_sel:DWORD dst_unused:UNUSED_PAD src0_sel:WORD_1 src1_sel:DWORD
	v_pk_fma_f16 v1, v55, v60, v28
	v_pk_fma_f16 v17, v54, v60, v17
	ds_read2_b64 v[44:47], v18 offset0:64 offset1:96
	v_pk_fma_f16 v8, v25, v61, v8
	v_pk_fma_f16 v16, v24, v61, v16
	;; [unrolled: 1-line block ×4, first 2 shown]
	ds_read2_b64 v[40:43], v18 offset0:128 offset1:160
	v_mul_u32_u24_sdwa v28, v2, v15 dst_sel:DWORD dst_unused:UNUSED_PAD src0_sel:WORD_0 src1_sel:DWORD
	v_mul_u32_u24_sdwa v34, v2, v15 dst_sel:DWORD dst_unused:UNUSED_PAD src0_sel:WORD_1 src1_sel:DWORD
	v_mul_u32_u24_sdwa v60, v3, v15 dst_sel:DWORD dst_unused:UNUSED_PAD src0_sel:WORD_0 src1_sel:DWORD
	v_mul_u32_u24_sdwa v65, v3, v15 dst_sel:DWORD dst_unused:UNUSED_PAD src0_sel:WORD_1 src1_sel:DWORD
	;; [unrolled: 2-line block ×3, first 2 shown]
	ds_read2_b64 v[1:4], v18 offset0:192 offset1:224
	v_pk_fma_f16 v8, v27, v63, v8
	v_pk_fma_f16 v18, v27, v64, v25
	;; [unrolled: 1-line block ×4, first 2 shown]
	ds_read_b128 v[24:27], v73 offset:34944
	ds_read_b128 v[52:55], v73 offset:34960
	s_waitcnt lgkmcnt(6)
	v_pk_fma_f16 v8, v57, v29, v8
	v_pk_fma_f16 v18, v57, v31, v18
	v_pk_fma_f16 v16, v56, v29, v16
	v_pk_fma_f16 v17, v56, v31, v17
	s_waitcnt lgkmcnt(5)
	v_mul_u32_u24_sdwa v29, v48, v15 dst_sel:DWORD dst_unused:UNUSED_PAD src0_sel:WORD_0 src1_sel:DWORD
	v_pk_fma_f16 v8, v59, v28, v8
	v_pk_fma_f16 v18, v59, v34, v18
	;; [unrolled: 1-line block ×4, first 2 shown]
	v_mul_u32_u24_sdwa v31, v48, v15 dst_sel:DWORD dst_unused:UNUSED_PAD src0_sel:WORD_1 src1_sel:DWORD
	s_waitcnt lgkmcnt(4)
	v_pk_fma_f16 v8, v45, v60, v8
	v_pk_fma_f16 v18, v45, v65, v18
	;; [unrolled: 1-line block ×4, first 2 shown]
	v_mul_u32_u24_sdwa v28, v49, v15 dst_sel:DWORD dst_unused:UNUSED_PAD src0_sel:WORD_0 src1_sel:DWORD
	v_pk_fma_f16 v8, v47, v66, v8
	v_pk_fma_f16 v18, v47, v74, v18
	;; [unrolled: 1-line block ×4, first 2 shown]
	v_mul_u32_u24_sdwa v34, v49, v15 dst_sel:DWORD dst_unused:UNUSED_PAD src0_sel:WORD_1 src1_sel:DWORD
	v_mul_u32_u24_sdwa v56, v50, v15 dst_sel:DWORD dst_unused:UNUSED_PAD src0_sel:WORD_0 src1_sel:DWORD
	v_mul_u32_u24_sdwa v57, v50, v15 dst_sel:DWORD dst_unused:UNUSED_PAD src0_sel:WORD_1 src1_sel:DWORD
	v_mul_u32_u24_sdwa v58, v51, v15 dst_sel:DWORD dst_unused:UNUSED_PAD src0_sel:WORD_0 src1_sel:DWORD
	v_mul_u32_u24_sdwa v59, v51, v15 dst_sel:DWORD dst_unused:UNUSED_PAD src0_sel:WORD_1 src1_sel:DWORD
	ds_read2_b64 v[48:51], v19 offset1:32
	s_waitcnt lgkmcnt(4)
	v_pk_fma_f16 v8, v41, v29, v8
	v_pk_fma_f16 v16, v40, v29, v16
	;; [unrolled: 1-line block ×4, first 2 shown]
	s_waitcnt lgkmcnt(2)
	v_mul_u32_u24_sdwa v60, v24, v15 dst_sel:DWORD dst_unused:UNUSED_PAD src0_sel:WORD_0 src1_sel:DWORD
	v_pk_fma_f16 v8, v43, v28, v8
	v_pk_fma_f16 v16, v42, v28, v16
	;; [unrolled: 1-line block ×4, first 2 shown]
	v_mul_u32_u24_sdwa v44, v24, v15 dst_sel:DWORD dst_unused:UNUSED_PAD src0_sel:WORD_1 src1_sel:DWORD
	v_mul_u32_u24_sdwa v45, v25, v15 dst_sel:DWORD dst_unused:UNUSED_PAD src0_sel:WORD_0 src1_sel:DWORD
	v_mul_u32_u24_sdwa v61, v25, v15 dst_sel:DWORD dst_unused:UNUSED_PAD src0_sel:WORD_1 src1_sel:DWORD
	v_mul_u32_u24_sdwa v62, v26, v15 dst_sel:DWORD dst_unused:UNUSED_PAD src0_sel:WORD_0 src1_sel:DWORD
	;; [unrolled: 2-line block ×3, first 2 shown]
	v_mul_u32_u24_sdwa v65, v27, v15 dst_sel:DWORD dst_unused:UNUSED_PAD src0_sel:WORD_1 src1_sel:DWORD
	ds_read2_b64 v[24:27], v19 offset0:64 offset1:96
	v_pk_fma_f16 v8, v2, v56, v8
	v_pk_fma_f16 v16, v1, v56, v16
	;; [unrolled: 1-line block ×4, first 2 shown]
	s_waitcnt lgkmcnt(2)
	v_mul_u32_u24_sdwa v29, v52, v15 dst_sel:DWORD dst_unused:UNUSED_PAD src0_sel:WORD_0 src1_sel:DWORD
	v_mul_u32_u24_sdwa v31, v52, v15 dst_sel:DWORD dst_unused:UNUSED_PAD src0_sel:WORD_1 src1_sel:DWORD
	v_pk_fma_f16 v8, v4, v58, v8
	v_pk_fma_f16 v46, v3, v58, v16
	;; [unrolled: 1-line block ×4, first 2 shown]
	ds_read2_b64 v[40:43], v19 offset0:128 offset1:160
	s_waitcnt lgkmcnt(2)
	v_pk_fma_f16 v8, v49, v60, v8
	v_pk_fma_f16 v46, v48, v60, v46
	;; [unrolled: 1-line block ×4, first 2 shown]
	v_mul_u32_u24_sdwa v28, v53, v15 dst_sel:DWORD dst_unused:UNUSED_PAD src0_sel:WORD_0 src1_sel:DWORD
	v_mul_u32_u24_sdwa v34, v53, v15 dst_sel:DWORD dst_unused:UNUSED_PAD src0_sel:WORD_1 src1_sel:DWORD
	v_mul_u32_u24_sdwa v66, v54, v15 dst_sel:DWORD dst_unused:UNUSED_PAD src0_sel:WORD_0 src1_sel:DWORD
	v_mul_u32_u24_sdwa v74, v54, v15 dst_sel:DWORD dst_unused:UNUSED_PAD src0_sel:WORD_1 src1_sel:DWORD
	v_pk_fma_f16 v8, v51, v45, v8
	v_pk_fma_f16 v52, v50, v45, v46
	;; [unrolled: 1-line block ×4, first 2 shown]
	ds_read2_b64 v[16:19], v19 offset0:192 offset1:224
	s_waitcnt lgkmcnt(2)
	v_pk_fma_f16 v8, v25, v62, v8
	v_pk_fma_f16 v52, v24, v62, v52
	;; [unrolled: 1-line block ×4, first 2 shown]
	ds_read_b128 v[44:47], v73 offset:34976
	v_pk_fma_f16 v8, v27, v64, v8
	v_pk_fma_f16 v56, v26, v64, v52
	;; [unrolled: 1-line block ×4, first 2 shown]
	ds_read2_b64 v[1:4], v20 offset1:32
	s_waitcnt lgkmcnt(3)
	v_pk_fma_f16 v8, v41, v29, v8
	v_pk_fma_f16 v29, v40, v29, v56
	;; [unrolled: 1-line block ×4, first 2 shown]
	v_mul_u32_u24_sdwa v75, v55, v15 dst_sel:DWORD dst_unused:UNUSED_PAD src0_sel:WORD_0 src1_sel:DWORD
	v_mul_u32_u24_sdwa v76, v55, v15 dst_sel:DWORD dst_unused:UNUSED_PAD src0_sel:WORD_1 src1_sel:DWORD
	ds_read2_b64 v[48:51], v20 offset0:64 offset1:96
	ds_read2_b64 v[52:55], v20 offset0:128 offset1:160
	;; [unrolled: 1-line block ×3, first 2 shown]
	v_pk_fma_f16 v8, v43, v28, v8
	v_pk_fma_f16 v20, v42, v28, v29
	;; [unrolled: 1-line block ×4, first 2 shown]
	ds_read_b128 v[24:27], v73 offset:34992
	s_waitcnt lgkmcnt(6)
	v_pk_fma_f16 v8, v17, v66, v8
	v_pk_fma_f16 v20, v16, v66, v20
	;; [unrolled: 1-line block ×4, first 2 shown]
	s_waitcnt lgkmcnt(5)
	v_mul_u32_u24_sdwa v28, v44, v15 dst_sel:DWORD dst_unused:UNUSED_PAD src0_sel:WORD_0 src1_sel:DWORD
	v_pk_fma_f16 v8, v19, v75, v8
	v_pk_fma_f16 v20, v18, v75, v20
	;; [unrolled: 1-line block ×4, first 2 shown]
	v_mul_u32_u24_sdwa v18, v44, v15 dst_sel:DWORD dst_unused:UNUSED_PAD src0_sel:WORD_1 src1_sel:DWORD
	v_mul_u32_u24_sdwa v19, v45, v15 dst_sel:DWORD dst_unused:UNUSED_PAD src0_sel:WORD_0 src1_sel:DWORD
	v_mul_u32_u24_sdwa v29, v45, v15 dst_sel:DWORD dst_unused:UNUSED_PAD src0_sel:WORD_1 src1_sel:DWORD
	s_waitcnt lgkmcnt(4)
	v_pk_fma_f16 v8, v2, v28, v8
	v_mul_u32_u24_sdwa v31, v46, v15 dst_sel:DWORD dst_unused:UNUSED_PAD src0_sel:WORD_0 src1_sel:DWORD
	v_pk_fma_f16 v2, v2, v18, v17
	v_pk_fma_f16 v17, v1, v28, v20
	;; [unrolled: 1-line block ×3, first 2 shown]
	v_mul_u32_u24_sdwa v16, v46, v15 dst_sel:DWORD dst_unused:UNUSED_PAD src0_sel:WORD_1 src1_sel:DWORD
	v_pk_fma_f16 v8, v4, v19, v8
	v_pk_fma_f16 v18, v4, v29, v2
	;; [unrolled: 1-line block ×4, first 2 shown]
	v_mul_u32_u24_sdwa v20, v47, v15 dst_sel:DWORD dst_unused:UNUSED_PAD src0_sel:WORD_0 src1_sel:DWORD
	v_mul_u32_u24_sdwa v28, v47, v15 dst_sel:DWORD dst_unused:UNUSED_PAD src0_sel:WORD_1 src1_sel:DWORD
	s_waitcnt lgkmcnt(3)
	v_pk_fma_f16 v8, v49, v31, v8
	v_pk_fma_f16 v29, v49, v16, v18
	;; [unrolled: 1-line block ×4, first 2 shown]
	ds_read2_b64 v[40:43], v32 offset1:32
	v_pk_fma_f16 v8, v51, v20, v8
	v_pk_fma_f16 v29, v51, v28, v29
	;; [unrolled: 1-line block ×3, first 2 shown]
	s_waitcnt lgkmcnt(1)
	v_mul_u32_u24_sdwa v31, v24, v15 dst_sel:DWORD dst_unused:UNUSED_PAD src0_sel:WORD_0 src1_sel:DWORD
	v_pk_fma_f16 v28, v50, v28, v34
	v_mul_u32_u24_sdwa v24, v24, v15 dst_sel:DWORD dst_unused:UNUSED_PAD src0_sel:WORD_1 src1_sel:DWORD
	ds_read2_b64 v[60:63], v32 offset0:64 offset1:96
	ds_read2_b64 v[1:4], v32 offset0:128 offset1:160
	ds_read_b128 v[16:19], v73 offset:35008
	ds_read_b128 v[44:47], v73 offset:35024
	v_mul_u32_u24_sdwa v34, v25, v15 dst_sel:DWORD dst_unused:UNUSED_PAD src0_sel:WORD_0 src1_sel:DWORD
	v_mul_u32_u24_sdwa v48, v25, v15 dst_sel:DWORD dst_unused:UNUSED_PAD src0_sel:WORD_1 src1_sel:DWORD
	v_pk_fma_f16 v8, v53, v31, v8
	v_pk_fma_f16 v20, v52, v31, v20
	v_pk_fma_f16 v29, v53, v24, v29
	v_pk_fma_f16 v28, v52, v24, v28
	v_mul_u32_u24_sdwa v49, v26, v15 dst_sel:DWORD dst_unused:UNUSED_PAD src0_sel:WORD_0 src1_sel:DWORD
	v_mul_u32_u24_sdwa v64, v26, v15 dst_sel:DWORD dst_unused:UNUSED_PAD src0_sel:WORD_1 src1_sel:DWORD
	v_pk_fma_f16 v8, v55, v34, v8
	v_pk_fma_f16 v20, v54, v34, v20
	v_pk_fma_f16 v29, v55, v48, v29
	v_pk_fma_f16 v28, v54, v48, v28
	;; [unrolled: 6-line block ×3, first 2 shown]
	ds_read2_b64 v[24:27], v32 offset0:192 offset1:224
	s_waitcnt lgkmcnt(2)
	v_mul_u32_u24_sdwa v32, v16, v15 dst_sel:DWORD dst_unused:UNUSED_PAD src0_sel:WORD_0 src1_sel:DWORD
	v_pk_fma_f16 v8, v59, v31, v8
	v_pk_fma_f16 v20, v58, v31, v20
	v_mul_u32_u24_sdwa v16, v16, v15 dst_sel:DWORD dst_unused:UNUSED_PAD src0_sel:WORD_1 src1_sel:DWORD
	v_pk_fma_f16 v29, v59, v65, v29
	v_pk_fma_f16 v28, v58, v65, v28
	v_mul_u32_u24_sdwa v31, v17, v15 dst_sel:DWORD dst_unused:UNUSED_PAD src0_sel:WORD_0 src1_sel:DWORD
	v_mul_u32_u24_sdwa v17, v17, v15 dst_sel:DWORD dst_unused:UNUSED_PAD src0_sel:WORD_1 src1_sel:DWORD
	v_pk_fma_f16 v8, v41, v32, v8
	v_pk_fma_f16 v29, v41, v16, v29
	;; [unrolled: 1-line block ×4, first 2 shown]
	v_mul_u32_u24_sdwa v28, v18, v15 dst_sel:DWORD dst_unused:UNUSED_PAD src0_sel:WORD_0 src1_sel:DWORD
	v_pk_fma_f16 v8, v43, v31, v8
	v_pk_fma_f16 v29, v43, v17, v29
	;; [unrolled: 1-line block ×4, first 2 shown]
	v_mul_u32_u24_sdwa v32, v18, v15 dst_sel:DWORD dst_unused:UNUSED_PAD src0_sel:WORD_1 src1_sel:DWORD
	v_mul_u32_u24_sdwa v34, v19, v15 dst_sel:DWORD dst_unused:UNUSED_PAD src0_sel:WORD_0 src1_sel:DWORD
	v_mul_u32_u24_sdwa v64, v19, v15 dst_sel:DWORD dst_unused:UNUSED_PAD src0_sel:WORD_1 src1_sel:DWORD
	v_pk_fma_f16 v8, v61, v28, v8
	v_pk_fma_f16 v20, v60, v28, v20
	;; [unrolled: 1-line block ×4, first 2 shown]
	s_waitcnt lgkmcnt(1)
	v_mul_u32_u24_sdwa v31, v44, v15 dst_sel:DWORD dst_unused:UNUSED_PAD src0_sel:WORD_0 src1_sel:DWORD
	v_pk_fma_f16 v8, v63, v34, v8
	v_pk_fma_f16 v20, v62, v34, v20
	v_mul_u32_u24_sdwa v32, v44, v15 dst_sel:DWORD dst_unused:UNUSED_PAD src0_sel:WORD_1 src1_sel:DWORD
	v_pk_fma_f16 v28, v63, v64, v28
	v_pk_fma_f16 v29, v62, v64, v29
	ds_read_b128 v[48:51], v73 offset:35040
	ds_read_b128 v[52:55], v73 offset:35056
	ds_read2_b64 v[40:43], v33 offset1:32
	v_mul_u32_u24_sdwa v34, v45, v15 dst_sel:DWORD dst_unused:UNUSED_PAD src0_sel:WORD_0 src1_sel:DWORD
	v_mul_u32_u24_sdwa v44, v45, v15 dst_sel:DWORD dst_unused:UNUSED_PAD src0_sel:WORD_1 src1_sel:DWORD
	v_pk_fma_f16 v8, v2, v31, v8
	v_pk_fma_f16 v2, v2, v32, v28
	;; [unrolled: 1-line block ×4, first 2 shown]
	v_mul_u32_u24_sdwa v45, v46, v15 dst_sel:DWORD dst_unused:UNUSED_PAD src0_sel:WORD_1 src1_sel:DWORD
	v_pk_fma_f16 v8, v4, v34, v8
	v_pk_fma_f16 v28, v4, v44, v2
	;; [unrolled: 1-line block ×4, first 2 shown]
	v_mul_u32_u24_sdwa v44, v46, v15 dst_sel:DWORD dst_unused:UNUSED_PAD src0_sel:WORD_0 src1_sel:DWORD
	ds_read2_b64 v[16:19], v33 offset0:64 offset1:96
	v_mul_u32_u24_sdwa v46, v47, v15 dst_sel:DWORD dst_unused:UNUSED_PAD src0_sel:WORD_0 src1_sel:DWORD
	v_mul_u32_u24_sdwa v47, v47, v15 dst_sel:DWORD dst_unused:UNUSED_PAD src0_sel:WORD_1 src1_sel:DWORD
	ds_read2_b64 v[60:63], v33 offset0:128 offset1:160
	s_waitcnt lgkmcnt(5)
	v_pk_fma_f16 v8, v25, v44, v8
	v_pk_fma_f16 v20, v24, v44, v20
	;; [unrolled: 1-line block ×4, first 2 shown]
	s_waitcnt lgkmcnt(4)
	v_mul_u32_u24_sdwa v44, v48, v15 dst_sel:DWORD dst_unused:UNUSED_PAD src0_sel:WORD_0 src1_sel:DWORD
	v_mul_u32_u24_sdwa v28, v48, v15 dst_sel:DWORD dst_unused:UNUSED_PAD src0_sel:WORD_1 src1_sel:DWORD
	v_pk_fma_f16 v8, v27, v46, v8
	v_pk_fma_f16 v20, v26, v46, v20
	;; [unrolled: 1-line block ×4, first 2 shown]
	v_mul_u32_u24_sdwa v29, v49, v15 dst_sel:DWORD dst_unused:UNUSED_PAD src0_sel:WORD_0 src1_sel:DWORD
	v_mul_u32_u24_sdwa v47, v49, v15 dst_sel:DWORD dst_unused:UNUSED_PAD src0_sel:WORD_1 src1_sel:DWORD
	s_waitcnt lgkmcnt(2)
	v_pk_fma_f16 v8, v41, v44, v8
	v_pk_fma_f16 v20, v40, v44, v20
	;; [unrolled: 1-line block ×4, first 2 shown]
	v_mul_u32_u24_sdwa v48, v50, v15 dst_sel:DWORD dst_unused:UNUSED_PAD src0_sel:WORD_0 src1_sel:DWORD
	v_mul_u32_u24_sdwa v49, v50, v15 dst_sel:DWORD dst_unused:UNUSED_PAD src0_sel:WORD_1 src1_sel:DWORD
	v_pk_fma_f16 v8, v43, v29, v8
	v_pk_fma_f16 v20, v42, v29, v20
	;; [unrolled: 1-line block ×4, first 2 shown]
	ds_read2_b64 v[1:4], v33 offset0:192 offset1:224
	v_mul_u32_u24_sdwa v50, v51, v15 dst_sel:DWORD dst_unused:UNUSED_PAD src0_sel:WORD_0 src1_sel:DWORD
	v_mul_u32_u24_sdwa v51, v51, v15 dst_sel:DWORD dst_unused:UNUSED_PAD src0_sel:WORD_1 src1_sel:DWORD
	s_waitcnt lgkmcnt(2)
	v_pk_fma_f16 v8, v17, v48, v8
	v_pk_fma_f16 v20, v16, v48, v20
	;; [unrolled: 1-line block ×4, first 2 shown]
	ds_read_b128 v[56:59], v73 offset:35072
	ds_read_b128 v[40:43], v73 offset:35088
	v_mul_u32_u24_sdwa v44, v52, v15 dst_sel:DWORD dst_unused:UNUSED_PAD src0_sel:WORD_0 src1_sel:DWORD
	v_mul_u32_u24_sdwa v45, v52, v15 dst_sel:DWORD dst_unused:UNUSED_PAD src0_sel:WORD_1 src1_sel:DWORD
	v_pk_fma_f16 v8, v19, v50, v8
	v_pk_fma_f16 v20, v18, v50, v20
	;; [unrolled: 1-line block ×4, first 2 shown]
	ds_read2_b64 v[31:34], v35 offset1:32
	v_mul_u32_u24_sdwa v29, v53, v15 dst_sel:DWORD dst_unused:UNUSED_PAD src0_sel:WORD_0 src1_sel:DWORD
	v_mul_u32_u24_sdwa v52, v53, v15 dst_sel:DWORD dst_unused:UNUSED_PAD src0_sel:WORD_1 src1_sel:DWORD
	s_waitcnt lgkmcnt(4)
	v_pk_fma_f16 v8, v61, v44, v8
	v_pk_fma_f16 v20, v60, v44, v20
	;; [unrolled: 1-line block ×4, first 2 shown]
	ds_read2_b64 v[24:27], v35 offset0:64 offset1:96
	v_mul_u32_u24_sdwa v53, v54, v15 dst_sel:DWORD dst_unused:UNUSED_PAD src0_sel:WORD_0 src1_sel:DWORD
	v_mul_u32_u24_sdwa v54, v54, v15 dst_sel:DWORD dst_unused:UNUSED_PAD src0_sel:WORD_1 src1_sel:DWORD
	ds_read2_b64 v[16:19], v35 offset0:128 offset1:160
	v_pk_fma_f16 v8, v63, v29, v8
	v_pk_fma_f16 v20, v62, v29, v20
	ds_read2_b64 v[44:47], v35 offset0:192 offset1:224
	v_pk_fma_f16 v29, v63, v52, v48
	v_pk_fma_f16 v35, v62, v52, v49
	v_mul_u32_u24_sdwa v64, v55, v15 dst_sel:DWORD dst_unused:UNUSED_PAD src0_sel:WORD_0 src1_sel:DWORD
	v_mul_u32_u24_sdwa v65, v55, v15 dst_sel:DWORD dst_unused:UNUSED_PAD src0_sel:WORD_1 src1_sel:DWORD
	s_waitcnt lgkmcnt(6)
	v_pk_fma_f16 v8, v2, v53, v8
	v_pk_fma_f16 v20, v1, v53, v20
	;; [unrolled: 1-line block ×4, first 2 shown]
	s_waitcnt lgkmcnt(5)
	v_mul_u32_u24_sdwa v66, v56, v15 dst_sel:DWORD dst_unused:UNUSED_PAD src0_sel:WORD_0 src1_sel:DWORD
	v_mul_u32_u24_sdwa v28, v56, v15 dst_sel:DWORD dst_unused:UNUSED_PAD src0_sel:WORD_1 src1_sel:DWORD
	v_pk_fma_f16 v8, v4, v64, v8
	v_pk_fma_f16 v20, v3, v64, v20
	;; [unrolled: 1-line block ×4, first 2 shown]
	v_mul_u32_u24_sdwa v56, v57, v15 dst_sel:DWORD dst_unused:UNUSED_PAD src0_sel:WORD_0 src1_sel:DWORD
	v_mul_u32_u24_sdwa v57, v57, v15 dst_sel:DWORD dst_unused:UNUSED_PAD src0_sel:WORD_1 src1_sel:DWORD
	s_waitcnt lgkmcnt(3)
	v_pk_fma_f16 v8, v32, v66, v8
	v_pk_fma_f16 v20, v31, v66, v20
	;; [unrolled: 1-line block ×4, first 2 shown]
	v_mul_u32_u24_sdwa v74, v58, v15 dst_sel:DWORD dst_unused:UNUSED_PAD src0_sel:WORD_0 src1_sel:DWORD
	v_mul_u32_u24_sdwa v58, v58, v15 dst_sel:DWORD dst_unused:UNUSED_PAD src0_sel:WORD_1 src1_sel:DWORD
	v_pk_fma_f16 v8, v34, v56, v8
	v_pk_fma_f16 v20, v33, v56, v20
	;; [unrolled: 1-line block ×4, first 2 shown]
	v_mul_u32_u24_sdwa v75, v59, v15 dst_sel:DWORD dst_unused:UNUSED_PAD src0_sel:WORD_0 src1_sel:DWORD
	v_mul_u32_u24_sdwa v59, v59, v15 dst_sel:DWORD dst_unused:UNUSED_PAD src0_sel:WORD_1 src1_sel:DWORD
	s_waitcnt lgkmcnt(2)
	v_pk_fma_f16 v8, v25, v74, v8
	v_pk_fma_f16 v20, v24, v74, v20
	;; [unrolled: 1-line block ×4, first 2 shown]
	v_mul_u32_u24_sdwa v60, v40, v15 dst_sel:DWORD dst_unused:UNUSED_PAD src0_sel:WORD_0 src1_sel:DWORD
	v_mul_u32_u24_sdwa v61, v40, v15 dst_sel:DWORD dst_unused:UNUSED_PAD src0_sel:WORD_1 src1_sel:DWORD
	v_pk_fma_f16 v8, v27, v75, v8
	v_pk_fma_f16 v20, v26, v75, v20
	;; [unrolled: 1-line block ×4, first 2 shown]
	ds_read2_b64 v[48:51], v36 offset1:32
	ds_read2_b64 v[52:55], v36 offset0:64 offset1:96
	ds_read2_b64 v[1:4], v36 offset0:128 offset1:160
	v_mul_u32_u24_sdwa v35, v41, v15 dst_sel:DWORD dst_unused:UNUSED_PAD src0_sel:WORD_0 src1_sel:DWORD
	v_mul_u32_u24_sdwa v62, v41, v15 dst_sel:DWORD dst_unused:UNUSED_PAD src0_sel:WORD_1 src1_sel:DWORD
	v_mul_u32_u24_sdwa v63, v42, v15 dst_sel:DWORD dst_unused:UNUSED_PAD src0_sel:WORD_0 src1_sel:DWORD
	v_mul_u32_u24_sdwa v64, v42, v15 dst_sel:DWORD dst_unused:UNUSED_PAD src0_sel:WORD_1 src1_sel:DWORD
	;; [unrolled: 2-line block ×3, first 2 shown]
	ds_read_b128 v[31:34], v73 offset:35104
	ds_read_b128 v[40:43], v73 offset:35120
	s_waitcnt lgkmcnt(6)
	v_pk_fma_f16 v8, v17, v60, v8
	v_pk_fma_f16 v20, v16, v60, v20
	v_pk_fma_f16 v17, v17, v61, v28
	v_pk_fma_f16 v16, v16, v61, v29
	ds_read2_b64 v[24:27], v36 offset0:192 offset1:224
	v_pk_fma_f16 v8, v19, v35, v8
	v_pk_fma_f16 v20, v18, v35, v20
	;; [unrolled: 1-line block ×4, first 2 shown]
	ds_read2_b64 v[56:59], v37 offset1:32
	s_waitcnt lgkmcnt(7)
	v_pk_fma_f16 v8, v45, v63, v8
	v_pk_fma_f16 v20, v44, v63, v20
	;; [unrolled: 1-line block ×4, first 2 shown]
	ds_read2_b64 v[16:19], v37 offset0:64 offset1:96
	v_pk_fma_f16 v8, v47, v65, v8
	v_pk_fma_f16 v20, v46, v65, v20
	;; [unrolled: 1-line block ×3, first 2 shown]
	s_waitcnt lgkmcnt(4)
	v_mul_u32_u24_sdwa v35, v31, v15 dst_sel:DWORD dst_unused:UNUSED_PAD src0_sel:WORD_0 src1_sel:DWORD
	v_pk_fma_f16 v29, v46, v66, v29
	v_mul_u32_u24_sdwa v31, v31, v15 dst_sel:DWORD dst_unused:UNUSED_PAD src0_sel:WORD_1 src1_sel:DWORD
	v_mul_u32_u24_sdwa v36, v32, v15 dst_sel:DWORD dst_unused:UNUSED_PAD src0_sel:WORD_0 src1_sel:DWORD
	v_mul_u32_u24_sdwa v32, v32, v15 dst_sel:DWORD dst_unused:UNUSED_PAD src0_sel:WORD_1 src1_sel:DWORD
	v_pk_fma_f16 v8, v49, v35, v8
	v_pk_fma_f16 v20, v48, v35, v20
	v_pk_fma_f16 v28, v49, v31, v28
	v_pk_fma_f16 v29, v48, v31, v29
	v_mul_u32_u24_sdwa v64, v33, v15 dst_sel:DWORD dst_unused:UNUSED_PAD src0_sel:WORD_0 src1_sel:DWORD
	v_mul_u32_u24_sdwa v65, v33, v15 dst_sel:DWORD dst_unused:UNUSED_PAD src0_sel:WORD_1 src1_sel:DWORD
	v_pk_fma_f16 v8, v51, v36, v8
	v_pk_fma_f16 v28, v51, v32, v28
	v_pk_fma_f16 v20, v50, v36, v20
	v_pk_fma_f16 v29, v50, v32, v29
	v_mul_u32_u24_sdwa v35, v34, v15 dst_sel:DWORD dst_unused:UNUSED_PAD src0_sel:WORD_0 src1_sel:DWORD
	v_mul_u32_u24_sdwa v66, v34, v15 dst_sel:DWORD dst_unused:UNUSED_PAD src0_sel:WORD_1 src1_sel:DWORD
	v_pk_fma_f16 v8, v53, v64, v8
	v_pk_fma_f16 v20, v52, v64, v20
	v_pk_fma_f16 v28, v53, v65, v28
	v_pk_fma_f16 v29, v52, v65, v29
	s_waitcnt lgkmcnt(3)
	v_mul_u32_u24_sdwa v36, v40, v15 dst_sel:DWORD dst_unused:UNUSED_PAD src0_sel:WORD_0 src1_sel:DWORD
	v_pk_fma_f16 v8, v55, v35, v8
	v_pk_fma_f16 v20, v54, v35, v20
	v_mul_u32_u24_sdwa v35, v40, v15 dst_sel:DWORD dst_unused:UNUSED_PAD src0_sel:WORD_1 src1_sel:DWORD
	v_pk_fma_f16 v28, v55, v66, v28
	v_pk_fma_f16 v29, v54, v66, v29
	ds_read2_b64 v[60:63], v37 offset0:128 offset1:160
	ds_read_b128 v[31:34], v73 offset:35136
	ds_read_b128 v[44:47], v73 offset:35152
	ds_read2_b64 v[48:51], v37 offset0:192 offset1:224
	v_mul_u32_u24_sdwa v37, v41, v15 dst_sel:DWORD dst_unused:UNUSED_PAD src0_sel:WORD_0 src1_sel:DWORD
	v_mul_u32_u24_sdwa v52, v41, v15 dst_sel:DWORD dst_unused:UNUSED_PAD src0_sel:WORD_1 src1_sel:DWORD
	v_pk_fma_f16 v8, v2, v36, v8
	v_pk_fma_f16 v20, v1, v36, v20
	;; [unrolled: 1-line block ×4, first 2 shown]
	v_mul_u32_u24_sdwa v53, v42, v15 dst_sel:DWORD dst_unused:UNUSED_PAD src0_sel:WORD_0 src1_sel:DWORD
	v_mul_u32_u24_sdwa v64, v42, v15 dst_sel:DWORD dst_unused:UNUSED_PAD src0_sel:WORD_1 src1_sel:DWORD
	v_pk_fma_f16 v8, v4, v37, v8
	v_pk_fma_f16 v20, v3, v37, v20
	;; [unrolled: 1-line block ×4, first 2 shown]
	v_mul_u32_u24_sdwa v65, v43, v15 dst_sel:DWORD dst_unused:UNUSED_PAD src0_sel:WORD_0 src1_sel:DWORD
	v_mul_u32_u24_sdwa v36, v43, v15 dst_sel:DWORD dst_unused:UNUSED_PAD src0_sel:WORD_1 src1_sel:DWORD
	s_waitcnt lgkmcnt(6)
	v_pk_fma_f16 v8, v25, v53, v8
	v_pk_fma_f16 v20, v24, v53, v20
	;; [unrolled: 1-line block ×4, first 2 shown]
	s_waitcnt lgkmcnt(2)
	v_mul_u32_u24_sdwa v28, v31, v15 dst_sel:DWORD dst_unused:UNUSED_PAD src0_sel:WORD_0 src1_sel:DWORD
	v_pk_fma_f16 v8, v27, v65, v8
	v_pk_fma_f16 v20, v26, v65, v20
	v_mul_u32_u24_sdwa v29, v31, v15 dst_sel:DWORD dst_unused:UNUSED_PAD src0_sel:WORD_1 src1_sel:DWORD
	v_pk_fma_f16 v25, v27, v36, v25
	v_pk_fma_f16 v31, v26, v36, v24
	v_mul_u32_u24_sdwa v35, v32, v15 dst_sel:DWORD dst_unused:UNUSED_PAD src0_sel:WORD_0 src1_sel:DWORD
	v_mul_u32_u24_sdwa v32, v32, v15 dst_sel:DWORD dst_unused:UNUSED_PAD src0_sel:WORD_1 src1_sel:DWORD
	v_pk_fma_f16 v8, v57, v28, v8
	v_pk_fma_f16 v36, v57, v29, v25
	;; [unrolled: 1-line block ×4, first 2 shown]
	v_mul_u32_u24_sdwa v29, v33, v15 dst_sel:DWORD dst_unused:UNUSED_PAD src0_sel:WORD_0 src1_sel:DWORD
	v_pk_fma_f16 v8, v59, v35, v8
	v_pk_fma_f16 v36, v59, v32, v36
	;; [unrolled: 1-line block ×4, first 2 shown]
	v_mul_u32_u24_sdwa v35, v33, v15 dst_sel:DWORD dst_unused:UNUSED_PAD src0_sel:WORD_1 src1_sel:DWORD
	v_mul_u32_u24_sdwa v37, v34, v15 dst_sel:DWORD dst_unused:UNUSED_PAD src0_sel:WORD_0 src1_sel:DWORD
	v_mul_u32_u24_sdwa v64, v34, v15 dst_sel:DWORD dst_unused:UNUSED_PAD src0_sel:WORD_1 src1_sel:DWORD
	v_pk_fma_f16 v8, v17, v29, v8
	v_pk_fma_f16 v20, v16, v29, v20
	;; [unrolled: 1-line block ×4, first 2 shown]
	s_waitcnt lgkmcnt(1)
	v_mul_u32_u24_sdwa v28, v44, v15 dst_sel:DWORD dst_unused:UNUSED_PAD src0_sel:WORD_0 src1_sel:DWORD
	v_pk_fma_f16 v8, v19, v37, v8
	v_pk_fma_f16 v20, v18, v37, v20
	v_mul_u32_u24_sdwa v29, v44, v15 dst_sel:DWORD dst_unused:UNUSED_PAD src0_sel:WORD_1 src1_sel:DWORD
	v_pk_fma_f16 v17, v19, v64, v17
	v_pk_fma_f16 v16, v18, v64, v16
	ds_read2_b64 v[40:43], v38 offset1:32
	ds_read_b128 v[1:4], v73 offset:35168
	ds_read_b128 v[52:55], v73 offset:35184
	v_mul_u32_u24_sdwa v35, v45, v15 dst_sel:DWORD dst_unused:UNUSED_PAD src0_sel:WORD_0 src1_sel:DWORD
	v_mul_u32_u24_sdwa v36, v45, v15 dst_sel:DWORD dst_unused:UNUSED_PAD src0_sel:WORD_1 src1_sel:DWORD
	v_pk_fma_f16 v8, v61, v28, v8
	v_pk_fma_f16 v37, v61, v29, v17
	;; [unrolled: 1-line block ×4, first 2 shown]
	v_mul_u32_u24_sdwa v60, v46, v15 dst_sel:DWORD dst_unused:UNUSED_PAD src0_sel:WORD_0 src1_sel:DWORD
	v_pk_fma_f16 v8, v63, v35, v8
	v_pk_fma_f16 v29, v63, v36, v37
	;; [unrolled: 1-line block ×4, first 2 shown]
	v_mul_u32_u24_sdwa v61, v46, v15 dst_sel:DWORD dst_unused:UNUSED_PAD src0_sel:WORD_1 src1_sel:DWORD
	ds_read2_b64 v[56:59], v38 offset0:64 offset1:96
	v_mul_u32_u24_sdwa v62, v47, v15 dst_sel:DWORD dst_unused:UNUSED_PAD src0_sel:WORD_0 src1_sel:DWORD
	v_mul_u32_u24_sdwa v63, v47, v15 dst_sel:DWORD dst_unused:UNUSED_PAD src0_sel:WORD_1 src1_sel:DWORD
	s_waitcnt lgkmcnt(4)
	v_pk_fma_f16 v8, v49, v60, v8
	v_pk_fma_f16 v20, v48, v60, v20
	;; [unrolled: 1-line block ×4, first 2 shown]
	s_waitcnt lgkmcnt(2)
	v_mul_u32_u24_sdwa v60, v1, v15 dst_sel:DWORD dst_unused:UNUSED_PAD src0_sel:WORD_0 src1_sel:DWORD
	v_mul_u32_u24_sdwa v48, v1, v15 dst_sel:DWORD dst_unused:UNUSED_PAD src0_sel:WORD_1 src1_sel:DWORD
	v_pk_fma_f16 v8, v51, v62, v8
	v_pk_fma_f16 v20, v50, v62, v20
	;; [unrolled: 1-line block ×4, first 2 shown]
	ds_read2_b64 v[31:34], v38 offset0:128 offset1:160
	v_mul_u32_u24_sdwa v49, v2, v15 dst_sel:DWORD dst_unused:UNUSED_PAD src0_sel:WORD_0 src1_sel:DWORD
	v_mul_u32_u24_sdwa v50, v2, v15 dst_sel:DWORD dst_unused:UNUSED_PAD src0_sel:WORD_1 src1_sel:DWORD
	v_pk_fma_f16 v8, v41, v60, v8
	v_pk_fma_f16 v20, v40, v60, v20
	;; [unrolled: 1-line block ×4, first 2 shown]
	v_mul_u32_u24_sdwa v51, v3, v15 dst_sel:DWORD dst_unused:UNUSED_PAD src0_sel:WORD_0 src1_sel:DWORD
	v_mul_u32_u24_sdwa v61, v3, v15 dst_sel:DWORD dst_unused:UNUSED_PAD src0_sel:WORD_1 src1_sel:DWORD
	v_pk_fma_f16 v8, v43, v49, v8
	v_pk_fma_f16 v20, v42, v49, v20
	;; [unrolled: 1-line block ×4, first 2 shown]
	ds_read2_b64 v[16:19], v38 offset0:192 offset1:224
	v_mul_u32_u24_sdwa v62, v4, v15 dst_sel:DWORD dst_unused:UNUSED_PAD src0_sel:WORD_0 src1_sel:DWORD
	v_mul_u32_u24_sdwa v63, v4, v15 dst_sel:DWORD dst_unused:UNUSED_PAD src0_sel:WORD_1 src1_sel:DWORD
	s_waitcnt lgkmcnt(2)
	v_pk_fma_f16 v8, v57, v51, v8
	v_pk_fma_f16 v20, v56, v51, v20
	;; [unrolled: 1-line block ×4, first 2 shown]
	ds_read_b128 v[24:27], v73 offset:35200
	ds_read_b128 v[40:43], v73 offset:35216
	v_mul_u32_u24_sdwa v60, v52, v15 dst_sel:DWORD dst_unused:UNUSED_PAD src0_sel:WORD_0 src1_sel:DWORD
	v_mul_u32_u24_sdwa v48, v52, v15 dst_sel:DWORD dst_unused:UNUSED_PAD src0_sel:WORD_1 src1_sel:DWORD
	v_pk_fma_f16 v8, v59, v62, v8
	v_pk_fma_f16 v20, v58, v62, v20
	v_pk_fma_f16 v29, v59, v63, v29
	v_pk_fma_f16 v28, v58, v63, v28
	ds_read2_b64 v[35:38], v39 offset1:32
	v_mul_u32_u24_sdwa v49, v53, v15 dst_sel:DWORD dst_unused:UNUSED_PAD src0_sel:WORD_0 src1_sel:DWORD
	v_mul_u32_u24_sdwa v52, v53, v15 dst_sel:DWORD dst_unused:UNUSED_PAD src0_sel:WORD_1 src1_sel:DWORD
	s_waitcnt lgkmcnt(4)
	v_pk_fma_f16 v8, v32, v60, v8
	v_pk_fma_f16 v20, v31, v60, v20
	;; [unrolled: 1-line block ×4, first 2 shown]
	v_mul_u32_u24_sdwa v53, v54, v15 dst_sel:DWORD dst_unused:UNUSED_PAD src0_sel:WORD_0 src1_sel:DWORD
	v_mul_u32_u24_sdwa v54, v54, v15 dst_sel:DWORD dst_unused:UNUSED_PAD src0_sel:WORD_1 src1_sel:DWORD
	v_pk_fma_f16 v8, v34, v49, v8
	v_pk_fma_f16 v20, v33, v49, v20
	;; [unrolled: 1-line block ×4, first 2 shown]
	ds_read2_b64 v[44:47], v39 offset0:64 offset1:96
	v_mul_u32_u24_sdwa v64, v55, v15 dst_sel:DWORD dst_unused:UNUSED_PAD src0_sel:WORD_0 src1_sel:DWORD
	v_mul_u32_u24_sdwa v65, v55, v15 dst_sel:DWORD dst_unused:UNUSED_PAD src0_sel:WORD_1 src1_sel:DWORD
	s_waitcnt lgkmcnt(4)
	v_pk_fma_f16 v8, v17, v53, v8
	v_pk_fma_f16 v20, v16, v53, v20
	;; [unrolled: 1-line block ×4, first 2 shown]
	s_waitcnt lgkmcnt(3)
	v_mul_u32_u24_sdwa v66, v24, v15 dst_sel:DWORD dst_unused:UNUSED_PAD src0_sel:WORD_0 src1_sel:DWORD
	v_mul_u32_u24_sdwa v56, v24, v15 dst_sel:DWORD dst_unused:UNUSED_PAD src0_sel:WORD_1 src1_sel:DWORD
	v_pk_fma_f16 v8, v19, v64, v8
	v_pk_fma_f16 v20, v18, v64, v20
	;; [unrolled: 1-line block ×4, first 2 shown]
	ds_read2_b64 v[1:4], v39 offset0:128 offset1:160
	v_mul_u32_u24_sdwa v57, v25, v15 dst_sel:DWORD dst_unused:UNUSED_PAD src0_sel:WORD_0 src1_sel:DWORD
	v_mul_u32_u24_sdwa v58, v25, v15 dst_sel:DWORD dst_unused:UNUSED_PAD src0_sel:WORD_1 src1_sel:DWORD
	s_waitcnt lgkmcnt(2)
	v_pk_fma_f16 v8, v36, v66, v8
	v_pk_fma_f16 v18, v35, v66, v20
	;; [unrolled: 1-line block ×4, first 2 shown]
	v_mul_u32_u24_sdwa v59, v26, v15 dst_sel:DWORD dst_unused:UNUSED_PAD src0_sel:WORD_0 src1_sel:DWORD
	v_mul_u32_u24_sdwa v61, v26, v15 dst_sel:DWORD dst_unused:UNUSED_PAD src0_sel:WORD_1 src1_sel:DWORD
	v_mul_u32_u24_sdwa v62, v27, v15 dst_sel:DWORD dst_unused:UNUSED_PAD src0_sel:WORD_0 src1_sel:DWORD
	v_mul_u32_u24_sdwa v63, v27, v15 dst_sel:DWORD dst_unused:UNUSED_PAD src0_sel:WORD_1 src1_sel:DWORD
	ds_read2_b64 v[24:27], v39 offset0:192 offset1:224
	v_mul_u32_u24_sdwa v28, v40, v15 dst_sel:DWORD dst_unused:UNUSED_PAD src0_sel:WORD_0 src1_sel:DWORD
	v_mul_u32_u24_sdwa v29, v40, v15 dst_sel:DWORD dst_unused:UNUSED_PAD src0_sel:WORD_1 src1_sel:DWORD
	v_mul_u32_u24_sdwa v60, v41, v15 dst_sel:DWORD dst_unused:UNUSED_PAD src0_sel:WORD_0 src1_sel:DWORD
	v_mul_u32_u24_sdwa v64, v41, v15 dst_sel:DWORD dst_unused:UNUSED_PAD src0_sel:WORD_1 src1_sel:DWORD
	v_pk_fma_f16 v8, v38, v57, v8
	v_pk_fma_f16 v39, v38, v58, v17
	;; [unrolled: 1-line block ×4, first 2 shown]
	v_mul_u32_u24_sdwa v66, v43, v15 dst_sel:DWORD dst_unused:UNUSED_PAD src0_sel:WORD_0 src1_sel:DWORD
	v_mul_u32_u24_sdwa v74, v43, v15 dst_sel:DWORD dst_unused:UNUSED_PAD src0_sel:WORD_1 src1_sel:DWORD
	s_waitcnt lgkmcnt(2)
	v_pk_fma_f16 v8, v45, v59, v8
	v_pk_fma_f16 v43, v45, v61, v39
	;; [unrolled: 1-line block ×4, first 2 shown]
	ds_read2_b64 v[48:51], v30 offset1:32
	ds_read2_b64 v[31:34], v30 offset0:64 offset1:96
	ds_read2_b64 v[52:55], v30 offset0:128 offset1:160
	v_mul_u32_u24_sdwa v65, v42, v15 dst_sel:DWORD dst_unused:UNUSED_PAD src0_sel:WORD_0 src1_sel:DWORD
	v_mul_u32_u24_sdwa v20, v42, v15 dst_sel:DWORD dst_unused:UNUSED_PAD src0_sel:WORD_1 src1_sel:DWORD
	ds_read_b128 v[16:19], v73 offset:35232
	ds_read_b128 v[35:38], v73 offset:35248
	ds_read2_b64 v[39:42], v30 offset0:192 offset1:224
	v_pk_fma_f16 v8, v47, v62, v8
	v_pk_fma_f16 v30, v47, v63, v43
	;; [unrolled: 1-line block ×4, first 2 shown]
	ds_read2_b64 v[43:46], v22 offset1:32
	s_waitcnt lgkmcnt(8)
	v_pk_fma_f16 v8, v2, v28, v8
	v_pk_fma_f16 v2, v2, v29, v30
	;; [unrolled: 1-line block ×4, first 2 shown]
	ds_read2_b64 v[56:59], v22 offset0:64 offset1:96
	v_pk_fma_f16 v8, v4, v60, v8
	v_pk_fma_f16 v29, v4, v64, v2
	;; [unrolled: 1-line block ×4, first 2 shown]
	ds_read2_b64 v[1:4], v22 offset0:128 offset1:160
	s_waitcnt lgkmcnt(9)
	v_pk_fma_f16 v8, v25, v65, v8
	v_pk_fma_f16 v25, v25, v20, v29
	;; [unrolled: 1-line block ×4, first 2 shown]
	s_waitcnt lgkmcnt(5)
	v_mul_u32_u24_sdwa v47, v16, v15 dst_sel:DWORD dst_unused:UNUSED_PAD src0_sel:WORD_0 src1_sel:DWORD
	v_mul_u32_u24_sdwa v16, v16, v15 dst_sel:DWORD dst_unused:UNUSED_PAD src0_sel:WORD_1 src1_sel:DWORD
	v_pk_fma_f16 v8, v27, v66, v8
	v_pk_fma_f16 v24, v27, v74, v25
	;; [unrolled: 1-line block ×4, first 2 shown]
	v_mul_u32_u24_sdwa v29, v17, v15 dst_sel:DWORD dst_unused:UNUSED_PAD src0_sel:WORD_0 src1_sel:DWORD
	v_mul_u32_u24_sdwa v17, v17, v15 dst_sel:DWORD dst_unused:UNUSED_PAD src0_sel:WORD_1 src1_sel:DWORD
	v_pk_fma_f16 v8, v49, v47, v8
	v_pk_fma_f16 v28, v49, v16, v24
	;; [unrolled: 1-line block ×4, first 2 shown]
	ds_read_b128 v[24:27], v73 offset:35264
	ds_read_b128 v[60:63], v73 offset:35280
	v_pk_fma_f16 v8, v51, v29, v8
	v_pk_fma_f16 v28, v51, v17, v28
	;; [unrolled: 1-line block ×3, first 2 shown]
	v_mul_u32_u24_sdwa v29, v18, v15 dst_sel:DWORD dst_unused:UNUSED_PAD src0_sel:WORD_0 src1_sel:DWORD
	v_pk_fma_f16 v30, v50, v17, v16
	ds_read2_b64 v[47:50], v22 offset0:192 offset1:224
	v_mul_u32_u24_sdwa v22, v18, v15 dst_sel:DWORD dst_unused:UNUSED_PAD src0_sel:WORD_1 src1_sel:DWORD
	v_mul_u32_u24_sdwa v51, v19, v15 dst_sel:DWORD dst_unused:UNUSED_PAD src0_sel:WORD_0 src1_sel:DWORD
	v_mul_u32_u24_sdwa v64, v19, v15 dst_sel:DWORD dst_unused:UNUSED_PAD src0_sel:WORD_1 src1_sel:DWORD
	v_pk_fma_f16 v8, v32, v29, v8
	v_pk_fma_f16 v20, v31, v29, v20
	;; [unrolled: 1-line block ×4, first 2 shown]
	s_waitcnt lgkmcnt(7)
	v_mul_u32_u24_sdwa v29, v35, v15 dst_sel:DWORD dst_unused:UNUSED_PAD src0_sel:WORD_0 src1_sel:DWORD
	v_pk_fma_f16 v8, v34, v51, v8
	v_pk_fma_f16 v20, v33, v51, v20
	v_mul_u32_u24_sdwa v32, v35, v15 dst_sel:DWORD dst_unused:UNUSED_PAD src0_sel:WORD_1 src1_sel:DWORD
	v_pk_fma_f16 v28, v34, v64, v28
	v_pk_fma_f16 v22, v33, v64, v22
	v_mul_u32_u24_sdwa v33, v36, v15 dst_sel:DWORD dst_unused:UNUSED_PAD src0_sel:WORD_0 src1_sel:DWORD
	v_mul_u32_u24_sdwa v34, v36, v15 dst_sel:DWORD dst_unused:UNUSED_PAD src0_sel:WORD_1 src1_sel:DWORD
	v_pk_fma_f16 v8, v53, v29, v8
	v_pk_fma_f16 v35, v53, v32, v28
	;; [unrolled: 1-line block ×4, first 2 shown]
	v_mul_u32_u24_sdwa v36, v37, v15 dst_sel:DWORD dst_unused:UNUSED_PAD src0_sel:WORD_0 src1_sel:DWORD
	v_pk_fma_f16 v8, v55, v33, v8
	v_pk_fma_f16 v55, v55, v34, v35
	;; [unrolled: 1-line block ×4, first 2 shown]
	v_mul_u32_u24_sdwa v37, v37, v15 dst_sel:DWORD dst_unused:UNUSED_PAD src0_sel:WORD_1 src1_sel:DWORD
	v_mul_u32_u24_sdwa v64, v38, v15 dst_sel:DWORD dst_unused:UNUSED_PAD src0_sel:WORD_0 src1_sel:DWORD
	v_mul_u32_u24_sdwa v38, v38, v15 dst_sel:DWORD dst_unused:UNUSED_PAD src0_sel:WORD_1 src1_sel:DWORD
	s_waitcnt lgkmcnt(6)
	v_pk_fma_f16 v8, v40, v36, v8
	v_pk_fma_f16 v20, v39, v36, v20
	v_pk_fma_f16 v36, v40, v37, v55
	v_pk_fma_f16 v22, v39, v37, v22
	s_waitcnt lgkmcnt(2)
	v_mul_u32_u24_sdwa v37, v24, v15 dst_sel:DWORD dst_unused:UNUSED_PAD src0_sel:WORD_0 src1_sel:DWORD
	v_pk_fma_f16 v8, v42, v64, v8
	v_pk_fma_f16 v20, v41, v64, v20
	v_mul_u32_u24_sdwa v39, v24, v15 dst_sel:DWORD dst_unused:UNUSED_PAD src0_sel:WORD_1 src1_sel:DWORD
	v_pk_fma_f16 v36, v42, v38, v36
	v_pk_fma_f16 v22, v41, v38, v22
	v_mul_u32_u24_sdwa v38, v25, v15 dst_sel:DWORD dst_unused:UNUSED_PAD src0_sel:WORD_0 src1_sel:DWORD
	v_mul_u32_u24_sdwa v40, v25, v15 dst_sel:DWORD dst_unused:UNUSED_PAD src0_sel:WORD_1 src1_sel:DWORD
	v_pk_fma_f16 v8, v44, v37, v8
	v_pk_fma_f16 v20, v43, v37, v20
	v_pk_fma_f16 v36, v44, v39, v36
	v_pk_fma_f16 v22, v43, v39, v22
	v_mul_u32_u24_sdwa v41, v26, v15 dst_sel:DWORD dst_unused:UNUSED_PAD src0_sel:WORD_0 src1_sel:DWORD
	v_mul_u32_u24_sdwa v42, v26, v15 dst_sel:DWORD dst_unused:UNUSED_PAD src0_sel:WORD_1 src1_sel:DWORD
	v_pk_fma_f16 v8, v46, v38, v8
	v_pk_fma_f16 v20, v45, v38, v20
	;; [unrolled: 6-line block ×3, first 2 shown]
	v_pk_fma_f16 v41, v57, v42, v46
	v_pk_fma_f16 v22, v56, v42, v22
	ds_read_b128 v[28:31], v73 offset:35296
	ds_read_b128 v[24:27], v73 offset:35312
	s_waitcnt lgkmcnt(3)
	v_mul_u32_u24_sdwa v65, v60, v15 dst_sel:DWORD dst_unused:UNUSED_PAD src0_sel:WORD_0 src1_sel:DWORD
	v_mul_u32_u24_sdwa v43, v60, v15 dst_sel:DWORD dst_unused:UNUSED_PAD src0_sel:WORD_1 src1_sel:DWORD
	v_pk_fma_f16 v8, v59, v55, v8
	v_pk_fma_f16 v20, v58, v55, v20
	;; [unrolled: 1-line block ×4, first 2 shown]
	ds_read2_b64 v[16:19], v23 offset1:32
	v_mul_u32_u24_sdwa v44, v61, v15 dst_sel:DWORD dst_unused:UNUSED_PAD src0_sel:WORD_0 src1_sel:DWORD
	v_mul_u32_u24_sdwa v40, v61, v15 dst_sel:DWORD dst_unused:UNUSED_PAD src0_sel:WORD_1 src1_sel:DWORD
	v_pk_fma_f16 v8, v2, v65, v8
	v_pk_fma_f16 v2, v2, v43, v41
	;; [unrolled: 1-line block ×4, first 2 shown]
	v_mul_u32_u24_sdwa v45, v62, v15 dst_sel:DWORD dst_unused:UNUSED_PAD src0_sel:WORD_0 src1_sel:DWORD
	v_mul_u32_u24_sdwa v60, v62, v15 dst_sel:DWORD dst_unused:UNUSED_PAD src0_sel:WORD_1 src1_sel:DWORD
	v_pk_fma_f16 v8, v4, v44, v8
	v_pk_fma_f16 v2, v4, v40, v2
	;; [unrolled: 1-line block ×4, first 2 shown]
	ds_read2_b64 v[32:35], v23 offset0:64 offset1:96
	v_mul_u32_u24_sdwa v61, v63, v15 dst_sel:DWORD dst_unused:UNUSED_PAD src0_sel:WORD_0 src1_sel:DWORD
	v_mul_u32_u24_sdwa v62, v63, v15 dst_sel:DWORD dst_unused:UNUSED_PAD src0_sel:WORD_1 src1_sel:DWORD
	s_waitcnt lgkmcnt(4)
	v_pk_fma_f16 v8, v48, v45, v8
	v_pk_fma_f16 v2, v48, v60, v2
	;; [unrolled: 1-line block ×4, first 2 shown]
	ds_read2_b64 v[51:54], v23 offset0:128 offset1:160
	ds_read2_b64 v[36:39], v23 offset0:192 offset1:224
	s_waitcnt lgkmcnt(5)
	v_mul_u32_u24_sdwa v23, v28, v15 dst_sel:DWORD dst_unused:UNUSED_PAD src0_sel:WORD_0 src1_sel:DWORD
	v_mul_u32_u24_sdwa v28, v28, v15 dst_sel:DWORD dst_unused:UNUSED_PAD src0_sel:WORD_1 src1_sel:DWORD
	v_pk_fma_f16 v8, v50, v61, v8
	v_pk_fma_f16 v2, v50, v62, v2
	v_pk_fma_f16 v4, v49, v61, v4
	v_pk_fma_f16 v1, v49, v62, v1
	v_mul_u32_u24_sdwa v42, v29, v15 dst_sel:DWORD dst_unused:UNUSED_PAD src0_sel:WORD_0 src1_sel:DWORD
	v_mul_u32_u24_sdwa v29, v29, v15 dst_sel:DWORD dst_unused:UNUSED_PAD src0_sel:WORD_1 src1_sel:DWORD
	s_waitcnt lgkmcnt(3)
	v_pk_fma_f16 v8, v17, v23, v8
	v_pk_fma_f16 v2, v17, v28, v2
	v_pk_fma_f16 v4, v16, v23, v4
	v_pk_fma_f16 v1, v16, v28, v1
	v_mul_u32_u24_sdwa v46, v30, v15 dst_sel:DWORD dst_unused:UNUSED_PAD src0_sel:WORD_0 src1_sel:DWORD
	v_mul_u32_u24_sdwa v30, v30, v15 dst_sel:DWORD dst_unused:UNUSED_PAD src0_sel:WORD_1 src1_sel:DWORD
	v_pk_fma_f16 v8, v19, v42, v8
	v_pk_fma_f16 v2, v19, v29, v2
	v_pk_fma_f16 v4, v18, v42, v4
	v_pk_fma_f16 v1, v18, v29, v1
	v_mul_u32_u24_sdwa v22, v31, v15 dst_sel:DWORD dst_unused:UNUSED_PAD src0_sel:WORD_0 src1_sel:DWORD
	v_mul_u32_u24_sdwa v3, v31, v15 dst_sel:DWORD dst_unused:UNUSED_PAD src0_sel:WORD_1 src1_sel:DWORD
	s_waitcnt lgkmcnt(2)
	v_pk_fma_f16 v8, v33, v46, v8
	v_pk_fma_f16 v2, v33, v30, v2
	v_pk_fma_f16 v4, v32, v46, v4
	v_pk_fma_f16 v1, v32, v30, v1
	;; [unrolled: 13-line block ×4, first 2 shown]
	v_mov_b32_e32 v34, v6
	v_mov_b32_e32 v8, v21
	v_pk_fma_f16 v78, v39, v19, v16
	v_pk_fma_f16 v77, v39, v15, v2
	;; [unrolled: 1-line block ×4, first 2 shown]
	v_mov_b32_e32 v33, v5
	s_barrier
	buffer_gl0_inv
.LBB88_138:
	v_cmp_lt_i32_e32 vcc_lo, v10, v12
	s_cmp_eq_u64 s[20:21], 0
	s_cselect_b32 s6, -1, 0
	s_cmp_lg_u32 s34, 0
	v_cndmask_b32_e32 v1, v72, v10, vcc_lo
	v_cmp_lt_i32_e32 vcc_lo, v9, v12
	s_cselect_b32 s7, -1, 0
	s_or_b32 s6, s7, s6
	v_lshlrev_b32_e32 v1, 2, v1
	v_cndmask_b32_e32 v3, v72, v9, vcc_lo
	v_cmp_lt_i32_e32 vcc_lo, v11, v12
	ds_bpermute_b32 v2, v1, v7
	ds_bpermute_b32 v1, v1, v8
	v_lshlrev_b32_e32 v3, 2, v3
	v_cndmask_b32_e32 v5, v72, v11, vcc_lo
	v_cmp_lt_i32_e32 vcc_lo, v13, v12
	v_lshlrev_b32_e32 v5, 2, v5
	s_waitcnt lgkmcnt(1)
	v_add_f32_e32 v2, v7, v2
	s_waitcnt lgkmcnt(0)
	v_add_f32_e32 v1, v8, v1
	ds_bpermute_b32 v4, v3, v2
	ds_bpermute_b32 v3, v3, v1
	s_waitcnt lgkmcnt(1)
	v_add_f32_e32 v2, v2, v4
	s_waitcnt lgkmcnt(0)
	v_add_f32_e32 v1, v1, v3
	ds_bpermute_b32 v3, v5, v2
	ds_bpermute_b32 v4, v5, v1
	v_cndmask_b32_e32 v5, v72, v13, vcc_lo
	v_cmp_lt_i32_e32 vcc_lo, v14, v12
	v_lshlrev_b32_e32 v5, 2, v5
	s_waitcnt lgkmcnt(1)
	v_add_f32_e32 v2, v2, v3
	s_waitcnt lgkmcnt(0)
	v_add_f32_e32 v1, v1, v4
	ds_bpermute_b32 v3, v5, v2
	ds_bpermute_b32 v4, v5, v1
	v_cndmask_b32_e32 v5, v72, v14, vcc_lo
	s_and_b32 vcc_lo, exec_lo, s6
	v_lshlrev_b32_e32 v5, 2, v5
	s_waitcnt lgkmcnt(1)
	v_add_f32_e32 v2, v2, v3
	s_waitcnt lgkmcnt(0)
	v_add_f32_e32 v3, v1, v4
	ds_bpermute_b32 v1, v5, v2
	ds_bpermute_b32 v4, v5, v3
	s_waitcnt lgkmcnt(1)
	v_add_f32_e32 v1, v2, v1
	s_waitcnt lgkmcnt(0)
	v_add_f32_e32 v2, v3, v4
	s_cbranch_vccnz .LBB88_140
; %bb.139:
	s_lshl_b64 s[6:7], s[44:45], 2
	v_mov_b32_e32 v3, 0
	s_add_u32 s6, s20, s6
	s_addc_u32 s7, s21, s7
	v_max_f32_e32 v4, v33, v33
	v_max_f32_e32 v7, v34, v34
	global_load_dword v3, v3, s[6:7]
	s_waitcnt vmcnt(0)
	v_max_f32_e32 v6, v3, v3
	v_max_f32_e32 v5, v4, v6
	;; [unrolled: 1-line block ×3, first 2 shown]
	v_sub_f32_e32 v4, v33, v5
	v_sub_f32_e32 v7, v3, v5
	;; [unrolled: 1-line block ×4, first 2 shown]
	v_mov_b32_e32 v34, v6
	v_mul_f32_e32 v3, 0x3fb8aa3b, v4
	v_mul_f32_e32 v10, 0x3fb8aa3b, v7
	;; [unrolled: 1-line block ×4, first 2 shown]
	v_cmp_ngt_f32_e32 vcc_lo, 0xc2ce8ed0, v4
	v_fma_f32 v13, 0x3fb8aa3b, v4, -v3
	v_rndne_f32_e32 v14, v3
	v_fma_f32 v15, 0x3fb8aa3b, v7, -v10
	v_rndne_f32_e32 v16, v10
	v_fma_f32 v17, 0x3fb8aa3b, v8, -v11
	v_fmac_f32_e32 v13, 0x32a5705f, v4
	v_sub_f32_e32 v3, v3, v14
	v_rndne_f32_e32 v18, v11
	v_fmac_f32_e32 v15, 0x32a5705f, v7
	v_sub_f32_e32 v10, v10, v16
	v_fma_f32 v19, 0x3fb8aa3b, v9, -v12
	v_add_f32_e32 v3, v3, v13
	v_rndne_f32_e32 v20, v12
	v_fmac_f32_e32 v17, 0x32a5705f, v8
	v_sub_f32_e32 v11, v11, v18
	v_add_f32_e32 v10, v10, v15
	v_exp_f32_e32 v3, v3
	v_fmac_f32_e32 v19, 0x32a5705f, v9
	v_sub_f32_e32 v12, v12, v20
	v_add_f32_e32 v11, v11, v17
	v_exp_f32_e32 v10, v10
	v_cvt_i32_f32_e32 v13, v14
	v_cvt_i32_f32_e32 v14, v16
	v_add_f32_e32 v12, v12, v19
	v_exp_f32_e32 v11, v11
	v_cvt_i32_f32_e32 v15, v18
	v_ldexp_f32 v3, v3, v13
	v_cvt_i32_f32_e32 v16, v20
	v_exp_f32_e32 v12, v12
	v_mov_b32_e32 v17, 0x10001
	v_ldexp_f32 v10, v10, v14
	v_cndmask_b32_e32 v3, 0, v3, vcc_lo
	v_cmp_ngt_f32_e32 vcc_lo, 0xc2ce8ed0, v7
	v_mov_b32_e32 v33, v5
	v_ldexp_f32 v11, v11, v15
	v_cndmask_b32_e32 v10, 0, v10, vcc_lo
	v_cmp_ngt_f32_e32 vcc_lo, 0xc2ce8ed0, v8
	v_ldexp_f32 v12, v12, v16
	v_cndmask_b32_e32 v11, 0, v11, vcc_lo
	v_cmp_ngt_f32_e32 vcc_lo, 0xc2ce8ed0, v9
	v_cndmask_b32_e32 v12, 0, v12, vcc_lo
	v_cmp_nlt_f32_e32 vcc_lo, 0x42b17218, v4
	v_cndmask_b32_e32 v13, 0x7f800000, v3, vcc_lo
	v_cmp_nlt_f32_e32 vcc_lo, 0x42b17218, v7
	;; [unrolled: 2-line block ×3, first 2 shown]
	v_cvt_f16_f32_e32 v8, v13
	v_fmac_f32_e32 v3, v1, v13
	v_cndmask_b32_e32 v7, 0x7f800000, v11, vcc_lo
	v_cmp_nlt_f32_e32 vcc_lo, 0x42b17218, v9
	v_cvt_f16_f32_e32 v9, v7
	v_cndmask_b32_e32 v4, 0x7f800000, v12, vcc_lo
	v_fmac_f32_e32 v4, v2, v7
	v_mul_u32_u24_sdwa v7, v8, v17 dst_sel:DWORD dst_unused:UNUSED_PAD src0_sel:WORD_0 src1_sel:DWORD
	v_mul_u32_u24_sdwa v8, v9, v17 dst_sel:DWORD dst_unused:UNUSED_PAD src0_sel:WORD_0 src1_sel:DWORD
	v_mov_b32_e32 v1, v3
	v_mov_b32_e32 v2, v4
	v_pk_mul_f16 v76, v76, v7
	v_pk_mul_f16 v78, v78, v7
	;; [unrolled: 1-line block ×4, first 2 shown]
	s_mov_b32 s6, exec_lo
	v_cmpx_gt_i32_e64 s30, v70
	s_cbranch_execnz .LBB88_141
	s_branch .LBB88_150
.LBB88_140:
	v_mov_b32_e32 v3, v1
	v_mov_b32_e32 v4, v2
	s_mov_b32 s6, exec_lo
	v_cmpx_gt_i32_e64 s30, v70
	s_cbranch_execz .LBB88_150
.LBB88_141:
	s_load_dword s5, s[4:5], 0xd4
	v_mov_b32_e32 v7, 1.0
	s_waitcnt lgkmcnt(0)
	s_cmp_lg_u32 s5, 1
	s_cselect_b32 s8, -1, 0
	s_cmp_eq_u32 s5, 1
	s_cselect_b32 s6, -1, 0
	s_and_b32 vcc_lo, exec_lo, s8
	s_cbranch_vccnz .LBB88_143
; %bb.142:
	v_div_scale_f32 v5, null, v3, v3, 1.0
	v_rcp_f32_e32 v6, v5
	v_fma_f32 v7, -v5, v6, 1.0
	v_fmac_f32_e32 v6, v7, v6
	v_div_scale_f32 v7, vcc_lo, 1.0, v3, 1.0
	v_mul_f32_e32 v8, v7, v6
	v_fma_f32 v9, -v5, v8, v7
	v_fmac_f32_e32 v8, v9, v6
	v_fma_f32 v5, -v5, v8, v7
	v_div_fmas_f32 v5, v5, v6, v8
	v_div_fixup_f32 v7, v5, v3, 1.0
.LBB88_143:
	s_mul_i32 s7, s33, s30
	v_mov_b32_e32 v9, 0
	s_add_i32 s7, s7, s35
	v_cmp_eq_u32_e32 vcc_lo, 0, v0
	v_add_nc_u32_e32 v3, s7, v69
	v_cvt_f32_f16_e32 v0, v76
	v_cvt_f32_f16_sdwa v11, v78 dst_sel:DWORD dst_unused:UNUSED_PAD src0_sel:WORD_1
	v_mad_u64_u32 v[5:6], null, v3, s31, s[44:45]
	v_cvt_f32_f16_sdwa v3, v76 dst_sel:DWORD dst_unused:UNUSED_PAD src0_sel:WORD_1
	v_mul_f32_e32 v11, v7, v11
	v_mad_u64_u32 v[5:6], null, s5, v5, s[34:35]
	v_cvt_f32_f16_e32 v6, v78
	v_mul_f32_e32 v10, v7, v6
	v_lshl_add_u32 v8, v5, 7, v71
	v_lshlrev_b64 v[12:13], 2, v[8:9]
	v_mul_f32_e32 v8, v7, v0
	v_mul_f32_e32 v9, v7, v3
	v_add_co_u32 v6, s4, s24, v12
	v_add_co_ci_u32_e64 v7, null, s25, v13, s4
	s_and_b32 s4, vcc_lo, s8
	global_store_dwordx4 v[6:7], v[8:11], off
	s_and_saveexec_b32 s8, s4
	s_cbranch_execz .LBB88_145
; %bb.144:
	v_ashrrev_i32_e32 v6, 31, v5
	v_mov_b32_e32 v0, v33
	v_lshlrev_b64 v[5:6], 3, v[5:6]
	v_add_co_u32 v5, vcc_lo, s26, v5
	v_add_co_ci_u32_e64 v6, null, s27, v6, vcc_lo
	global_store_dwordx2 v[5:6], v[0:1], off
.LBB88_145:
	s_or_b32 exec_lo, exec_lo, s8
	v_cmp_gt_i32_e32 vcc_lo, s30, v68
	s_and_b32 exec_lo, exec_lo, vcc_lo
	s_cbranch_execz .LBB88_150
; %bb.146:
	v_mov_b32_e32 v3, 1.0
	s_andn2_b32 vcc_lo, exec_lo, s6
	s_cbranch_vccnz .LBB88_148
; %bb.147:
	v_div_scale_f32 v0, null, v4, v4, 1.0
	v_rcp_f32_e32 v1, v0
	v_fma_f32 v3, -v0, v1, 1.0
	v_fmac_f32_e32 v1, v3, v1
	v_div_scale_f32 v3, vcc_lo, 1.0, v4, 1.0
	v_mul_f32_e32 v5, v3, v1
	v_fma_f32 v6, -v0, v5, v3
	v_fmac_f32_e32 v5, v6, v1
	v_fma_f32 v0, -v0, v5, v3
	v_div_fmas_f32 v0, v0, v1, v5
	v_div_fixup_f32 v3, v0, v4, 1.0
.LBB88_148:
	v_add_nc_u32_e32 v0, s7, v67
	v_mov_b32_e32 v5, 0
	v_cvt_f32_f16_sdwa v6, v75 dst_sel:DWORD dst_unused:UNUSED_PAD src0_sel:WORD_1
	v_cvt_f32_f16_e32 v7, v77
	v_cvt_f32_f16_sdwa v10, v77 dst_sel:DWORD dst_unused:UNUSED_PAD src0_sel:WORD_1
	v_mad_u64_u32 v[0:1], null, v0, s31, s[44:45]
	v_mad_u64_u32 v[0:1], null, s5, v0, s[34:35]
	v_cvt_f32_f16_e32 v1, v75
	v_lshl_add_u32 v4, v0, 7, v71
	v_lshlrev_b64 v[8:9], 2, v[4:5]
	v_mul_f32_e32 v4, v3, v1
	v_mul_f32_e32 v5, v3, v6
	;; [unrolled: 1-line block ×4, first 2 shown]
	v_add_co_u32 v8, vcc_lo, s24, v8
	v_add_co_ci_u32_e64 v9, null, s25, v9, vcc_lo
	global_store_dwordx4 v[8:9], v[4:7], off
	s_and_b32 exec_lo, exec_lo, s4
	s_cbranch_execz .LBB88_150
; %bb.149:
	v_ashrrev_i32_e32 v1, 31, v0
	v_lshlrev_b64 v[0:1], 3, v[0:1]
	v_add_co_u32 v3, vcc_lo, s26, v0
	v_add_co_ci_u32_e64 v4, null, s27, v1, vcc_lo
	v_mov_b32_e32 v1, v34
	global_store_dwordx2 v[3:4], v[1:2], off
	s_endpgm
.LBB88_150:
	s_endpgm
	.section	.rodata,"a",@progbits
	.p2align	6, 0x0
	.amdhsa_kernel _ZL15flash_attn_tileILi128ELi128ELi16ELi1ELb1EEvPKcS1_S1_S1_S1_PKiPfP15HIP_vector_typeIfLj2EEffffjfiS5_IjLj3EEiiiiiiiiiiiliiliiiiil
		.amdhsa_group_segment_fixed_size 43008
		.amdhsa_private_segment_fixed_size 32
		.amdhsa_kernarg_size 464
		.amdhsa_user_sgpr_count 8
		.amdhsa_user_sgpr_private_segment_buffer 1
		.amdhsa_user_sgpr_dispatch_ptr 0
		.amdhsa_user_sgpr_queue_ptr 0
		.amdhsa_user_sgpr_kernarg_segment_ptr 1
		.amdhsa_user_sgpr_dispatch_id 0
		.amdhsa_user_sgpr_flat_scratch_init 1
		.amdhsa_user_sgpr_private_segment_size 0
		.amdhsa_wavefront_size32 1
		.amdhsa_uses_dynamic_stack 0
		.amdhsa_system_sgpr_private_segment_wavefront_offset 1
		.amdhsa_system_sgpr_workgroup_id_x 1
		.amdhsa_system_sgpr_workgroup_id_y 1
		.amdhsa_system_sgpr_workgroup_id_z 1
		.amdhsa_system_sgpr_workgroup_info 0
		.amdhsa_system_vgpr_workitem_id 1
		.amdhsa_next_free_vgpr 242
		.amdhsa_next_free_sgpr 53
		.amdhsa_reserve_vcc 1
		.amdhsa_reserve_flat_scratch 1
		.amdhsa_float_round_mode_32 0
		.amdhsa_float_round_mode_16_64 0
		.amdhsa_float_denorm_mode_32 3
		.amdhsa_float_denorm_mode_16_64 3
		.amdhsa_dx10_clamp 1
		.amdhsa_ieee_mode 1
		.amdhsa_fp16_overflow 0
		.amdhsa_workgroup_processor_mode 1
		.amdhsa_memory_ordered 1
		.amdhsa_forward_progress 1
		.amdhsa_shared_vgpr_count 0
		.amdhsa_exception_fp_ieee_invalid_op 0
		.amdhsa_exception_fp_denorm_src 0
		.amdhsa_exception_fp_ieee_div_zero 0
		.amdhsa_exception_fp_ieee_overflow 0
		.amdhsa_exception_fp_ieee_underflow 0
		.amdhsa_exception_fp_ieee_inexact 0
		.amdhsa_exception_int_div_zero 0
	.end_amdhsa_kernel
	.section	.text._ZL15flash_attn_tileILi128ELi128ELi16ELi1ELb1EEvPKcS1_S1_S1_S1_PKiPfP15HIP_vector_typeIfLj2EEffffjfiS5_IjLj3EEiiiiiiiiiiiliiliiiiil,"axG",@progbits,_ZL15flash_attn_tileILi128ELi128ELi16ELi1ELb1EEvPKcS1_S1_S1_S1_PKiPfP15HIP_vector_typeIfLj2EEffffjfiS5_IjLj3EEiiiiiiiiiiiliiliiiiil,comdat
.Lfunc_end88:
	.size	_ZL15flash_attn_tileILi128ELi128ELi16ELi1ELb1EEvPKcS1_S1_S1_S1_PKiPfP15HIP_vector_typeIfLj2EEffffjfiS5_IjLj3EEiiiiiiiiiiiliiliiiiil, .Lfunc_end88-_ZL15flash_attn_tileILi128ELi128ELi16ELi1ELb1EEvPKcS1_S1_S1_S1_PKiPfP15HIP_vector_typeIfLj2EEffffjfiS5_IjLj3EEiiiiiiiiiiiliiliiiiil
                                        ; -- End function
	.set _ZL15flash_attn_tileILi128ELi128ELi16ELi1ELb1EEvPKcS1_S1_S1_S1_PKiPfP15HIP_vector_typeIfLj2EEffffjfiS5_IjLj3EEiiiiiiiiiiiliiliiiiil.num_vgpr, 242
	.set _ZL15flash_attn_tileILi128ELi128ELi16ELi1ELb1EEvPKcS1_S1_S1_S1_PKiPfP15HIP_vector_typeIfLj2EEffffjfiS5_IjLj3EEiiiiiiiiiiiliiliiiiil.num_agpr, 0
	.set _ZL15flash_attn_tileILi128ELi128ELi16ELi1ELb1EEvPKcS1_S1_S1_S1_PKiPfP15HIP_vector_typeIfLj2EEffffjfiS5_IjLj3EEiiiiiiiiiiiliiliiiiil.numbered_sgpr, 53
	.set _ZL15flash_attn_tileILi128ELi128ELi16ELi1ELb1EEvPKcS1_S1_S1_S1_PKiPfP15HIP_vector_typeIfLj2EEffffjfiS5_IjLj3EEiiiiiiiiiiiliiliiiiil.num_named_barrier, 0
	.set _ZL15flash_attn_tileILi128ELi128ELi16ELi1ELb1EEvPKcS1_S1_S1_S1_PKiPfP15HIP_vector_typeIfLj2EEffffjfiS5_IjLj3EEiiiiiiiiiiiliiliiiiil.private_seg_size, 32
	.set _ZL15flash_attn_tileILi128ELi128ELi16ELi1ELb1EEvPKcS1_S1_S1_S1_PKiPfP15HIP_vector_typeIfLj2EEffffjfiS5_IjLj3EEiiiiiiiiiiiliiliiiiil.uses_vcc, 1
	.set _ZL15flash_attn_tileILi128ELi128ELi16ELi1ELb1EEvPKcS1_S1_S1_S1_PKiPfP15HIP_vector_typeIfLj2EEffffjfiS5_IjLj3EEiiiiiiiiiiiliiliiiiil.uses_flat_scratch, 1
	.set _ZL15flash_attn_tileILi128ELi128ELi16ELi1ELb1EEvPKcS1_S1_S1_S1_PKiPfP15HIP_vector_typeIfLj2EEffffjfiS5_IjLj3EEiiiiiiiiiiiliiliiiiil.has_dyn_sized_stack, 0
	.set _ZL15flash_attn_tileILi128ELi128ELi16ELi1ELb1EEvPKcS1_S1_S1_S1_PKiPfP15HIP_vector_typeIfLj2EEffffjfiS5_IjLj3EEiiiiiiiiiiiliiliiiiil.has_recursion, 0
	.set _ZL15flash_attn_tileILi128ELi128ELi16ELi1ELb1EEvPKcS1_S1_S1_S1_PKiPfP15HIP_vector_typeIfLj2EEffffjfiS5_IjLj3EEiiiiiiiiiiiliiliiiiil.has_indirect_call, 0
	.section	.AMDGPU.csdata,"",@progbits
; Kernel info:
; codeLenInByte = 52860
; TotalNumSgprs: 55
; NumVgprs: 242
; ScratchSize: 32
; MemoryBound: 0
; FloatMode: 240
; IeeeMode: 1
; LDSByteSize: 43008 bytes/workgroup (compile time only)
; SGPRBlocks: 0
; VGPRBlocks: 30
; NumSGPRsForWavesPerEU: 55
; NumVGPRsForWavesPerEU: 242
; Occupancy: 4
; WaveLimiterHint : 1
; COMPUTE_PGM_RSRC2:SCRATCH_EN: 1
; COMPUTE_PGM_RSRC2:USER_SGPR: 8
; COMPUTE_PGM_RSRC2:TRAP_HANDLER: 0
; COMPUTE_PGM_RSRC2:TGID_X_EN: 1
; COMPUTE_PGM_RSRC2:TGID_Y_EN: 1
; COMPUTE_PGM_RSRC2:TGID_Z_EN: 1
; COMPUTE_PGM_RSRC2:TIDIG_COMP_CNT: 1
	.section	.text._ZL15flash_attn_tileILi128ELi128ELi8ELi1ELb1EEvPKcS1_S1_S1_S1_PKiPfP15HIP_vector_typeIfLj2EEffffjfiS5_IjLj3EEiiiiiiiiiiiliiliiiiil,"axG",@progbits,_ZL15flash_attn_tileILi128ELi128ELi8ELi1ELb1EEvPKcS1_S1_S1_S1_PKiPfP15HIP_vector_typeIfLj2EEffffjfiS5_IjLj3EEiiiiiiiiiiiliiliiiiil,comdat
	.globl	_ZL15flash_attn_tileILi128ELi128ELi8ELi1ELb1EEvPKcS1_S1_S1_S1_PKiPfP15HIP_vector_typeIfLj2EEffffjfiS5_IjLj3EEiiiiiiiiiiiliiliiiiil ; -- Begin function _ZL15flash_attn_tileILi128ELi128ELi8ELi1ELb1EEvPKcS1_S1_S1_S1_PKiPfP15HIP_vector_typeIfLj2EEffffjfiS5_IjLj3EEiiiiiiiiiiiliiliiiiil
	.p2align	8
	.type	_ZL15flash_attn_tileILi128ELi128ELi8ELi1ELb1EEvPKcS1_S1_S1_S1_PKiPfP15HIP_vector_typeIfLj2EEffffjfiS5_IjLj3EEiiiiiiiiiiiliiliiiiil,@function
_ZL15flash_attn_tileILi128ELi128ELi8ELi1ELb1EEvPKcS1_S1_S1_S1_PKiPfP15HIP_vector_typeIfLj2EEffffjfiS5_IjLj3EEiiiiiiiiiiiliiliiiiil: ; @_ZL15flash_attn_tileILi128ELi128ELi8ELi1ELb1EEvPKcS1_S1_S1_S1_PKiPfP15HIP_vector_typeIfLj2EEffffjfiS5_IjLj3EEiiiiiiiiiiiliiliiiiil
; %bb.0:
	s_add_u32 s6, s6, s11
	s_addc_u32 s7, s7, 0
	s_setreg_b32 hwreg(HW_REG_FLAT_SCR_LO), s6
	s_setreg_b32 hwreg(HW_REG_FLAT_SCR_HI), s7
	s_clause 0x1
	s_load_dwordx4 s[28:31], s[4:5], 0x5c
	s_load_dwordx2 s[48:49], s[4:5], 0x80
	s_add_u32 s0, s0, s11
	s_addc_u32 s1, s1, 0
	s_mov_b32 s34, s9
	s_load_dwordx2 s[50:51], s[4:5], 0xb8
	s_mov_b64 s[46:47], 0
	s_waitcnt lgkmcnt(0)
	v_cvt_f32_u32_e32 v2, s31
	s_sub_i32 s7, 0, s31
	v_rcp_iflag_f32_e32 v2, v2
	v_mul_f32_e32 v2, 0x4f7ffffe, v2
	v_cvt_u32_f32_e32 v2, v2
	v_readfirstlane_b32 s6, v2
	s_mul_i32 s7, s7, s6
	s_mul_hi_u32 s7, s6, s7
	s_add_i32 s6, s6, s7
	s_mul_hi_u32 s6, s10, s6
	s_mul_i32 s7, s6, s31
	s_add_i32 s9, s6, 1
	s_sub_i32 s7, s10, s7
	s_sub_i32 s11, s7, s31
	s_cmp_ge_u32 s7, s31
	s_cselect_b32 s6, s9, s6
	s_cselect_b32 s7, s11, s7
	s_add_i32 s9, s6, 1
	s_cmp_ge_u32 s7, s31
	s_cselect_b32 s33, s9, s6
	s_abs_i32 s6, s49
	s_abs_i32 s12, s31
	v_cvt_f32_u32_e32 v2, s6
	s_sub_i32 s9, 0, s6
	s_mul_i32 s11, s33, s31
	s_sub_i32 s44, s10, s11
	v_rcp_iflag_f32_e32 v2, v2
	v_mul_f32_e32 v2, 0x4f7ffffe, v2
	v_cvt_u32_f32_e32 v2, v2
	v_readfirstlane_b32 s7, v2
	s_mul_i32 s9, s9, s7
	s_mul_hi_u32 s9, s7, s9
	s_add_i32 s7, s7, s9
	s_xor_b32 s9, s31, s49
	s_mul_hi_u32 s7, s12, s7
	s_ashr_i32 s9, s9, 31
	s_mul_i32 s10, s7, s6
	s_add_i32 s11, s7, 1
	s_sub_i32 s10, s12, s10
	s_sub_i32 s12, s10, s6
	s_cmp_ge_u32 s10, s6
	s_cselect_b32 s7, s11, s7
	s_cselect_b32 s10, s12, s10
	s_add_i32 s11, s7, 1
	s_cmp_ge_u32 s10, s6
	s_load_dwordx16 s[12:27], s[4:5], 0x0
	s_cselect_b32 s6, s11, s7
	s_abs_i32 s52, s44
	s_xor_b32 s6, s6, s9
	s_sub_i32 s10, s6, s9
	s_abs_i32 s49, s10
	v_cvt_f32_u32_e32 v2, s49
	s_sub_i32 s7, 0, s49
	v_rcp_iflag_f32_e32 v2, v2
	v_mul_f32_e32 v2, 0x4f7ffffe, v2
	v_cvt_u32_f32_e32 v2, v2
	v_readfirstlane_b32 s6, v2
	s_mul_i32 s7, s7, s6
	s_mul_hi_u32 s7, s6, s7
	s_add_i32 s6, s6, s7
	s_waitcnt lgkmcnt(0)
	s_cmp_eq_u64 s[18:19], 0
	s_cbranch_scc1 .LBB89_2
; %bb.1:
	s_abs_i32 s7, s50
	s_abs_i32 s35, s33
	v_cvt_f32_u32_e32 v2, s7
	s_sub_i32 s11, 0, s7
	s_load_dwordx2 s[36:37], s[4:5], 0xc8
	v_rcp_iflag_f32_e32 v2, v2
	v_mul_f32_e32 v2, 0x4f7ffffe, v2
	v_cvt_u32_f32_e32 v2, v2
	v_readfirstlane_b32 s9, v2
	s_mul_i32 s11, s11, s9
	s_mul_hi_u32 s11, s9, s11
	s_add_i32 s9, s9, s11
	s_ashr_i32 s11, s33, 31
	s_mul_hi_u32 s9, s35, s9
	s_mul_i32 s9, s9, s7
	s_sub_i32 s9, s35, s9
	s_sub_i32 s35, s9, s7
	s_cmp_ge_u32 s9, s7
	s_cselect_b32 s9, s35, s9
	s_sub_i32 s35, s9, s7
	s_cmp_ge_u32 s9, s7
	s_cselect_b32 s7, s35, s9
	s_xor_b32 s7, s7, s11
	s_sub_i32 s7, s7, s11
	s_ashr_i32 s9, s7, 31
	s_waitcnt lgkmcnt(0)
	s_mul_hi_u32 s11, s36, s7
	s_mul_i32 s9, s36, s9
	s_add_i32 s9, s11, s9
	s_mul_i32 s11, s37, s7
	s_mul_i32 s7, s36, s7
	s_add_i32 s9, s9, s11
	s_add_u32 s46, s18, s7
	s_addc_u32 s47, s19, s9
.LBB89_2:
	s_clause 0x1
	s_load_dwordx4 s[36:39], s[4:5], 0x40
	s_load_dwordx2 s[18:19], s[4:5], 0x50
	v_mov_b32_e32 v79, 1.0
	s_waitcnt lgkmcnt(0)
	v_cmp_le_f32_e64 s7, s37, 0
	s_mul_hi_u32 s37, s52, s6
	s_and_b32 vcc_lo, exec_lo, s7
	s_cbranch_vccnz .LBB89_4
; %bb.3:
	v_sub_co_u32 v3, vcc_lo, s44, s18
	v_mov_b32_e32 v2, s38
	s_add_i32 s6, s44, 1
	v_lshlrev_b32_e32 v3, 1, v3
	v_cndmask_b32_e32 v2, s39, v2, vcc_lo
	v_or_b32_e32 v3, 1, v3
	v_cndmask_b32_e64 v3, v3, s6, vcc_lo
	v_cmp_neq_f32_e32 vcc_lo, 1.0, v2
	s_mov_b32 s6, 0x3e76c4e1
	v_cvt_f32_i32_e32 v3, v3
	v_cndmask_b32_e32 v4, 1.0, v3, vcc_lo
	v_cmp_neq_f32_e32 vcc_lo, 0, v4
	v_cndmask_b32_e32 v5, 1.0, v2, vcc_lo
	v_frexp_mant_f32_e64 v2, |v5|
	v_cmp_eq_f32_e64 s9, 0, v5
	v_cmp_gt_f32_e32 vcc_lo, 0x3f2aaaab, v2
	v_cndmask_b32_e64 v3, 1.0, 2.0, vcc_lo
	v_mul_f32_e32 v2, v2, v3
	v_add_f32_e32 v3, 1.0, v2
	v_add_f32_e32 v7, -1.0, v2
	v_rcp_f32_e32 v6, v3
	v_add_f32_e32 v9, -1.0, v3
	v_sub_f32_e32 v2, v2, v9
	v_mul_f32_e32 v8, v7, v6
	v_mul_f32_e32 v10, v3, v8
	v_fma_f32 v3, v8, v3, -v10
	v_fmac_f32_e32 v3, v8, v2
	v_add_f32_e32 v2, v10, v3
	v_sub_f32_e32 v9, v7, v2
	v_sub_f32_e32 v10, v2, v10
	;; [unrolled: 1-line block ×5, first 2 shown]
	v_add_f32_e32 v2, v3, v2
	v_add_f32_e32 v2, v9, v2
	v_mul_f32_e32 v2, v6, v2
	v_add_f32_e32 v6, v8, v2
	v_sub_f32_e32 v3, v6, v8
	v_mul_f32_e32 v7, v6, v6
	v_sub_f32_e32 v8, v2, v3
	v_fma_f32 v2, v6, v6, -v7
	v_add_f32_e32 v3, v8, v8
	v_fmac_f32_e32 v2, v6, v3
	v_add_f32_e32 v9, v7, v2
	v_fmaak_f32 v3, s6, v9, 0x3e91f4c4
	v_sub_f32_e32 v7, v9, v7
	v_mul_f32_e32 v14, v6, v9
	v_fmaak_f32 v3, v9, v3, 0x3ecccdef
	v_sub_f32_e32 v7, v2, v7
	v_fma_f32 v15, v9, v6, -v14
	v_mul_f32_e32 v10, v9, v3
	v_fmac_f32_e32 v15, v9, v8
	v_ldexp_f32 v8, v8, 1
	v_fma_f32 v11, v9, v3, -v10
	v_fmac_f32_e32 v15, v7, v6
	v_fmac_f32_e32 v11, v7, v3
	v_cvt_f64_f32_e64 v[2:3], |v5|
	v_add_f32_e32 v12, v10, v11
	v_sub_f32_e32 v10, v12, v10
	v_add_f32_e32 v13, 0x3f2aaaaa, v12
	v_sub_f32_e32 v10, v11, v10
	v_add_f32_e32 v11, 0xbf2aaaaa, v13
	v_add_f32_e32 v10, 0x31739010, v10
	v_sub_f32_e32 v11, v12, v11
	v_frexp_exp_i32_f64_e32 v2, v[2:3]
	v_add_f32_e32 v9, v10, v11
	v_add_f32_e32 v10, v14, v15
	v_add_f32_e32 v7, v13, v9
	v_sub_f32_e32 v12, v10, v14
	v_sub_f32_e32 v3, v13, v7
	v_mul_f32_e32 v11, v10, v7
	v_sub_f32_e32 v12, v15, v12
	v_add_f32_e32 v3, v9, v3
	v_fma_f32 v9, v10, v7, -v11
	v_subrev_co_ci_u32_e64 v2, null, 0, v2, vcc_lo
	v_fmac_f32_e32 v9, v10, v3
	v_ldexp_f32 v3, v6, 1
	v_cvt_f32_i32_e32 v2, v2
	v_fmac_f32_e32 v9, v12, v7
	v_add_f32_e32 v6, v11, v9
	v_add_f32_e32 v7, v3, v6
	v_sub_f32_e32 v10, v6, v11
	v_mul_f32_e32 v11, 0x3f317218, v2
	v_sub_f32_e32 v3, v7, v3
	v_sub_f32_e32 v9, v9, v10
	v_fma_f32 v10, 0x3f317218, v2, -v11
	v_sub_f32_e32 v3, v6, v3
	v_add_f32_e32 v6, v8, v9
	v_fmamk_f32 v2, v2, 0xb102e308, v10
	v_add_f32_e32 v3, v6, v3
	v_add_f32_e32 v6, v11, v2
	;; [unrolled: 1-line block ×3, first 2 shown]
	v_sub_f32_e32 v11, v6, v11
	v_add_f32_e32 v9, v6, v8
	v_sub_f32_e32 v7, v8, v7
	v_sub_f32_e32 v2, v2, v11
	;; [unrolled: 1-line block ×6, first 2 shown]
	v_add_f32_e32 v8, v2, v3
	v_sub_f32_e32 v6, v6, v12
	v_add_f32_e32 v6, v7, v6
	v_sub_f32_e32 v7, v8, v2
	;; [unrolled: 2-line block ×3, first 2 shown]
	v_sub_f32_e32 v3, v3, v7
	v_add_f32_e32 v10, v9, v6
	v_sub_f32_e32 v2, v2, v8
	v_sub_f32_e32 v7, v10, v9
	v_add_f32_e32 v2, v3, v2
	v_sub_f32_e32 v3, v6, v7
	v_add_f32_e32 v2, v2, v3
	v_add_f32_e32 v3, v10, v2
	v_sub_f32_e32 v6, v3, v10
	v_mul_f32_e32 v7, v4, v3
	v_sub_f32_e32 v2, v2, v6
	v_fma_f32 v3, v4, v3, -v7
	v_cmp_class_f32_e64 vcc_lo, v7, 0x204
	v_fmac_f32_e32 v3, v4, v2
	v_add_f32_e32 v2, v7, v3
	v_cndmask_b32_e32 v6, v2, v7, vcc_lo
	v_sub_f32_e32 v2, v2, v7
	v_cmp_eq_f32_e32 vcc_lo, 0x42b17218, v6
	v_sub_f32_e32 v2, v3, v2
	v_cndmask_b32_e64 v8, 0, 0x37000000, vcc_lo
	v_cmp_neq_f32_e64 vcc_lo, 0x7f800000, |v6|
	v_sub_f32_e32 v9, v6, v8
	v_cndmask_b32_e32 v2, 0, v2, vcc_lo
	v_trunc_f32_e32 v6, v4
	v_mul_f32_e32 v10, 0x3fb8aa3b, v9
	v_cmp_ngt_f32_e32 vcc_lo, 0xc2ce8ed0, v9
	v_add_f32_e32 v2, v8, v2
	v_fma_f32 v11, 0x3fb8aa3b, v9, -v10
	v_rndne_f32_e32 v12, v10
	v_fmamk_f32 v11, v9, 0x32a5705f, v11
	v_sub_f32_e32 v10, v10, v12
	v_cvt_i32_f32_e32 v7, v12
	v_add_f32_e32 v10, v10, v11
	v_exp_f32_e32 v10, v10
	v_ldexp_f32 v3, v10, v7
	v_mul_f32_e32 v7, 0.5, v4
	v_cndmask_b32_e32 v3, 0, v3, vcc_lo
	v_cmp_nlt_f32_e32 vcc_lo, 0x42b17218, v9
	v_trunc_f32_e32 v10, v7
	v_cndmask_b32_e32 v3, 0x7f800000, v3, vcc_lo
	v_cmp_eq_f32_e32 vcc_lo, v6, v4
	v_cmp_neq_f32_e64 s6, v10, v7
	v_fma_f32 v2, v3, v2, v3
	v_cmp_class_f32_e64 s7, v3, 0x204
	s_and_b32 s6, vcc_lo, s6
	v_cndmask_b32_e64 v6, 1.0, v5, s6
	v_cndmask_b32_e64 v2, v2, v3, s7
	v_cmp_gt_f32_e64 s7, 0, v4
	v_bfi_b32 v2, 0x7fffffff, v2, v6
	s_xor_b32 s7, s7, s9
	v_cndmask_b32_e64 v6, 0, v5, s6
	v_cndmask_b32_e64 v3, 0x7f800000, 0, s7
	v_cmp_class_f32_e64 s6, v5, 0x204
	v_cndmask_b32_e32 v4, 0x7fc00000, v2, vcc_lo
	v_cmp_gt_f32_e32 vcc_lo, 0, v5
	v_bfi_b32 v3, 0x7fffffff, v3, v6
	v_cndmask_b32_e32 v2, v2, v4, vcc_lo
	s_or_b32 vcc_lo, s9, s6
	v_cndmask_b32_e32 v2, v2, v3, vcc_lo
	v_cmp_o_f32_e32 vcc_lo, v5, v5
	v_cndmask_b32_e32 v79, 0x7fc00000, v2, vcc_lo
.LBB89_4:
	v_lshlrev_b32_e32 v85, 1, v1
	s_lshl_b32 s18, s8, 3
	s_load_dwordx4 s[40:43], s[4:5], 0x70
	s_ashr_i32 s45, s44, 31
	s_ashr_i32 s38, s10, 31
	v_or_b32_e32 v52, 1, v85
	v_add_nc_u32_e32 v84, s18, v85
	v_lshlrev_b32_e32 v74, 3, v0
	v_lshlrev_b32_e32 v82, 9, v1
	v_mov_b32_e32 v75, 0
	v_add_nc_u32_e32 v53, s18, v52
	v_mul_hi_u32 v2, v84, s28
	v_or_b32_e32 v10, 0x2400, v74
	v_mul_hi_u32 v3, v53, s28
	v_add_nc_u32_e32 v11, v10, v82
	v_add_nc_u32_e32 v2, v84, v2
	s_waitcnt lgkmcnt(0)
	s_mul_i32 s6, s33, s42
	v_add_nc_u32_e32 v3, v53, v3
	v_lshrrev_b32_e32 v2, s29, v2
	s_mul_i32 s7, s44, s41
	s_ashr_i32 s9, s6, 31
	s_add_u32 s6, s12, s6
	v_lshrrev_b32_e32 v3, s29, v3
	v_mul_lo_u32 v2, v2, s30
	s_addc_u32 s9, s13, s9
	s_ashr_i32 s10, s7, 31
	s_add_u32 s11, s6, s7
	v_mul_lo_u32 v4, v3, s30
	s_addc_u32 s9, s9, s10
	s_ashr_i32 s41, s40, 31
	v_sub_nc_u32_e32 v81, v84, v2
	s_lshr_b64 s[6:7], s[40:41], 2
	s_mov_b32 s7, 0
	v_sub_nc_u32_e32 v8, v53, v4
	v_mad_u64_u32 v[2:3], null, s6, v81, 0
	v_mad_u64_u32 v[4:5], null, s6, v8, 0
	s_lshr_b32 s6, s41, 2
	s_cmp_eq_u64 s[22:23], 0
	v_mad_u64_u32 v[6:7], null, s6, v81, v[3:4]
	v_lshlrev_b32_e32 v7, 4, v0
	v_mov_b32_e32 v3, v6
	v_mad_u64_u32 v[5:6], null, s6, v8, v[5:6]
	v_add_co_u32 v8, s6, s11, v7
	v_lshlrev_b64 v[2:3], 2, v[2:3]
	v_add_co_ci_u32_e64 v9, null, s9, 0, s6
	v_lshlrev_b64 v[6:7], 2, v[4:5]
	v_add_co_u32 v2, vcc_lo, v8, v2
	v_add_co_ci_u32_e64 v3, null, v9, v3, vcc_lo
	v_add_co_u32 v6, vcc_lo, v8, v6
	v_add_co_ci_u32_e64 v7, null, v9, v7, vcc_lo
	s_clause 0x1
	global_load_dwordx4 v[2:5], v[2:3], off
	global_load_dwordx4 v[6:9], v[6:7], off
	s_waitcnt vmcnt(1)
	v_fma_mixlo_f16 v3, s36, v3, 0
	v_fma_mixlo_f16 v2, s36, v2, 0
	;; [unrolled: 1-line block ×3, first 2 shown]
	s_waitcnt vmcnt(0)
	v_fma_mixlo_f16 v7, s36, v7, 0
	v_fma_mixlo_f16 v6, s36, v6, 0
	;; [unrolled: 1-line block ×3, first 2 shown]
	v_lshlrev_b32_e32 v3, 16, v3
	v_and_b32_e32 v2, 0xffff, v2
	v_fma_mixlo_f16 v8, s36, v8, 0
	v_fma_mixlo_f16 v9, s36, v9, 0
	v_lshlrev_b32_e32 v7, 16, v7
	v_and_b32_e32 v6, 0xffff, v6
	v_lshlrev_b32_e32 v5, 16, v5
	v_and_b32_e32 v4, 0xffff, v4
	v_or_b32_e32 v2, v3, v2
	v_lshlrev_b32_e32 v9, 16, v9
	v_and_b32_e32 v8, 0xffff, v8
	v_or_b32_e32 v6, v7, v6
	v_or3_b32 v3, v5, v4, 0
	v_or3_b32 v2, 0, 0, v2
	v_lshl_add_u32 v7, v52, 8, v10
	v_or3_b32 v5, v9, v8, 0
	v_or3_b32 v4, 0, 0, v6
	ds_write_b64 v11, v[2:3]
	ds_write_b64 v7, v[4:5]
	s_waitcnt lgkmcnt(0)
	s_barrier
	buffer_gl0_inv
	s_cbranch_scc1 .LBB89_6
; %bb.5:
	s_load_dword s6, s[4:5], 0xd0
	s_waitcnt lgkmcnt(0)
	s_mul_i32 s6, s6, s33
	s_add_i32 s6, s6, s8
	s_lshl_b64 s[6:7], s[6:7], 2
	s_add_u32 s6, s22, s6
	s_addc_u32 s7, s23, s7
	s_load_dword s48, s[6:7], 0x0
.LBB89_6:
	s_clause 0x1
	s_load_dwordx2 s[6:7], s[4:5], 0x8c
	s_load_dwordx4 s[8:11], s[4:5], 0x98
	s_ashr_i32 s36, s33, 31
	s_load_dwordx2 s[12:13], s[4:5], 0xa8
	s_ashr_i32 s23, s51, 1
	s_mul_i32 s39, s37, s49
	v_lshlrev_b32_e32 v72, 2, v0
	v_lshrrev_b32_e32 v3, 3, v0
	v_mul_u32_u24_e32 v83, 0x90, v0
	v_or_b32_e32 v40, 1, v84
	v_lshrrev_b32_e32 v39, 4, v0
	v_and_b32_e32 v19, 28, v72
	v_and_b32_e32 v38, 60, v72
	v_mbcnt_lo_u32_b32 v73, -1, 0
	s_waitcnt lgkmcnt(0)
	s_ashr_i32 s35, s6, 2
	s_ashr_i32 s22, s10, 2
	s_mul_hi_u32 s6, s8, s33
	s_mul_i32 s10, s8, s36
	s_mul_i32 s9, s9, s33
	s_add_i32 s6, s6, s10
	s_mul_i32 s8, s8, s33
	s_add_i32 s6, s6, s9
	s_add_u32 s8, s14, s8
	s_addc_u32 s6, s15, s6
	s_sub_i32 s10, s52, s39
	s_xor_b32 s9, s45, s38
	s_add_i32 s14, s37, 1
	s_sub_i32 s15, s10, s49
	s_cmp_ge_u32 s10, s49
	s_cselect_b32 s14, s14, s37
	s_cselect_b32 s10, s15, s10
	s_add_i32 s15, s14, 1
	s_cmp_ge_u32 s10, s49
	s_mul_i32 s37, s12, s36
	s_cselect_b32 s10, s15, s14
	s_mul_hi_u32 s14, s12, s33
	s_xor_b32 s10, s10, s9
	s_mul_i32 s12, s12, s33
	s_sub_i32 s9, s10, s9
	s_mul_i32 s10, s13, s33
	s_mul_i32 s7, s9, s7
	;; [unrolled: 1-line block ×3, first 2 shown]
	s_ashr_i32 s13, s7, 31
	s_add_u32 s15, s8, s7
	s_addc_u32 s36, s6, s13
	s_add_i32 s6, s14, s37
	s_add_i32 s6, s6, s10
	s_add_u32 s7, s16, s12
	s_addc_u32 s6, s17, s6
	s_ashr_i32 s8, s9, 31
	s_add_u32 s14, s7, s9
	s_addc_u32 s11, s6, s8
	s_lshl_b32 s10, s34, 6
	s_sub_i32 s12, s48, 64
	s_cmp_ge_i32 s10, s12
	s_cbranch_scc1 .LBB89_36
; %bb.7:
	v_mul_hi_u32 v4, s28, v40
	v_lshl_add_u32 v3, v1, 2, v3
	v_lshlrev_b32_e32 v5, 2, v19
	v_add_nc_u32_e32 v7, v39, v85
	s_lshl_b32 s6, s35, 4
	s_cmp_lg_u64 s[46:47], 0
	v_mul_lo_u32 v2, s35, v3
	v_mad_u32_u24 v87, 0x90, v3, v5
	v_add_nc_u32_e32 v6, v40, v4
	s_cselect_b32 s13, -1, 0
	s_lshl_b32 s7, s22, 3
	v_lshlrev_b32_e32 v13, 2, v38
	v_mul_lo_u32 v91, v81, s23
	v_lshrrev_b32_e32 v3, s29, v6
	v_mul_lo_u32 v6, s22, v7
	v_add_nc_u32_e32 v4, s6, v2
	v_lshl_or_b32 v92, v7, 8, v13
	buffer_store_dword v53, off, s[0:3], 0 offset:16 ; 4-byte Folded Spill
	v_mul_lo_u32 v11, v3, s30
	v_ashrrev_i32_e32 v3, 31, v2
	v_add_nc_u32_e32 v8, s6, v4
	v_ashrrev_i32_e32 v5, 31, v4
	v_add_nc_u32_e32 v12, s7, v6
	v_ashrrev_i32_e32 v7, 31, v6
	v_lshlrev_b64 v[52:53], 2, v[2:3]
	v_add_nc_u32_e32 v10, s6, v8
	v_sub_nc_u32_e32 v15, v40, v11
	v_add_nc_u32_e32 v14, s7, v12
	v_ashrrev_i32_e32 v9, 31, v8
	v_ashrrev_i32_e32 v13, 31, v12
	;; [unrolled: 1-line block ×3, first 2 shown]
	v_mul_lo_u32 v93, v15, s23
	v_add_nc_u32_e32 v16, s7, v14
	v_ashrrev_i32_e32 v15, 31, v14
	v_lshlrev_b64 v[54:55], 2, v[4:5]
	v_lshlrev_b64 v[56:57], 2, v[8:9]
	;; [unrolled: 1-line block ×3, first 2 shown]
	v_ashrrev_i32_e32 v17, 31, v16
	v_lshlrev_b64 v[60:61], 2, v[6:7]
	v_lshlrev_b64 v[62:63], 2, v[12:13]
	;; [unrolled: 1-line block ×3, first 2 shown]
	v_mov_b32_e32 v24, 0
	v_lshlrev_b64 v[66:67], 2, v[16:17]
	v_add_nc_u32_e32 v86, 0x2400, v82
	v_add_nc_u32_e32 v88, 0x900, v87
	;; [unrolled: 1-line block ×4, first 2 shown]
	v_lshl_add_u32 v94, v1, 8, 0x2c00
	v_add_nc_u32_e32 v95, 0x800, v92
	v_add_nc_u32_e32 v96, 0x1000, v92
	;; [unrolled: 1-line block ×3, first 2 shown]
	v_mov_b32_e32 v18, 0xfeffffff
	v_lshlrev_b32_e32 v98, 2, v19
	v_lshlrev_b32_e32 v99, 2, v38
	v_mbcnt_lo_u32_b32 v100, -1, 0
	v_mov_b32_e32 v101, 0x10001
	v_mov_b32_e32 v22, 0
	;; [unrolled: 1-line block ×7, first 2 shown]
	s_add_u32 s6, s4, 0xd0
	s_addc_u32 s7, s5, 0
	s_mov_b32 s16, 0xbbbac73d
.LBB89_8:                               ; =>This Inner Loop Header: Depth=1
	s_mul_hi_i32 s9, s10, s35
	s_mul_i32 s8, s10, s35
	v_mov_b32_e32 v19, 0
	s_lshl_b64 s[8:9], s[8:9], 2
	v_mov_b32_e32 v20, 0
	s_add_u32 s8, s15, s8
	s_addc_u32 s9, s36, s9
	v_add_co_u32 v2, vcc_lo, s8, v52
	v_add_co_ci_u32_e64 v3, null, s9, v53, vcc_lo
	v_add_co_u32 v4, vcc_lo, s8, v54
	v_add_co_ci_u32_e64 v5, null, s9, v55, vcc_lo
	;; [unrolled: 2-line block ×8, first 2 shown]
	s_clause 0x3
	global_load_dwordx4 v[10:13], v[2:3], off
	global_load_dwordx4 v[14:17], v[4:5], off
	;; [unrolled: 1-line block ×4, first 2 shown]
	s_waitcnt vmcnt(3)
	ds_write_b128 v87, v[10:13]
	s_waitcnt vmcnt(2)
	ds_write_b128 v88, v[14:17]
	;; [unrolled: 2-line block ×4, first 2 shown]
	s_waitcnt lgkmcnt(0)
	s_waitcnt_vscnt null, 0x0
	s_barrier
	buffer_gl0_inv
	ds_read_b128 v[12:15], v83
	ds_read_b128 v[29:32], v86
	ds_read_b128 v[33:36], v86 offset:256
	ds_read_b128 v[37:40], v83 offset:4608
	v_mov_b32_e32 v10, 0
	s_waitcnt lgkmcnt(2)
	;;#ASMSTART
	v_dot2_f32_f16 v10, v12, v29, v10
	;;#ASMEND
	;;#ASMSTART
	v_dot2_f32_f16 v10, v13, v30, v10
	;;#ASMEND
	;; [unrolled: 3-line block ×4, first 2 shown]
	s_waitcnt lgkmcnt(1)
	;;#ASMSTART
	v_dot2_f32_f16 v19, v12, v33, v19
	;;#ASMEND
	;;#ASMSTART
	v_dot2_f32_f16 v19, v13, v34, v19
	;;#ASMEND
	v_mov_b32_e32 v11, 0
	;;#ASMSTART
	v_dot2_f32_f16 v19, v14, v35, v19
	;;#ASMEND
	;;#ASMSTART
	v_dot2_f32_f16 v19, v15, v36, v19
	;;#ASMEND
	s_waitcnt lgkmcnt(0)
	;;#ASMSTART
	v_dot2_f32_f16 v11, v37, v29, v11
	;;#ASMEND
	;;#ASMSTART
	v_dot2_f32_f16 v11, v38, v30, v11
	;;#ASMEND
	;;#ASMSTART
	v_dot2_f32_f16 v11, v39, v31, v11
	;;#ASMEND
	;;#ASMSTART
	v_dot2_f32_f16 v11, v40, v32, v11
	;;#ASMEND
	;;#ASMSTART
	v_dot2_f32_f16 v20, v37, v33, v20
	;;#ASMEND
	;;#ASMSTART
	v_dot2_f32_f16 v20, v38, v34, v20
	;;#ASMEND
	;;#ASMSTART
	v_dot2_f32_f16 v20, v39, v35, v20
	;;#ASMEND
	;;#ASMSTART
	v_dot2_f32_f16 v20, v40, v36, v20
	;;#ASMEND
	ds_read_b128 v[12:15], v83 offset:16
	ds_read_b128 v[29:32], v86 offset:16
	ds_read_b128 v[33:36], v86 offset:272
	ds_read_b128 v[37:40], v83 offset:4624
	s_waitcnt lgkmcnt(2)
	;;#ASMSTART
	v_dot2_f32_f16 v10, v12, v29, v10
	;;#ASMEND
	;;#ASMSTART
	v_dot2_f32_f16 v10, v13, v30, v10
	;;#ASMEND
	;;#ASMSTART
	v_dot2_f32_f16 v10, v14, v31, v10
	;;#ASMEND
	;;#ASMSTART
	v_dot2_f32_f16 v10, v15, v32, v10
	;;#ASMEND
	s_waitcnt lgkmcnt(1)
	;;#ASMSTART
	v_dot2_f32_f16 v19, v12, v33, v19
	;;#ASMEND
	;;#ASMSTART
	v_dot2_f32_f16 v19, v13, v34, v19
	;;#ASMEND
	;;#ASMSTART
	v_dot2_f32_f16 v19, v14, v35, v19
	;;#ASMEND
	;;#ASMSTART
	v_dot2_f32_f16 v19, v15, v36, v19
	;;#ASMEND
	s_waitcnt lgkmcnt(0)
	;;#ASMSTART
	v_dot2_f32_f16 v11, v37, v29, v11
	;;#ASMEND
	;;#ASMSTART
	v_dot2_f32_f16 v11, v38, v30, v11
	;;#ASMEND
	;;#ASMSTART
	v_dot2_f32_f16 v11, v39, v31, v11
	;;#ASMEND
	;;#ASMSTART
	v_dot2_f32_f16 v11, v40, v32, v11
	;;#ASMEND
	;;#ASMSTART
	v_dot2_f32_f16 v20, v37, v33, v20
	;;#ASMEND
	;;#ASMSTART
	v_dot2_f32_f16 v20, v38, v34, v20
	;;#ASMEND
	;;#ASMSTART
	v_dot2_f32_f16 v20, v39, v35, v20
	;;#ASMEND
	;;#ASMSTART
	v_dot2_f32_f16 v20, v40, v36, v20
	;;#ASMEND
	ds_read_b128 v[12:15], v83 offset:32
	ds_read_b128 v[29:32], v86 offset:32
	ds_read_b128 v[33:36], v86 offset:288
	ds_read_b128 v[37:40], v83 offset:4640
	s_waitcnt lgkmcnt(2)
	;;#ASMSTART
	v_dot2_f32_f16 v10, v12, v29, v10
	;;#ASMEND
	;;#ASMSTART
	v_dot2_f32_f16 v10, v13, v30, v10
	;;#ASMEND
	;;#ASMSTART
	v_dot2_f32_f16 v10, v14, v31, v10
	;;#ASMEND
	;;#ASMSTART
	v_dot2_f32_f16 v10, v15, v32, v10
	;;#ASMEND
	s_waitcnt lgkmcnt(1)
	;;#ASMSTART
	v_dot2_f32_f16 v19, v12, v33, v19
	;;#ASMEND
	;;#ASMSTART
	v_dot2_f32_f16 v19, v13, v34, v19
	;;#ASMEND
	;; [unrolled: 55-line block ×7, first 2 shown]
	;;#ASMSTART
	v_dot2_f32_f16 v19, v14, v35, v19
	;;#ASMEND
	;;#ASMSTART
	v_dot2_f32_f16 v19, v15, v36, v19
	;;#ASMEND
	s_waitcnt lgkmcnt(0)
	;;#ASMSTART
	v_dot2_f32_f16 v11, v37, v29, v11
	;;#ASMEND
	;;#ASMSTART
	v_dot2_f32_f16 v11, v38, v30, v11
	;;#ASMEND
	;; [unrolled: 3-line block ×8, first 2 shown]
	s_barrier
	buffer_gl0_inv
	s_clause 0x3
	global_load_dwordx4 v[12:15], v[2:3], off offset:128
	global_load_dwordx4 v[2:5], v[4:5], off offset:128
	;; [unrolled: 1-line block ×4, first 2 shown]
	s_waitcnt vmcnt(3)
	ds_write_b128 v87, v[12:15]
	s_waitcnt vmcnt(2)
	ds_write_b128 v88, v[2:5]
	;; [unrolled: 2-line block ×4, first 2 shown]
	s_waitcnt lgkmcnt(0)
	s_barrier
	buffer_gl0_inv
	ds_read_b128 v[2:5], v83
	ds_read_b128 v[6:9], v86 offset:128
	ds_read_b128 v[12:15], v86 offset:384
	ds_read_b128 v[29:32], v83 offset:4608
	s_waitcnt lgkmcnt(2)
	;;#ASMSTART
	v_dot2_f32_f16 v10, v2, v6, v10
	;;#ASMEND
	;;#ASMSTART
	v_dot2_f32_f16 v10, v3, v7, v10
	;;#ASMEND
	;;#ASMSTART
	v_dot2_f32_f16 v10, v4, v8, v10
	;;#ASMEND
	;;#ASMSTART
	v_dot2_f32_f16 v10, v5, v9, v10
	;;#ASMEND
	s_waitcnt lgkmcnt(1)
	;;#ASMSTART
	v_dot2_f32_f16 v19, v2, v12, v19
	;;#ASMEND
	;;#ASMSTART
	v_dot2_f32_f16 v19, v3, v13, v19
	;;#ASMEND
	;;#ASMSTART
	v_dot2_f32_f16 v19, v4, v14, v19
	;;#ASMEND
	;;#ASMSTART
	v_dot2_f32_f16 v19, v5, v15, v19
	;;#ASMEND
	s_waitcnt lgkmcnt(0)
	;;#ASMSTART
	v_dot2_f32_f16 v11, v29, v6, v11
	;;#ASMEND
	;;#ASMSTART
	v_dot2_f32_f16 v11, v30, v7, v11
	;;#ASMEND
	;;#ASMSTART
	v_dot2_f32_f16 v11, v31, v8, v11
	;;#ASMEND
	;;#ASMSTART
	v_dot2_f32_f16 v11, v32, v9, v11
	;;#ASMEND
	;;#ASMSTART
	v_dot2_f32_f16 v20, v29, v12, v20
	;;#ASMEND
	;;#ASMSTART
	v_dot2_f32_f16 v20, v30, v13, v20
	;;#ASMEND
	;;#ASMSTART
	v_dot2_f32_f16 v20, v31, v14, v20
	;;#ASMEND
	;;#ASMSTART
	v_dot2_f32_f16 v20, v32, v15, v20
	;;#ASMEND
	ds_read_b128 v[2:5], v83 offset:16
	ds_read_b128 v[6:9], v86 offset:144
	ds_read_b128 v[12:15], v86 offset:400
	ds_read_b128 v[29:32], v83 offset:4624
	s_waitcnt lgkmcnt(2)
	;;#ASMSTART
	v_dot2_f32_f16 v10, v2, v6, v10
	;;#ASMEND
	;;#ASMSTART
	v_dot2_f32_f16 v10, v3, v7, v10
	;;#ASMEND
	;;#ASMSTART
	v_dot2_f32_f16 v10, v4, v8, v10
	;;#ASMEND
	;;#ASMSTART
	v_dot2_f32_f16 v10, v5, v9, v10
	;;#ASMEND
	s_waitcnt lgkmcnt(1)
	;;#ASMSTART
	v_dot2_f32_f16 v19, v2, v12, v19
	;;#ASMEND
	;;#ASMSTART
	v_dot2_f32_f16 v19, v3, v13, v19
	;;#ASMEND
	;;#ASMSTART
	v_dot2_f32_f16 v19, v4, v14, v19
	;;#ASMEND
	;;#ASMSTART
	v_dot2_f32_f16 v19, v5, v15, v19
	;;#ASMEND
	s_waitcnt lgkmcnt(0)
	;;#ASMSTART
	v_dot2_f32_f16 v11, v29, v6, v11
	;;#ASMEND
	;;#ASMSTART
	v_dot2_f32_f16 v11, v30, v7, v11
	;;#ASMEND
	;;#ASMSTART
	v_dot2_f32_f16 v11, v31, v8, v11
	;;#ASMEND
	;;#ASMSTART
	v_dot2_f32_f16 v11, v32, v9, v11
	;;#ASMEND
	;;#ASMSTART
	v_dot2_f32_f16 v20, v29, v12, v20
	;;#ASMEND
	;;#ASMSTART
	v_dot2_f32_f16 v20, v30, v13, v20
	;;#ASMEND
	;;#ASMSTART
	v_dot2_f32_f16 v20, v31, v14, v20
	;;#ASMEND
	;;#ASMSTART
	v_dot2_f32_f16 v20, v32, v15, v20
	;;#ASMEND
	ds_read_b128 v[2:5], v83 offset:32
	;; [unrolled: 55-line block ×7, first 2 shown]
	ds_read_b128 v[6:9], v86 offset:240
	ds_read_b128 v[12:15], v86 offset:496
	;; [unrolled: 1-line block ×3, first 2 shown]
	s_waitcnt lgkmcnt(2)
	;;#ASMSTART
	v_dot2_f32_f16 v10, v2, v6, v10
	;;#ASMEND
	;;#ASMSTART
	v_dot2_f32_f16 v10, v3, v7, v10
	;;#ASMEND
	;; [unrolled: 3-line block ×4, first 2 shown]
	s_waitcnt lgkmcnt(1)
	;;#ASMSTART
	v_dot2_f32_f16 v19, v2, v12, v19
	;;#ASMEND
	;;#ASMSTART
	v_dot2_f32_f16 v19, v3, v13, v19
	;;#ASMEND
	;; [unrolled: 3-line block ×4, first 2 shown]
	s_waitcnt lgkmcnt(0)
	;;#ASMSTART
	v_dot2_f32_f16 v11, v29, v6, v11
	;;#ASMEND
	v_cmp_ngt_f32_e64 s8, 0x3f200000, |v10|
	;;#ASMSTART
	v_dot2_f32_f16 v11, v30, v7, v11
	;;#ASMEND
	;;#ASMSTART
	v_dot2_f32_f16 v11, v31, v8, v11
	;;#ASMEND
	;; [unrolled: 3-line block ×7, first 2 shown]
                                        ; implicit-def: $vgpr5
	s_and_saveexec_b32 s9, s8
	s_xor_b32 s8, exec_lo, s9
	s_cbranch_execz .LBB89_10
; %bb.9:                                ;   in Loop: Header=BB89_8 Depth=1
	v_add_f32_e64 v2, |v10|, |v10|
	v_mul_f32_e32 v3, 0x3fb8aa3b, v2
	v_cmp_ngt_f32_e32 vcc_lo, 0xc2ce8ed0, v2
	v_rndne_f32_e32 v4, v3
	v_fma_f32 v5, 0x3fb8aa3b, v2, -v3
	v_sub_f32_e32 v3, v3, v4
	v_fmac_f32_e32 v5, 0x32a5705f, v2
	v_cvt_i32_f32_e32 v4, v4
	v_add_f32_e32 v3, v3, v5
	v_exp_f32_e32 v3, v3
	v_ldexp_f32 v3, v3, v4
	v_cndmask_b32_e32 v3, 0, v3, vcc_lo
	v_cmp_nlt_f32_e32 vcc_lo, 0x42b17218, v2
	v_cndmask_b32_e32 v2, 0x7f800000, v3, vcc_lo
	v_add_f32_e32 v2, 1.0, v2
	v_rcp_f32_e32 v2, v2
	v_fma_f32 v5, v2, -2.0, 1.0
.LBB89_10:                              ;   in Loop: Header=BB89_8 Depth=1
	s_andn2_saveexec_b32 s8, s8
	s_cbranch_execz .LBB89_12
; %bb.11:                               ;   in Loop: Header=BB89_8 Depth=1
	v_mul_f32_e32 v2, v10, v10
	v_fmaak_f32 v3, s16, v2, 0x3ca908c9
	v_fmaak_f32 v3, v2, v3, 0xbd5c1c4e
	;; [unrolled: 1-line block ×4, first 2 shown]
	v_mul_f32_e64 v3, |v10|, v3
	v_fma_f32 v5, v2, v3, |v10|
.LBB89_12:                              ;   in Loop: Header=BB89_8 Depth=1
	s_or_b32 exec_lo, exec_lo, s8
	v_add_nc_u32_e32 v4, s10, v0
	s_andn2_b32 vcc_lo, exec_lo, s13
	v_add_nc_u32_e32 v2, v4, v91
	v_ashrrev_i32_e32 v3, 31, v2
	s_cbranch_vccnz .LBB89_34
; %bb.13:                               ;   in Loop: Header=BB89_8 Depth=1
	v_lshlrev_b64 v[6:7], 1, v[2:3]
	v_add_co_u32 v6, vcc_lo, s46, v6
	v_add_co_ci_u32_e64 v7, null, s47, v7, vcc_lo
	global_load_ushort v6, v[6:7], off
	s_waitcnt vmcnt(0)
	v_cvt_f32_f16_e32 v6, v6
	v_mul_f32_e32 v21, v79, v6
	v_cmp_ngt_f32_e64 s8, 0x3f200000, |v11|
                                        ; implicit-def: $vgpr6
	s_and_saveexec_b32 s9, s8
	s_xor_b32 s8, exec_lo, s9
	s_cbranch_execz .LBB89_15
.LBB89_14:                              ;   in Loop: Header=BB89_8 Depth=1
	v_add_f32_e64 v6, |v11|, |v11|
	v_mul_f32_e32 v7, 0x3fb8aa3b, v6
	v_cmp_ngt_f32_e32 vcc_lo, 0xc2ce8ed0, v6
	v_rndne_f32_e32 v8, v7
	v_fma_f32 v9, 0x3fb8aa3b, v6, -v7
	v_sub_f32_e32 v7, v7, v8
	v_fmac_f32_e32 v9, 0x32a5705f, v6
	v_cvt_i32_f32_e32 v8, v8
	v_add_f32_e32 v7, v7, v9
	v_exp_f32_e32 v7, v7
	v_ldexp_f32 v7, v7, v8
	v_cndmask_b32_e32 v7, 0, v7, vcc_lo
	v_cmp_nlt_f32_e32 vcc_lo, 0x42b17218, v6
	v_cndmask_b32_e32 v6, 0x7f800000, v7, vcc_lo
	v_add_f32_e32 v6, 1.0, v6
	v_rcp_f32_e32 v6, v6
	v_fma_f32 v6, v6, -2.0, 1.0
.LBB89_15:                              ;   in Loop: Header=BB89_8 Depth=1
	s_andn2_saveexec_b32 s8, s8
	s_cbranch_execz .LBB89_18
; %bb.16:                               ;   in Loop: Header=BB89_8 Depth=1
	v_mul_f32_e32 v6, v11, v11
	v_fmaak_f32 v7, s16, v6, 0x3ca908c9
	v_fmaak_f32 v7, v6, v7, 0xbd5c1c4e
	;; [unrolled: 1-line block ×4, first 2 shown]
	v_mul_f32_e64 v7, |v11|, v7
	v_fma_f32 v6, v6, v7, |v11|
	s_or_b32 exec_lo, exec_lo, s8
	s_andn2_b32 vcc_lo, exec_lo, s13
	s_cbranch_vccz .LBB89_19
.LBB89_17:                              ;   in Loop: Header=BB89_8 Depth=1
	v_mov_b32_e32 v29, 0
	s_branch .LBB89_20
.LBB89_18:                              ;   in Loop: Header=BB89_8 Depth=1
	s_or_b32 exec_lo, exec_lo, s8
	s_andn2_b32 vcc_lo, exec_lo, s13
	s_cbranch_vccnz .LBB89_17
.LBB89_19:                              ;   in Loop: Header=BB89_8 Depth=1
	v_lshlrev_b64 v[2:3], 1, v[2:3]
	v_add_co_u32 v2, vcc_lo, s46, v2
	v_add_co_ci_u32_e64 v3, null, s47, v3, vcc_lo
	global_load_ushort v2, v[2:3], off offset:64
	s_waitcnt vmcnt(0)
	v_cvt_f32_f16_e32 v2, v2
	v_mul_f32_e32 v29, v79, v2
.LBB89_20:                              ;   in Loop: Header=BB89_8 Depth=1
	v_bfi_b32 v2, 0x7fffffff, v5, v10
	v_bfi_b32 v3, 0x7fffffff, v6, v11
	v_xor_b32_e32 v5, 16, v100
	v_cmp_ngt_f32_e64 s8, 0x3f200000, |v19|
                                        ; implicit-def: $vgpr39
	v_fmac_f32_e32 v21, s19, v2
	v_fmac_f32_e32 v29, s19, v3
	v_cmp_gt_i32_e32 vcc_lo, 32, v5
	v_add_f32_e32 v3, 0x40051340, v21
	v_cndmask_b32_e32 v2, v100, v5, vcc_lo
	v_add_f32_e32 v5, 0x40051340, v29
	v_lshlrev_b32_e32 v33, 2, v2
	v_max3_f32 v2, v18, v3, v5
	v_xor_b32_e32 v5, 8, v100
	ds_bpermute_b32 v3, v33, v2
	v_cmp_gt_i32_e32 vcc_lo, 32, v5
	v_cndmask_b32_e32 v5, v100, v5, vcc_lo
	v_lshlrev_b32_e32 v34, 2, v5
	v_xor_b32_e32 v5, 4, v100
	v_cmp_gt_i32_e32 vcc_lo, 32, v5
	s_waitcnt lgkmcnt(0)
	v_max_f32_e32 v3, v3, v3
	v_cndmask_b32_e32 v5, v100, v5, vcc_lo
	v_max_f32_e32 v2, v2, v3
	v_lshlrev_b32_e32 v35, 2, v5
	v_xor_b32_e32 v5, 2, v100
	ds_bpermute_b32 v3, v34, v2
	v_cmp_gt_i32_e32 vcc_lo, 32, v5
	v_cndmask_b32_e32 v5, v100, v5, vcc_lo
	v_lshlrev_b32_e32 v36, 2, v5
	v_xor_b32_e32 v5, 1, v100
	v_cmp_gt_i32_e32 vcc_lo, 32, v5
	s_waitcnt lgkmcnt(0)
	v_max_f32_e32 v3, v3, v3
	v_cndmask_b32_e32 v5, v100, v5, vcc_lo
	v_max_f32_e32 v2, v2, v3
	v_lshlrev_b32_e32 v30, 2, v5
	ds_bpermute_b32 v3, v35, v2
	s_waitcnt lgkmcnt(0)
	v_max_f32_e32 v3, v3, v3
	v_max_f32_e32 v2, v2, v3
	ds_bpermute_b32 v3, v36, v2
	s_waitcnt lgkmcnt(0)
	v_max_f32_e32 v3, v3, v3
	v_max_f32_e32 v37, v2, v3
	ds_bpermute_b32 v38, v30, v37
	s_and_saveexec_b32 s9, s8
	s_xor_b32 s8, exec_lo, s9
	s_cbranch_execz .LBB89_22
; %bb.21:                               ;   in Loop: Header=BB89_8 Depth=1
	v_add_f32_e64 v2, |v19|, |v19|
	v_mul_f32_e32 v3, 0x3fb8aa3b, v2
	v_cmp_ngt_f32_e32 vcc_lo, 0xc2ce8ed0, v2
	v_rndne_f32_e32 v5, v3
	v_fma_f32 v6, 0x3fb8aa3b, v2, -v3
	v_sub_f32_e32 v3, v3, v5
	v_fmac_f32_e32 v6, 0x32a5705f, v2
	v_cvt_i32_f32_e32 v5, v5
	v_add_f32_e32 v3, v3, v6
	v_exp_f32_e32 v3, v3
	v_ldexp_f32 v3, v3, v5
	v_cndmask_b32_e32 v3, 0, v3, vcc_lo
	v_cmp_nlt_f32_e32 vcc_lo, 0x42b17218, v2
	v_cndmask_b32_e32 v2, 0x7f800000, v3, vcc_lo
	v_add_f32_e32 v2, 1.0, v2
	v_rcp_f32_e32 v2, v2
	v_fma_f32 v39, v2, -2.0, 1.0
.LBB89_22:                              ;   in Loop: Header=BB89_8 Depth=1
	s_andn2_saveexec_b32 s8, s8
	s_cbranch_execz .LBB89_24
; %bb.23:                               ;   in Loop: Header=BB89_8 Depth=1
	v_mul_f32_e32 v2, v19, v19
	v_fmaak_f32 v3, s16, v2, 0x3ca908c9
	v_fmaak_f32 v3, v2, v3, 0xbd5c1c4e
	v_fmaak_f32 v3, v2, v3, 0x3e088382
	v_fmaak_f32 v3, v2, v3, 0xbeaaaa99
	v_mul_f32_e64 v3, |v19|, v3
	v_fma_f32 v39, v2, v3, |v19|
.LBB89_24:                              ;   in Loop: Header=BB89_8 Depth=1
	s_or_b32 exec_lo, exec_lo, s8
	v_add_nc_u32_e32 v2, v4, v93
	s_andn2_b32 vcc_lo, exec_lo, s13
	v_ashrrev_i32_e32 v3, 31, v2
	s_cbranch_vccnz .LBB89_35
; %bb.25:                               ;   in Loop: Header=BB89_8 Depth=1
	v_lshlrev_b64 v[4:5], 1, v[2:3]
	v_add_co_u32 v4, vcc_lo, s46, v4
	v_add_co_ci_u32_e64 v5, null, s47, v5, vcc_lo
	global_load_ushort v4, v[4:5], off
	s_waitcnt vmcnt(0)
	v_cvt_f32_f16_e32 v4, v4
	v_mul_f32_e32 v31, v79, v4
	v_cmp_ngt_f32_e64 s8, 0x3f200000, |v20|
                                        ; implicit-def: $vgpr40
	s_and_saveexec_b32 s9, s8
	s_xor_b32 s8, exec_lo, s9
	s_cbranch_execz .LBB89_27
.LBB89_26:                              ;   in Loop: Header=BB89_8 Depth=1
	v_add_f32_e64 v4, |v20|, |v20|
	v_mul_f32_e32 v5, 0x3fb8aa3b, v4
	v_cmp_ngt_f32_e32 vcc_lo, 0xc2ce8ed0, v4
	v_rndne_f32_e32 v6, v5
	v_fma_f32 v7, 0x3fb8aa3b, v4, -v5
	v_sub_f32_e32 v5, v5, v6
	v_fmac_f32_e32 v7, 0x32a5705f, v4
	v_cvt_i32_f32_e32 v6, v6
	v_add_f32_e32 v5, v5, v7
	v_exp_f32_e32 v5, v5
	v_ldexp_f32 v5, v5, v6
	v_cndmask_b32_e32 v5, 0, v5, vcc_lo
	v_cmp_nlt_f32_e32 vcc_lo, 0x42b17218, v4
	v_cndmask_b32_e32 v4, 0x7f800000, v5, vcc_lo
	v_add_f32_e32 v4, 1.0, v4
	v_rcp_f32_e32 v4, v4
	v_fma_f32 v40, v4, -2.0, 1.0
.LBB89_27:                              ;   in Loop: Header=BB89_8 Depth=1
	s_andn2_saveexec_b32 s8, s8
	s_cbranch_execz .LBB89_30
; %bb.28:                               ;   in Loop: Header=BB89_8 Depth=1
	v_mul_f32_e32 v4, v20, v20
	v_fmaak_f32 v5, s16, v4, 0x3ca908c9
	v_fmaak_f32 v5, v4, v5, 0xbd5c1c4e
	;; [unrolled: 1-line block ×4, first 2 shown]
	v_mul_f32_e64 v5, |v20|, v5
	v_fma_f32 v40, v4, v5, |v20|
	s_or_b32 exec_lo, exec_lo, s8
	s_andn2_b32 vcc_lo, exec_lo, s13
	s_cbranch_vccz .LBB89_31
.LBB89_29:                              ;   in Loop: Header=BB89_8 Depth=1
	v_mov_b32_e32 v32, 0
	s_branch .LBB89_32
.LBB89_30:                              ;   in Loop: Header=BB89_8 Depth=1
	s_or_b32 exec_lo, exec_lo, s8
	s_andn2_b32 vcc_lo, exec_lo, s13
	s_cbranch_vccnz .LBB89_29
.LBB89_31:                              ;   in Loop: Header=BB89_8 Depth=1
	v_lshlrev_b64 v[2:3], 1, v[2:3]
	v_add_co_u32 v2, vcc_lo, s46, v2
	v_add_co_ci_u32_e64 v3, null, s47, v3, vcc_lo
	global_load_ushort v2, v[2:3], off offset:64
	s_waitcnt vmcnt(0)
	v_cvt_f32_f16_e32 v2, v2
	v_mul_f32_e32 v32, v79, v2
.LBB89_32:                              ;   in Loop: Header=BB89_8 Depth=1
	s_mul_hi_i32 s9, s10, s22
	s_mul_i32 s8, s10, s22
	s_waitcnt lgkmcnt(0)
	s_lshl_b64 s[8:9], s[8:9], 2
	s_barrier
	s_add_u32 s8, s14, s8
	s_addc_u32 s9, s11, s9
	v_add_co_u32 v2, vcc_lo, s8, v60
	v_add_co_ci_u32_e64 v3, null, s9, v61, vcc_lo
	v_add_co_u32 v4, vcc_lo, s8, v62
	v_add_co_ci_u32_e64 v5, null, s9, v63, vcc_lo
	v_add_co_u32 v2, vcc_lo, v2, v99
	v_add_co_ci_u32_e64 v3, null, 0, v3, vcc_lo
	v_add_co_u32 v6, vcc_lo, v4, v99
	v_add_co_ci_u32_e64 v7, null, 0, v5, vcc_lo
	v_add_co_u32 v4, vcc_lo, s8, v64
	v_add_co_ci_u32_e64 v5, null, s9, v65, vcc_lo
	v_add_co_u32 v8, vcc_lo, s8, v66
	v_add_co_ci_u32_e64 v9, null, s9, v67, vcc_lo
	v_add_co_u32 v10, vcc_lo, v4, v99
	v_add_co_ci_u32_e64 v11, null, 0, v5, vcc_lo
	v_add_co_u32 v14, vcc_lo, v8, v99
	v_add_co_ci_u32_e64 v15, null, 0, v9, vcc_lo
	buffer_gl0_inv
	s_clause 0x3
	global_load_dwordx4 v[2:5], v[2:3], off
	global_load_dwordx4 v[6:9], v[6:7], off
	;; [unrolled: 1-line block ×4, first 2 shown]
	v_bfi_b32 v19, 0x7fffffff, v39, v19
	v_bfi_b32 v20, 0x7fffffff, v40, v20
	s_or_b32 s8, s10, 32
	s_mul_hi_i32 s9, s8, s22
	v_fmac_f32_e32 v31, s19, v19
	v_fmac_f32_e32 v32, s19, v20
	s_mul_i32 s8, s8, s22
	s_lshl_b64 s[8:9], s[8:9], 2
	v_add_f32_e32 v19, 0x40051340, v31
	v_add_f32_e32 v20, 0x40051340, v32
	s_add_u32 s8, s14, s8
	s_addc_u32 s9, s11, s9
	v_max3_f32 v19, v28, v19, v20
	ds_bpermute_b32 v20, v33, v19
	v_max_f32_e32 v33, v38, v38
	s_waitcnt lgkmcnt(0)
	v_max_f32_e32 v20, v20, v20
	v_max_f32_e32 v19, v19, v20
	ds_bpermute_b32 v20, v34, v19
	v_max_f32_e32 v34, v37, v37
	v_max_f32_e32 v50, v34, v33
	v_add_nc_u32_e32 v33, v94, v72
	v_sub_f32_e32 v34, v18, v50
	v_add_co_u32 v18, vcc_lo, s8, v60
	v_sub_f32_e32 v29, v29, v50
	v_mul_f32_e32 v45, 0x3fb8aa3b, v34
	v_mul_f32_e32 v44, 0x3fb8aa3b, v29
	s_waitcnt lgkmcnt(0)
	v_max_f32_e32 v20, v20, v20
	v_rndne_f32_e32 v49, v45
	v_fma_f32 v48, 0x3fb8aa3b, v34, -v45
	v_fma_f32 v46, 0x3fb8aa3b, v29, -v44
	v_max_f32_e32 v19, v19, v20
	v_rndne_f32_e32 v47, v44
	v_fmac_f32_e32 v48, 0x32a5705f, v34
	v_fmac_f32_e32 v46, 0x32a5705f, v29
	ds_bpermute_b32 v20, v35, v19
	v_sub_f32_e32 v35, v21, v50
	v_add_co_ci_u32_e64 v21, null, s9, v61, vcc_lo
	v_sub_f32_e32 v44, v44, v47
	v_mul_f32_e32 v43, 0x3fb8aa3b, v35
	s_waitcnt lgkmcnt(0)
	v_max_f32_e32 v20, v20, v20
	v_max_f32_e32 v19, v19, v20
	ds_bpermute_b32 v20, v36, v19
	v_add_co_u32 v36, vcc_lo, s8, v62
	v_add_co_ci_u32_e64 v37, null, s9, v63, vcc_lo
	v_add_co_u32 v38, vcc_lo, s8, v64
	v_add_co_ci_u32_e64 v39, null, s9, v65, vcc_lo
	;; [unrolled: 2-line block ×3, first 2 shown]
	v_add_co_u32 v18, vcc_lo, v18, v99
	s_waitcnt lgkmcnt(0)
	v_max_f32_e32 v20, v20, v20
	v_max_f32_e32 v40, v19, v20
	v_add_co_ci_u32_e64 v19, null, 0, v21, vcc_lo
	v_add_co_u32 v20, vcc_lo, v36, v99
	ds_bpermute_b32 v30, v30, v40
	v_add_co_ci_u32_e64 v21, null, 0, v37, vcc_lo
	v_fma_f32 v36, 0x3fb8aa3b, v35, -v43
	v_rndne_f32_e32 v37, v43
	v_cmp_ngt_f32_e32 vcc_lo, 0xc2ce8ed0, v35
	v_fmac_f32_e32 v36, 0x32a5705f, v35
	v_sub_f32_e32 v43, v43, v37
	v_cvt_i32_f32_e32 v37, v37
	v_add_f32_e32 v36, v43, v36
	v_add_f32_e32 v43, v44, v46
	v_cvt_i32_f32_e32 v44, v49
	v_exp_f32_e32 v36, v36
	s_waitcnt lgkmcnt(0)
	v_max_f32_e32 v30, v30, v30
	v_max_f32_e32 v51, v40, v30
	v_exp_f32_e32 v40, v43
	v_sub_f32_e32 v30, v45, v49
	v_cvt_i32_f32_e32 v43, v47
	v_ldexp_f32 v36, v36, v37
	v_sub_f32_e32 v31, v31, v51
	v_sub_f32_e32 v32, v32, v51
	v_add_f32_e32 v30, v30, v48
	v_sub_f32_e32 v28, v28, v51
	v_cndmask_b32_e32 v36, 0, v36, vcc_lo
	v_mul_f32_e32 v45, 0x3fb8aa3b, v31
	v_mul_f32_e32 v37, 0x3fb8aa3b, v32
	v_ldexp_f32 v40, v40, v43
	v_exp_f32_e32 v30, v30
	v_cmp_ngt_f32_e32 vcc_lo, 0xc2ce8ed0, v29
	v_fma_f32 v43, 0x3fb8aa3b, v31, -v45
	v_rndne_f32_e32 v46, v45
	v_fma_f32 v47, 0x3fb8aa3b, v32, -v37
	v_rndne_f32_e32 v48, v37
	v_cndmask_b32_e32 v40, 0, v40, vcc_lo
	v_fmac_f32_e32 v43, 0x32a5705f, v31
	v_sub_f32_e32 v45, v45, v46
	v_fmac_f32_e32 v47, 0x32a5705f, v32
	v_sub_f32_e32 v37, v37, v48
	v_cmp_nlt_f32_e32 vcc_lo, 0x42b17218, v35
	v_ldexp_f32 v30, v30, v44
	v_add_f32_e32 v43, v45, v43
	v_mul_f32_e32 v44, 0x3fb8aa3b, v28
	v_add_f32_e32 v37, v37, v47
	v_cvt_i32_f32_e32 v46, v46
	v_cndmask_b32_e32 v35, 0x7f800000, v36, vcc_lo
	v_exp_f32_e32 v43, v43
	v_cmp_nlt_f32_e32 vcc_lo, 0x42b17218, v29
	v_exp_f32_e32 v37, v37
	v_fma_f32 v45, 0x3fb8aa3b, v28, -v44
	v_rndne_f32_e32 v49, v44
	v_cvt_i32_f32_e32 v36, v48
	v_cndmask_b32_e32 v40, 0x7f800000, v40, vcc_lo
	v_cmp_ngt_f32_e32 vcc_lo, 0xc2ce8ed0, v31
	v_fmac_f32_e32 v45, 0x32a5705f, v28
	v_sub_f32_e32 v44, v44, v49
	v_ldexp_f32 v43, v43, v46
	v_add_f32_e32 v76, v35, v40
	v_ldexp_f32 v29, v37, v36
	v_add_f32_e32 v44, v44, v45
	v_cndmask_b32_e32 v37, 0, v43, vcc_lo
	v_cmp_ngt_f32_e32 vcc_lo, 0xc2ce8ed0, v32
	v_cvt_i32_f32_e32 v43, v49
	v_exp_f32_e32 v36, v44
	v_cndmask_b32_e32 v29, 0, v29, vcc_lo
	v_cmp_nlt_f32_e32 vcc_lo, 0x42b17218, v31
	v_cvt_f16_f32_e32 v31, v40
	v_cndmask_b32_e32 v75, 0x7f800000, v37, vcc_lo
	v_cmp_nlt_f32_e32 vcc_lo, 0x42b17218, v32
	v_ldexp_f32 v32, v36, v43
	v_cvt_f16_f32_e32 v36, v75
	v_cndmask_b32_e32 v102, 0x7f800000, v29, vcc_lo
	v_cmp_ngt_f32_e32 vcc_lo, 0xc2ce8ed0, v34
	v_cvt_f16_f32_e32 v29, v35
	v_cvt_f16_f32_e32 v37, v102
	v_cndmask_b32_e32 v30, 0, v30, vcc_lo
	v_cmp_ngt_f32_e32 vcc_lo, 0xc2ce8ed0, v28
	v_pack_b32_f16 v29, v29, v36
	v_add_f32_e32 v75, v75, v102
	v_pack_b32_f16 v31, v31, v37
	v_add_nc_u32_e32 v102, 0x1800, v74
	v_cndmask_b32_e32 v32, 0, v32, vcc_lo
	v_cmp_nlt_f32_e32 vcc_lo, 0x42b17218, v34
	ds_write2_b32 v33, v29, v31 offset1:32
	s_waitcnt vmcnt(3)
	ds_write_b128 v92, v[2:5]
	s_waitcnt vmcnt(2)
	ds_write_b128 v95, v[6:9]
	;; [unrolled: 2-line block ×4, first 2 shown]
	v_cndmask_b32_e32 v68, 0x7f800000, v30, vcc_lo
	v_cmp_nlt_f32_e32 vcc_lo, 0x42b17218, v28
	s_waitcnt lgkmcnt(0)
	s_barrier
	buffer_gl0_inv
	ds_read_b128 v[6:9], v94
	v_cndmask_b32_e32 v28, 0x7f800000, v32, vcc_lo
	v_cvt_f16_f32_e32 v2, v68
	ds_read_b128 v[29:32], v94 offset:16
	v_fmac_f32_e32 v76, v27, v68
	v_add_co_u32 v14, vcc_lo, v38, v99
	v_cvt_f16_f32_e32 v3, v28
	v_mul_u32_u24_sdwa v69, v2, v101 dst_sel:DWORD dst_unused:UNUSED_PAD src0_sel:WORD_0 src1_sel:DWORD
	v_add_co_ci_u32_e64 v15, null, 0, v39, vcc_lo
	v_add_co_u32 v16, vcc_lo, v41, v99
	v_mul_u32_u24_sdwa v70, v3, v101 dst_sel:DWORD dst_unused:UNUSED_PAD src0_sel:WORD_0 src1_sel:DWORD
	ds_read2_b64 v[10:13], v74 offset1:32
	ds_read_b128 v[33:36], v94 offset:32
	ds_read_b128 v[120:123], v94 offset:48
	;; [unrolled: 1-line block ×4, first 2 shown]
	v_pk_mul_f16 v25, v25, v69
	v_add_co_ci_u32_e64 v17, null, 0, v42, vcc_lo
	v_pk_mul_f16 v24, v24, v70
	v_fmac_f32_e32 v75, v26, v28
	s_waitcnt lgkmcnt(6)
	v_mul_u32_u24_sdwa v71, v6, v101 dst_sel:DWORD dst_unused:UNUSED_PAD src0_sel:WORD_0 src1_sel:DWORD
	v_mul_u32_u24_sdwa v78, v6, v101 dst_sel:DWORD dst_unused:UNUSED_PAD src0_sel:WORD_1 src1_sel:DWORD
	v_mul_u32_u24_sdwa v119, v7, v101 dst_sel:DWORD dst_unused:UNUSED_PAD src0_sel:WORD_0 src1_sel:DWORD
	v_mul_u32_u24_sdwa v118, v7, v101 dst_sel:DWORD dst_unused:UNUSED_PAD src0_sel:WORD_1 src1_sel:DWORD
	;; [unrolled: 2-line block ×4, first 2 shown]
	ds_read2_b64 v[6:9], v74 offset0:64 offset1:96
	s_waitcnt lgkmcnt(6)
	v_mul_u32_u24_sdwa v113, v29, v101 dst_sel:DWORD dst_unused:UNUSED_PAD src0_sel:WORD_0 src1_sel:DWORD
	s_waitcnt lgkmcnt(5)
	v_pk_mul_f16 v27, v10, v71
	v_pk_mul_f16 v68, v10, v78
	s_waitcnt lgkmcnt(3)
	v_mul_u32_u24_sdwa v44, v120, v101 dst_sel:DWORD dst_unused:UNUSED_PAD src0_sel:WORD_0 src1_sel:DWORD
	v_mul_u32_u24_sdwa v43, v120, v101 dst_sel:DWORD dst_unused:UNUSED_PAD src0_sel:WORD_1 src1_sel:DWORD
	v_mul_u32_u24_sdwa v42, v121, v101 dst_sel:DWORD dst_unused:UNUSED_PAD src0_sel:WORD_0 src1_sel:DWORD
	v_mul_u32_u24_sdwa v41, v121, v101 dst_sel:DWORD dst_unused:UNUSED_PAD src0_sel:WORD_1 src1_sel:DWORD
	;; [unrolled: 2-line block ×4, first 2 shown]
	v_pk_fma_f16 v25, v11, v71, v25
	v_pk_fma_f16 v23, v23, v69, v27
	;; [unrolled: 1-line block ×3, first 2 shown]
	ds_read2_b64 v[120:123], v74 offset0:128 offset1:160
	v_pk_fma_f16 v11, v11, v78, v24
	v_pk_fma_f16 v24, v13, v119, v25
	;; [unrolled: 1-line block ×4, first 2 shown]
	v_mul_u32_u24_sdwa v112, v29, v101 dst_sel:DWORD dst_unused:UNUSED_PAD src0_sel:WORD_1 src1_sel:DWORD
	v_pk_fma_f16 v11, v13, v118, v11
	v_mul_u32_u24_sdwa v111, v30, v101 dst_sel:DWORD dst_unused:UNUSED_PAD src0_sel:WORD_0 src1_sel:DWORD
	v_mul_u32_u24_sdwa v110, v30, v101 dst_sel:DWORD dst_unused:UNUSED_PAD src0_sel:WORD_1 src1_sel:DWORD
	v_mul_u32_u24_sdwa v109, v31, v101 dst_sel:DWORD dst_unused:UNUSED_PAD src0_sel:WORD_0 src1_sel:DWORD
	v_mul_u32_u24_sdwa v108, v31, v101 dst_sel:DWORD dst_unused:UNUSED_PAD src0_sel:WORD_1 src1_sel:DWORD
	;; [unrolled: 2-line block ×7, first 2 shown]
	s_waitcnt lgkmcnt(3)
	v_mul_u32_u24_sdwa v35, v124, v101 dst_sel:DWORD dst_unused:UNUSED_PAD src0_sel:WORD_0 src1_sel:DWORD
	v_mul_u32_u24_sdwa v36, v124, v101 dst_sel:DWORD dst_unused:UNUSED_PAD src0_sel:WORD_1 src1_sel:DWORD
	v_mul_u32_u24_sdwa v33, v125, v101 dst_sel:DWORD dst_unused:UNUSED_PAD src0_sel:WORD_0 src1_sel:DWORD
	v_mul_u32_u24_sdwa v34, v125, v101 dst_sel:DWORD dst_unused:UNUSED_PAD src0_sel:WORD_1 src1_sel:DWORD
	;; [unrolled: 2-line block ×4, first 2 shown]
	ds_read2_b64 v[124:127], v74 offset0:192 offset1:224
	s_waitcnt lgkmcnt(2)
	v_pk_fma_f16 v13, v7, v117, v24
	v_pk_fma_f16 v23, v6, v117, v23
	;; [unrolled: 1-line block ×4, first 2 shown]
	v_add_nc_u32_e32 v10, 0x800, v74
	v_pk_fma_f16 v11, v9, v115, v13
	v_pk_fma_f16 v12, v8, v115, v23
	;; [unrolled: 1-line block ×4, first 2 shown]
	ds_read2_b64 v[116:119], v10 offset1:32
	s_waitcnt lgkmcnt(2)
	v_pk_fma_f16 v11, v121, v113, v11
	v_pk_fma_f16 v12, v120, v113, v12
	v_pk_fma_f16 v13, v121, v112, v13
	v_pk_fma_f16 v23, v120, v112, v23
	ds_read2_b64 v[6:9], v10 offset0:64 offset1:96
	v_pk_fma_f16 v11, v123, v111, v11
	v_pk_fma_f16 v12, v122, v111, v12
	;; [unrolled: 1-line block ×4, first 2 shown]
	ds_read2_b64 v[112:115], v10 offset0:128 offset1:160
	s_waitcnt lgkmcnt(3)
	v_pk_fma_f16 v11, v125, v109, v11
	v_pk_fma_f16 v12, v124, v109, v12
	;; [unrolled: 1-line block ×4, first 2 shown]
	ds_read2_b64 v[120:123], v10 offset0:192 offset1:224
	v_pk_fma_f16 v11, v127, v107, v11
	v_pk_fma_f16 v12, v126, v107, v12
	;; [unrolled: 1-line block ×4, first 2 shown]
	v_add_nc_u32_e32 v22, 0x1000, v74
	s_waitcnt lgkmcnt(3)
	v_pk_fma_f16 v11, v117, v105, v11
	v_pk_fma_f16 v12, v116, v105, v12
	;; [unrolled: 1-line block ×4, first 2 shown]
	ds_read2_b64 v[108:111], v22 offset1:32
	v_pk_fma_f16 v11, v119, v103, v11
	v_pk_fma_f16 v12, v118, v103, v12
	v_pk_fma_f16 v13, v119, v49, v13
	v_pk_fma_f16 v23, v118, v49, v23
	ds_read2_b64 v[124:127], v22 offset0:64 offset1:96
	s_waitcnt lgkmcnt(4)
	v_pk_fma_f16 v11, v7, v48, v11
	v_pk_fma_f16 v12, v6, v48, v12
	v_pk_fma_f16 v7, v7, v47, v13
	v_pk_fma_f16 v6, v6, v47, v23
	v_mul_u32_u24_sdwa v24, v2, v101 dst_sel:DWORD dst_unused:UNUSED_PAD src0_sel:WORD_0 src1_sel:DWORD
	v_pk_fma_f16 v11, v9, v46, v11
	v_pk_fma_f16 v12, v8, v46, v12
	;; [unrolled: 1-line block ×4, first 2 shown]
	v_mul_u32_u24_sdwa v25, v2, v101 dst_sel:DWORD dst_unused:UNUSED_PAD src0_sel:WORD_1 src1_sel:DWORD
	s_waitcnt lgkmcnt(3)
	v_pk_fma_f16 v11, v113, v44, v11
	v_pk_fma_f16 v12, v112, v44, v12
	;; [unrolled: 1-line block ×4, first 2 shown]
	v_mul_u32_u24_sdwa v27, v3, v101 dst_sel:DWORD dst_unused:UNUSED_PAD src0_sel:WORD_0 src1_sel:DWORD
	v_pk_fma_f16 v11, v115, v42, v11
	v_pk_fma_f16 v12, v114, v42, v12
	;; [unrolled: 1-line block ×4, first 2 shown]
	v_mul_u32_u24_sdwa v41, v3, v101 dst_sel:DWORD dst_unused:UNUSED_PAD src0_sel:WORD_1 src1_sel:DWORD
	s_waitcnt lgkmcnt(2)
	v_pk_fma_f16 v2, v121, v40, v11
	v_mul_u32_u24_sdwa v42, v4, v101 dst_sel:DWORD dst_unused:UNUSED_PAD src0_sel:WORD_0 src1_sel:DWORD
	v_pk_fma_f16 v3, v121, v39, v13
	v_pk_fma_f16 v11, v120, v39, v23
	v_mul_u32_u24_sdwa v47, v4, v101 dst_sel:DWORD dst_unused:UNUSED_PAD src0_sel:WORD_1 src1_sel:DWORD
	v_pk_fma_f16 v4, v120, v40, v12
	v_pk_fma_f16 v12, v123, v37, v2
	;; [unrolled: 1-line block ×4, first 2 shown]
	ds_read2_b64 v[104:107], v22 offset0:128 offset1:160
	v_pk_fma_f16 v49, v122, v37, v4
	s_waitcnt lgkmcnt(2)
	v_pk_fma_f16 v12, v109, v35, v12
	v_pk_fma_f16 v13, v109, v36, v13
	;; [unrolled: 1-line block ×3, first 2 shown]
	ds_read2_b64 v[116:119], v22 offset0:192 offset1:224
	v_pk_fma_f16 v35, v108, v35, v49
	v_pk_fma_f16 v12, v111, v33, v12
	;; [unrolled: 1-line block ×4, first 2 shown]
	ds_read2_b64 v[68:71], v102 offset1:32
	ds_read2_b64 v[6:9], v102 offset0:64 offset1:96
	ds_read2_b64 v[43:46], v102 offset0:128 offset1:160
	v_mul_u32_u24_sdwa v48, v5, v101 dst_sel:DWORD dst_unused:UNUSED_PAD src0_sel:WORD_0 src1_sel:DWORD
	v_mul_u32_u24_sdwa v23, v5, v101 dst_sel:DWORD dst_unused:UNUSED_PAD src0_sel:WORD_1 src1_sel:DWORD
	ds_read_b128 v[2:5], v94 offset:96
	ds_read_b128 v[37:40], v94 offset:112
	ds_read2_b64 v[112:115], v102 offset0:192 offset1:224
	s_waitcnt lgkmcnt(0)
	s_barrier
	buffer_gl0_inv
	v_pk_fma_f16 v49, v110, v33, v35
	s_clause 0x1
	global_load_dwordx4 v[33:36], v[18:19], off
	global_load_dwordx4 v[18:21], v[20:21], off
	v_pk_fma_f16 v78, v125, v31, v12
	v_pk_fma_f16 v103, v125, v32, v13
	;; [unrolled: 1-line block ×3, first 2 shown]
	s_clause 0x1
	global_load_dwordx4 v[11:14], v[14:15], off
	global_load_dwordx4 v[108:111], v[16:17], off
	v_pk_fma_f16 v31, v124, v31, v49
	v_pk_fma_f16 v15, v127, v30, v78
	s_waitcnt vmcnt(3)
	ds_write_b128 v92, v[33:36]
	s_waitcnt vmcnt(2)
	ds_write_b128 v95, v[18:21]
	s_waitcnt vmcnt(1)
	ds_write_b128 v96, v[11:14]
	s_waitcnt vmcnt(0)
	ds_write_b128 v97, v[108:111]
	v_pk_fma_f16 v16, v126, v30, v31
	v_pk_fma_f16 v30, v127, v29, v103
	;; [unrolled: 1-line block ×4, first 2 shown]
	v_mul_u32_u24_sdwa v17, v2, v101 dst_sel:DWORD dst_unused:UNUSED_PAD src0_sel:WORD_0 src1_sel:DWORD
	v_pk_fma_f16 v16, v104, v24, v16
	v_pk_fma_f16 v30, v105, v25, v30
	;; [unrolled: 1-line block ×4, first 2 shown]
	v_mul_u32_u24_sdwa v2, v2, v101 dst_sel:DWORD dst_unused:UNUSED_PAD src0_sel:WORD_1 src1_sel:DWORD
	v_pk_fma_f16 v16, v106, v27, v16
	v_pk_fma_f16 v29, v107, v41, v30
	;; [unrolled: 1-line block ×4, first 2 shown]
	v_mul_u32_u24_sdwa v31, v3, v101 dst_sel:DWORD dst_unused:UNUSED_PAD src0_sel:WORD_0 src1_sel:DWORD
	v_pk_fma_f16 v16, v116, v42, v16
	v_pk_fma_f16 v29, v117, v47, v29
	;; [unrolled: 1-line block ×4, first 2 shown]
	v_mul_u32_u24_sdwa v3, v3, v101 dst_sel:DWORD dst_unused:UNUSED_PAD src0_sel:WORD_1 src1_sel:DWORD
	v_pk_fma_f16 v16, v118, v48, v16
	v_pk_fma_f16 v29, v119, v23, v29
	;; [unrolled: 1-line block ×4, first 2 shown]
	v_mul_u32_u24_sdwa v32, v4, v101 dst_sel:DWORD dst_unused:UNUSED_PAD src0_sel:WORD_0 src1_sel:DWORD
	v_pk_fma_f16 v16, v68, v17, v16
	v_pk_fma_f16 v29, v69, v2, v29
	;; [unrolled: 1-line block ×3, first 2 shown]
	v_mul_u32_u24_sdwa v4, v4, v101 dst_sel:DWORD dst_unused:UNUSED_PAD src0_sel:WORD_1 src1_sel:DWORD
	v_pk_fma_f16 v15, v71, v31, v15
	v_pk_fma_f16 v16, v70, v31, v16
	;; [unrolled: 1-line block ×4, first 2 shown]
	v_mul_u32_u24_sdwa v24, v5, v101 dst_sel:DWORD dst_unused:UNUSED_PAD src0_sel:WORD_0 src1_sel:DWORD
	v_mul_u32_u24_sdwa v5, v5, v101 dst_sel:DWORD dst_unused:UNUSED_PAD src0_sel:WORD_1 src1_sel:DWORD
	v_pk_fma_f16 v3, v7, v32, v15
	v_pk_fma_f16 v7, v7, v4, v23
	;; [unrolled: 1-line block ×4, first 2 shown]
	v_mul_u32_u24_sdwa v27, v37, v101 dst_sel:DWORD dst_unused:UNUSED_PAD src0_sel:WORD_0 src1_sel:DWORD
	v_pk_fma_f16 v3, v9, v24, v3
	v_pk_fma_f16 v6, v9, v5, v7
	;; [unrolled: 1-line block ×3, first 2 shown]
	v_mul_u32_u24_sdwa v30, v37, v101 dst_sel:DWORD dst_unused:UNUSED_PAD src0_sel:WORD_1 src1_sel:DWORD
	v_pk_fma_f16 v2, v8, v5, v2
	v_mul_u32_u24_sdwa v25, v38, v101 dst_sel:DWORD dst_unused:UNUSED_PAD src0_sel:WORD_0 src1_sel:DWORD
	v_pk_fma_f16 v3, v44, v27, v3
	v_pk_fma_f16 v7, v43, v27, v7
	v_mul_u32_u24_sdwa v17, v38, v101 dst_sel:DWORD dst_unused:UNUSED_PAD src0_sel:WORD_1 src1_sel:DWORD
	v_pk_fma_f16 v6, v44, v30, v6
	v_pk_fma_f16 v2, v43, v30, v2
	v_mul_u32_u24_sdwa v15, v39, v101 dst_sel:DWORD dst_unused:UNUSED_PAD src0_sel:WORD_0 src1_sel:DWORD
	v_pk_fma_f16 v3, v46, v25, v3
	v_pk_fma_f16 v7, v45, v25, v7
	s_waitcnt lgkmcnt(0)
	s_barrier
	buffer_gl0_inv
	ds_read_b128 v[11:14], v94 offset:128
	v_mul_u32_u24_sdwa v4, v39, v101 dst_sel:DWORD dst_unused:UNUSED_PAD src0_sel:WORD_1 src1_sel:DWORD
	v_pk_fma_f16 v6, v46, v17, v6
	v_pk_fma_f16 v2, v45, v17, v2
	;; [unrolled: 1-line block ×4, first 2 shown]
	ds_read_b128 v[15:18], v94 offset:144
	v_mul_u32_u24_sdwa v5, v40, v101 dst_sel:DWORD dst_unused:UNUSED_PAD src0_sel:WORD_0 src1_sel:DWORD
	v_mul_u32_u24_sdwa v8, v40, v101 dst_sel:DWORD dst_unused:UNUSED_PAD src0_sel:WORD_1 src1_sel:DWORD
	v_pk_fma_f16 v6, v113, v4, v6
	v_pk_fma_f16 v2, v112, v4, v2
	;; [unrolled: 1-line block ×6, first 2 shown]
	ds_read2_b64 v[23:26], v74 offset1:32
	ds_read_b128 v[42:45], v94 offset:160
	ds_read_b128 v[46:49], v94 offset:176
	ds_read2_b64 v[68:71], v74 offset0:64 offset1:96
	ds_read2_b64 v[109:112], v74 offset0:128 offset1:160
	;; [unrolled: 1-line block ×3, first 2 shown]
	ds_read2_b64 v[30:33], v10 offset1:32
	ds_read2_b64 v[34:37], v10 offset0:64 offset1:96
	ds_read2_b64 v[6:9], v10 offset0:128 offset1:160
	;; [unrolled: 1-line block ×3, first 2 shown]
	s_waitcnt lgkmcnt(11)
	v_mul_u32_u24_sdwa v10, v11, v101 dst_sel:DWORD dst_unused:UNUSED_PAD src0_sel:WORD_0 src1_sel:DWORD
	v_mul_u32_u24_sdwa v28, v11, v101 dst_sel:DWORD dst_unused:UNUSED_PAD src0_sel:WORD_1 src1_sel:DWORD
	v_mul_u32_u24_sdwa v29, v12, v101 dst_sel:DWORD dst_unused:UNUSED_PAD src0_sel:WORD_0 src1_sel:DWORD
	v_mul_u32_u24_sdwa v78, v12, v101 dst_sel:DWORD dst_unused:UNUSED_PAD src0_sel:WORD_1 src1_sel:DWORD
	v_mul_u32_u24_sdwa v105, v14, v101 dst_sel:DWORD dst_unused:UNUSED_PAD src0_sel:WORD_0 src1_sel:DWORD
	v_mul_u32_u24_sdwa v106, v14, v101 dst_sel:DWORD dst_unused:UNUSED_PAD src0_sel:WORD_1 src1_sel:DWORD
	s_waitcnt lgkmcnt(10)
	v_mul_u32_u24_sdwa v113, v15, v101 dst_sel:DWORD dst_unused:UNUSED_PAD src0_sel:WORD_0 src1_sel:DWORD
	v_mul_u32_u24_sdwa v114, v15, v101 dst_sel:DWORD dst_unused:UNUSED_PAD src0_sel:WORD_1 src1_sel:DWORD
	v_mul_u32_u24_sdwa v119, v18, v101 dst_sel:DWORD dst_unused:UNUSED_PAD src0_sel:WORD_0 src1_sel:DWORD
	v_mul_u32_u24_sdwa v120, v18, v101 dst_sel:DWORD dst_unused:UNUSED_PAD src0_sel:WORD_1 src1_sel:DWORD
	s_waitcnt lgkmcnt(9)
	v_pk_fma_f16 v14, v23, v10, v21
	v_pk_fma_f16 v15, v24, v10, v19
	v_pk_fma_f16 v18, v23, v28, v27
	v_pk_fma_f16 v19, v24, v28, v20
	v_mul_u32_u24_sdwa v103, v13, v101 dst_sel:DWORD dst_unused:UNUSED_PAD src0_sel:WORD_0 src1_sel:DWORD
	v_mul_u32_u24_sdwa v104, v13, v101 dst_sel:DWORD dst_unused:UNUSED_PAD src0_sel:WORD_1 src1_sel:DWORD
	v_pk_fma_f16 v23, v25, v29, v14
	v_pk_fma_f16 v24, v26, v29, v15
	;; [unrolled: 1-line block ×4, first 2 shown]
	v_mul_u32_u24_sdwa v115, v16, v101 dst_sel:DWORD dst_unused:UNUSED_PAD src0_sel:WORD_0 src1_sel:DWORD
	s_waitcnt lgkmcnt(6)
	v_pk_fma_f16 v23, v68, v103, v23
	v_pk_fma_f16 v24, v69, v103, v24
	;; [unrolled: 1-line block ×4, first 2 shown]
	v_mul_u32_u24_sdwa v116, v16, v101 dst_sel:DWORD dst_unused:UNUSED_PAD src0_sel:WORD_1 src1_sel:DWORD
	v_pk_fma_f16 v23, v70, v105, v23
	v_pk_fma_f16 v24, v71, v105, v24
	;; [unrolled: 1-line block ×4, first 2 shown]
	v_mul_u32_u24_sdwa v117, v17, v101 dst_sel:DWORD dst_unused:UNUSED_PAD src0_sel:WORD_0 src1_sel:DWORD
	s_waitcnt lgkmcnt(5)
	v_pk_fma_f16 v23, v109, v113, v23
	v_pk_fma_f16 v24, v110, v113, v24
	;; [unrolled: 1-line block ×4, first 2 shown]
	v_mul_u32_u24_sdwa v118, v17, v101 dst_sel:DWORD dst_unused:UNUSED_PAD src0_sel:WORD_1 src1_sel:DWORD
	v_pk_fma_f16 v27, v111, v115, v23
	v_pk_fma_f16 v28, v112, v115, v24
	;; [unrolled: 1-line block ×4, first 2 shown]
	v_mul_u32_u24_sdwa v78, v46, v101 dst_sel:DWORD dst_unused:UNUSED_PAD src0_sel:WORD_0 src1_sel:DWORD
	v_mul_u32_u24_sdwa v77, v46, v101 dst_sel:DWORD dst_unused:UNUSED_PAD src0_sel:WORD_1 src1_sel:DWORD
	v_mul_u32_u24_sdwa v108, v47, v101 dst_sel:DWORD dst_unused:UNUSED_PAD src0_sel:WORD_0 src1_sel:DWORD
	v_mul_u32_u24_sdwa v107, v47, v101 dst_sel:DWORD dst_unused:UNUSED_PAD src0_sel:WORD_1 src1_sel:DWORD
	s_waitcnt lgkmcnt(4)
	v_pk_fma_f16 v46, v38, v117, v27
	v_pk_fma_f16 v47, v39, v117, v28
	;; [unrolled: 1-line block ×4, first 2 shown]
	v_mul_u32_u24_sdwa v121, v42, v101 dst_sel:DWORD dst_unused:UNUSED_PAD src0_sel:WORD_0 src1_sel:DWORD
	v_mul_u32_u24_sdwa v122, v42, v101 dst_sel:DWORD dst_unused:UNUSED_PAD src0_sel:WORD_1 src1_sel:DWORD
	v_mul_u32_u24_sdwa v105, v48, v101 dst_sel:DWORD dst_unused:UNUSED_PAD src0_sel:WORD_0 src1_sel:DWORD
	v_mul_u32_u24_sdwa v106, v48, v101 dst_sel:DWORD dst_unused:UNUSED_PAD src0_sel:WORD_1 src1_sel:DWORD
	;; [unrolled: 2-line block ×3, first 2 shown]
	v_pk_fma_f16 v46, v40, v119, v46
	v_pk_fma_f16 v47, v41, v119, v47
	v_pk_fma_f16 v48, v40, v120, v38
	v_pk_fma_f16 v49, v41, v120, v39
	v_mul_u32_u24_sdwa v123, v43, v101 dst_sel:DWORD dst_unused:UNUSED_PAD src0_sel:WORD_0 src1_sel:DWORD
	v_mul_u32_u24_sdwa v124, v43, v101 dst_sel:DWORD dst_unused:UNUSED_PAD src0_sel:WORD_1 src1_sel:DWORD
	v_mul_u32_u24_sdwa v125, v44, v101 dst_sel:DWORD dst_unused:UNUSED_PAD src0_sel:WORD_0 src1_sel:DWORD
	v_mul_u32_u24_sdwa v126, v44, v101 dst_sel:DWORD dst_unused:UNUSED_PAD src0_sel:WORD_1 src1_sel:DWORD
	;; [unrolled: 2-line block ×3, first 2 shown]
	ds_read2_b64 v[10:13], v22 offset1:32
	ds_read2_b64 v[14:17], v22 offset0:64 offset1:96
	ds_read2_b64 v[18:21], v22 offset0:128 offset1:160
	ds_read_b128 v[68:71], v94 offset:192
	ds_read_b128 v[42:45], v94 offset:208
	s_waitcnt lgkmcnt(8)
	v_pk_fma_f16 v109, v30, v121, v46
	v_pk_fma_f16 v110, v31, v121, v47
	;; [unrolled: 1-line block ×4, first 2 shown]
	ds_read2_b64 v[22:25], v22 offset0:192 offset1:224
	v_pk_fma_f16 v109, v32, v123, v109
	v_pk_fma_f16 v110, v33, v123, v110
	;; [unrolled: 1-line block ×4, first 2 shown]
	ds_read2_b64 v[26:29], v102 offset1:32
	s_waitcnt lgkmcnt(9)
	v_pk_fma_f16 v32, v34, v125, v109
	v_pk_fma_f16 v33, v35, v125, v110
	;; [unrolled: 1-line block ×4, first 2 shown]
	ds_read2_b64 v[38:41], v102 offset0:64 offset1:96
	ds_read2_b64 v[46:49], v102 offset0:128 offset1:160
	v_pk_fma_f16 v117, v36, v80, v30
	s_waitcnt lgkmcnt(5)
	v_mul_u32_u24_sdwa v111, v68, v101 dst_sel:DWORD dst_unused:UNUSED_PAD src0_sel:WORD_0 src1_sel:DWORD
	v_mul_u32_u24_sdwa v112, v68, v101 dst_sel:DWORD dst_unused:UNUSED_PAD src0_sel:WORD_1 src1_sel:DWORD
	v_mul_u32_u24_sdwa v113, v69, v101 dst_sel:DWORD dst_unused:UNUSED_PAD src0_sel:WORD_0 src1_sel:DWORD
	v_mul_u32_u24_sdwa v114, v69, v101 dst_sel:DWORD dst_unused:UNUSED_PAD src0_sel:WORD_1 src1_sel:DWORD
	v_pk_fma_f16 v68, v36, v127, v32
	v_pk_fma_f16 v69, v37, v127, v33
	;; [unrolled: 1-line block ×3, first 2 shown]
	v_mul_u32_u24_sdwa v115, v70, v101 dst_sel:DWORD dst_unused:UNUSED_PAD src0_sel:WORD_0 src1_sel:DWORD
	v_mul_u32_u24_sdwa v116, v70, v101 dst_sel:DWORD dst_unused:UNUSED_PAD src0_sel:WORD_1 src1_sel:DWORD
	v_pk_fma_f16 v118, v6, v78, v68
	v_pk_fma_f16 v78, v7, v78, v69
	;; [unrolled: 1-line block ×4, first 2 shown]
	v_mul_u32_u24_sdwa v109, v71, v101 dst_sel:DWORD dst_unused:UNUSED_PAD src0_sel:WORD_0 src1_sel:DWORD
	v_pk_fma_f16 v80, v8, v108, v118
	v_pk_fma_f16 v78, v9, v108, v78
	;; [unrolled: 1-line block ×4, first 2 shown]
	v_mul_u32_u24_sdwa v110, v71, v101 dst_sel:DWORD dst_unused:UNUSED_PAD src0_sel:WORD_1 src1_sel:DWORD
	v_pk_fma_f16 v80, v2, v105, v80
	s_waitcnt lgkmcnt(4)
	v_mul_u32_u24_sdwa v77, v42, v101 dst_sel:DWORD dst_unused:UNUSED_PAD src0_sel:WORD_0 src1_sel:DWORD
	v_pk_fma_f16 v2, v2, v106, v6
	v_pk_fma_f16 v6, v3, v105, v78
	;; [unrolled: 1-line block ×4, first 2 shown]
	v_mul_u32_u24_sdwa v42, v42, v101 dst_sel:DWORD dst_unused:UNUSED_PAD src0_sel:WORD_1 src1_sel:DWORD
	v_pk_fma_f16 v2, v4, v104, v2
	v_pk_fma_f16 v4, v5, v103, v6
	;; [unrolled: 1-line block ×4, first 2 shown]
	ds_read_b128 v[30:33], v94 offset:224
	ds_read_b128 v[34:37], v94 offset:240
	v_pk_fma_f16 v2, v10, v112, v2
	v_pk_fma_f16 v4, v11, v111, v4
	;; [unrolled: 1-line block ×4, first 2 shown]
	v_mul_u32_u24_sdwa v8, v43, v101 dst_sel:DWORD dst_unused:UNUSED_PAD src0_sel:WORD_0 src1_sel:DWORD
	v_pk_fma_f16 v2, v12, v114, v2
	v_pk_fma_f16 v4, v13, v113, v4
	;; [unrolled: 1-line block ×4, first 2 shown]
	v_mul_u32_u24_sdwa v9, v43, v101 dst_sel:DWORD dst_unused:UNUSED_PAD src0_sel:WORD_1 src1_sel:DWORD
	v_pk_fma_f16 v2, v14, v116, v2
	v_pk_fma_f16 v4, v15, v115, v4
	;; [unrolled: 1-line block ×4, first 2 shown]
	v_mul_u32_u24_sdwa v43, v44, v101 dst_sel:DWORD dst_unused:UNUSED_PAD src0_sel:WORD_0 src1_sel:DWORD
	v_pk_fma_f16 v2, v16, v110, v2
	v_pk_fma_f16 v4, v17, v109, v4
	v_pk_fma_f16 v3, v17, v110, v3
	v_pk_fma_f16 v6, v18, v77, v6
	v_mul_u32_u24_sdwa v44, v44, v101 dst_sel:DWORD dst_unused:UNUSED_PAD src0_sel:WORD_1 src1_sel:DWORD
	v_pk_fma_f16 v2, v18, v42, v2
	v_pk_fma_f16 v4, v19, v77, v4
	v_pk_fma_f16 v3, v19, v42, v3
	v_pk_fma_f16 v6, v20, v8, v6
	ds_read2_b64 v[68:71], v102 offset0:192 offset1:224
	v_pk_fma_f16 v2, v20, v9, v2
	v_pk_fma_f16 v4, v21, v8, v4
	;; [unrolled: 1-line block ×3, first 2 shown]
	v_mul_u32_u24_sdwa v102, v45, v101 dst_sel:DWORD dst_unused:UNUSED_PAD src0_sel:WORD_0 src1_sel:DWORD
	v_mul_u32_u24_sdwa v45, v45, v101 dst_sel:DWORD dst_unused:UNUSED_PAD src0_sel:WORD_1 src1_sel:DWORD
	s_waitcnt lgkmcnt(6)
	v_pk_fma_f16 v6, v22, v43, v6
	v_pk_fma_f16 v2, v22, v44, v2
	v_pk_fma_f16 v4, v23, v43, v4
	v_pk_fma_f16 v3, v23, v44, v3
	s_waitcnt lgkmcnt(2)
	v_mul_u32_u24_sdwa v7, v30, v101 dst_sel:DWORD dst_unused:UNUSED_PAD src0_sel:WORD_0 src1_sel:DWORD
	v_mul_u32_u24_sdwa v5, v30, v101 dst_sel:DWORD dst_unused:UNUSED_PAD src0_sel:WORD_1 src1_sel:DWORD
	v_pk_fma_f16 v6, v24, v102, v6
	v_pk_fma_f16 v2, v24, v45, v2
	v_pk_fma_f16 v4, v25, v102, v4
	v_pk_fma_f16 v3, v25, v45, v3
	v_mul_u32_u24_sdwa v10, v31, v101 dst_sel:DWORD dst_unused:UNUSED_PAD src0_sel:WORD_0 src1_sel:DWORD
	v_mul_u32_u24_sdwa v11, v31, v101 dst_sel:DWORD dst_unused:UNUSED_PAD src0_sel:WORD_1 src1_sel:DWORD
	v_pk_fma_f16 v6, v26, v7, v6
	v_pk_fma_f16 v2, v26, v5, v2
	v_pk_fma_f16 v4, v27, v7, v4
	v_pk_fma_f16 v3, v27, v5, v3
	v_mul_u32_u24_sdwa v12, v32, v101 dst_sel:DWORD dst_unused:UNUSED_PAD src0_sel:WORD_0 src1_sel:DWORD
	v_mul_u32_u24_sdwa v13, v32, v101 dst_sel:DWORD dst_unused:UNUSED_PAD src0_sel:WORD_1 src1_sel:DWORD
	v_pk_fma_f16 v6, v28, v10, v6
	v_pk_fma_f16 v2, v28, v11, v2
	v_pk_fma_f16 v4, v29, v10, v4
	v_pk_fma_f16 v3, v29, v11, v3
	v_mul_u32_u24_sdwa v14, v33, v101 dst_sel:DWORD dst_unused:UNUSED_PAD src0_sel:WORD_0 src1_sel:DWORD
	v_mul_u32_u24_sdwa v8, v33, v101 dst_sel:DWORD dst_unused:UNUSED_PAD src0_sel:WORD_1 src1_sel:DWORD
	v_pk_fma_f16 v6, v38, v12, v6
	v_pk_fma_f16 v2, v38, v13, v2
	v_pk_fma_f16 v4, v39, v12, v4
	v_pk_fma_f16 v3, v39, v13, v3
	s_waitcnt lgkmcnt(0)
	s_barrier
	buffer_gl0_inv
	s_load_dword s8, s[6:7], 0x4
	v_mul_u32_u24_sdwa v9, v34, v101 dst_sel:DWORD dst_unused:UNUSED_PAD src0_sel:WORD_0 src1_sel:DWORD
	v_mul_u32_u24_sdwa v15, v34, v101 dst_sel:DWORD dst_unused:UNUSED_PAD src0_sel:WORD_1 src1_sel:DWORD
	v_pk_fma_f16 v6, v40, v14, v6
	v_pk_fma_f16 v2, v40, v8, v2
	v_pk_fma_f16 v4, v41, v14, v4
	v_pk_fma_f16 v3, v41, v8, v3
	v_mul_u32_u24_sdwa v5, v35, v101 dst_sel:DWORD dst_unused:UNUSED_PAD src0_sel:WORD_0 src1_sel:DWORD
	v_mul_u32_u24_sdwa v7, v35, v101 dst_sel:DWORD dst_unused:UNUSED_PAD src0_sel:WORD_1 src1_sel:DWORD
	v_pk_fma_f16 v6, v46, v9, v6
	v_pk_fma_f16 v2, v46, v15, v2
	v_pk_fma_f16 v4, v47, v9, v4
	v_pk_fma_f16 v3, v47, v15, v3
	;; [unrolled: 6-line block ×4, first 2 shown]
	s_waitcnt lgkmcnt(0)
	s_lshl_b32 s8, s8, 6
	v_pk_fma_f16 v23, v70, v9, v6
	v_pk_fma_f16 v22, v70, v5, v2
	;; [unrolled: 1-line block ×4, first 2 shown]
	s_add_i32 s10, s8, s10
	s_cmp_lt_i32 s10, s12
	s_cbranch_scc0 .LBB89_39
; %bb.33:                               ;   in Loop: Header=BB89_8 Depth=1
	v_mov_b32_e32 v18, v50
	v_mov_b32_e32 v28, v51
	;; [unrolled: 1-line block ×4, first 2 shown]
	s_branch .LBB89_8
.LBB89_34:                              ;   in Loop: Header=BB89_8 Depth=1
	v_mov_b32_e32 v21, 0
	v_cmp_ngt_f32_e64 s8, 0x3f200000, |v11|
                                        ; implicit-def: $vgpr6
	s_and_saveexec_b32 s9, s8
	s_xor_b32 s8, exec_lo, s9
	s_cbranch_execz .LBB89_15
	s_branch .LBB89_14
.LBB89_35:                              ;   in Loop: Header=BB89_8 Depth=1
	v_mov_b32_e32 v31, 0
	v_cmp_ngt_f32_e64 s8, 0x3f200000, |v20|
                                        ; implicit-def: $vgpr40
	s_and_saveexec_b32 s9, s8
	s_xor_b32 s8, exec_lo, s9
	s_cbranch_execz .LBB89_27
	s_branch .LBB89_26
.LBB89_36:
	v_mov_b32_e32 v50, 0xfeffffff
	v_mov_b32_e32 v23, 0
	;; [unrolled: 1-line block ×7, first 2 shown]
	s_cmp_gt_i32 s48, s10
	s_cbranch_scc0 .LBB89_40
.LBB89_37:
                                        ; implicit-def: $vgpr2
                                        ; implicit-def: $vgpr14
                                        ; implicit-def: $vgpr12
                                        ; implicit-def: $vgpr11
                                        ; implicit-def: $vgpr13
                                        ; implicit-def: $vgpr15
                                        ; implicit-def: $vgpr16
	s_branch .LBB89_41
.LBB89_38:
	v_mov_b32_e32 v73, v2
	s_branch .LBB89_78
.LBB89_39:
	buffer_load_dword v53, off, s[0:3], 0 offset:16 ; 4-byte Folded Reload
	v_or_b32_e32 v52, 1, v85
	v_and_b32_e32 v38, 60, v72
	v_lshrrev_b32_e32 v39, 4, v0
	v_or_b32_e32 v40, 1, v84
	v_and_b32_e32 v19, 28, v72
	v_lshrrev_b32_e32 v3, 3, v0
	s_cmp_gt_i32 s48, s10
	s_cbranch_scc1 .LBB89_37
.LBB89_40:
	v_mbcnt_lo_u32_b32 v2, -1, 0
	v_mov_b32_e32 v14, 32
	v_xor_b32_e32 v12, 16, v2
	v_xor_b32_e32 v11, 8, v2
	;; [unrolled: 1-line block ×5, first 2 shown]
	s_cbranch_execnz .LBB89_38
.LBB89_41:
	v_lshl_add_u32 v20, v1, 2, v3
	s_mul_hi_i32 s7, s10, s35
	s_mul_i32 s6, s10, s35
	s_sub_i32 s16, s48, s10
	s_lshl_b64 s[6:7], s[6:7], 2
	v_mul_lo_u32 v2, s35, v20
	s_add_u32 s8, s15, s6
	v_lshlrev_b32_e32 v21, 2, v19
	s_addc_u32 s9, s36, s7
	v_cmp_gt_i32_e64 s7, s16, v20
	s_mov_b64 s[12:13], src_private_base
	s_lshl_b32 s12, s35, 4
	v_ashrrev_i32_e32 v3, 31, v2
	v_add_nc_u32_e32 v6, s12, v2
	v_lshlrev_b64 v[3:4], 2, v[2:3]
	v_ashrrev_i32_e32 v7, 31, v6
	v_add_co_u32 v3, vcc_lo, s8, v3
	v_add_co_ci_u32_e64 v4, null, s9, v4, vcc_lo
	v_add_co_u32 v12, vcc_lo, v3, v21
	v_add_co_ci_u32_e64 v13, null, 0, v4, vcc_lo
	v_mov_b32_e32 v3, 0
	v_cndmask_b32_e64 v4, 0, v12, s7
	buffer_store_dword v3, off, s[0:3], 0
	buffer_store_dword v3, off, s[0:3], 0 offset:4
	buffer_store_dword v3, off, s[0:3], 0 offset:8
	;; [unrolled: 1-line block ×3, first 2 shown]
	v_cndmask_b32_e64 v5, s13, v13, s7
	flat_load_dwordx4 v[14:17], v[4:5]
	v_lshlrev_b64 v[4:5], 2, v[6:7]
	v_add_nc_u32_e32 v7, 16, v20
	buffer_store_dword v3, off, s[0:3], 0
	buffer_store_dword v3, off, s[0:3], 0 offset:4
	buffer_store_dword v3, off, s[0:3], 0 offset:8
	;; [unrolled: 1-line block ×3, first 2 shown]
	v_add_nc_u32_e32 v6, s12, v6
	v_add_co_u32 v2, vcc_lo, s8, v4
	v_add_co_ci_u32_e64 v4, null, s9, v5, vcc_lo
	v_add_co_u32 v5, vcc_lo, v2, v21
	v_add_co_ci_u32_e64 v9, null, 0, v4, vcc_lo
	v_cmp_gt_i32_e32 vcc_lo, s16, v7
	v_mad_u32_u24 v4, 0x90, v20, v21
	v_cndmask_b32_e32 v8, s13, v9, vcc_lo
	v_cndmask_b32_e32 v7, 0, v5, vcc_lo
	s_waitcnt vmcnt(0) lgkmcnt(0)
	ds_write_b128 v4, v[14:17]
	flat_load_dwordx4 v[14:17], v[7:8]
	v_ashrrev_i32_e32 v7, 31, v6
	buffer_store_dword v3, off, s[0:3], 0
	buffer_store_dword v3, off, s[0:3], 0 offset:4
	buffer_store_dword v3, off, s[0:3], 0 offset:8
	;; [unrolled: 1-line block ×3, first 2 shown]
	v_lshlrev_b64 v[7:8], 2, v[6:7]
	v_add_nc_u32_e32 v6, s12, v6
	v_add_co_u32 v2, s6, s8, v7
	v_add_co_ci_u32_e64 v7, null, s9, v8, s6
	v_add_nc_u32_e32 v8, 32, v20
	v_add_co_u32 v10, s6, v2, v21
	v_add_co_ci_u32_e64 v11, null, 0, v7, s6
	v_cmp_gt_i32_e64 s6, s16, v8
	v_cndmask_b32_e64 v8, s13, v11, s6
	v_cndmask_b32_e64 v7, 0, v10, s6
	s_waitcnt vmcnt(0) lgkmcnt(0)
	ds_write_b128 v4, v[14:17] offset:2304
	flat_load_dwordx4 v[16:19], v[7:8]
	v_ashrrev_i32_e32 v7, 31, v6
	buffer_store_dword v3, off, s[0:3], 0
	buffer_store_dword v3, off, s[0:3], 0 offset:4
	buffer_store_dword v3, off, s[0:3], 0 offset:8
	;; [unrolled: 1-line block ×3, first 2 shown]
	v_mov_b32_e32 v8, 0
	v_lshlrev_b64 v[6:7], 2, v[6:7]
	v_add_co_u32 v2, s8, s8, v6
	v_add_co_ci_u32_e64 v6, null, s9, v7, s8
	v_add_nc_u32_e32 v7, 48, v20
	v_add_co_u32 v14, s8, v2, v21
	v_add_co_ci_u32_e64 v15, null, 0, v6, s8
	v_cmp_gt_i32_e64 s8, s16, v7
	v_mov_b32_e32 v2, 0
	v_add_co_u32 v12, s9, 0x80, v12
	v_add_co_ci_u32_e64 v13, null, 0, v13, s9
	v_cndmask_b32_e64 v7, s13, v15, s8
	v_cndmask_b32_e64 v6, 0, v14, s8
	;; [unrolled: 1-line block ×4, first 2 shown]
	v_add_co_u32 v5, s7, 0x80, v5
	v_add_co_ci_u32_e64 v9, null, 0, v9, s7
	s_waitcnt vmcnt(0) lgkmcnt(0)
	ds_write_b128 v4, v[16:19] offset:4608
	flat_load_dwordx4 v[16:19], v[6:7]
	v_mov_b32_e32 v7, 0
	v_mov_b32_e32 v6, 0
	s_waitcnt vmcnt(0) lgkmcnt(0)
	ds_write_b128 v4, v[16:19] offset:6912
	s_waitcnt lgkmcnt(0)
	s_waitcnt_vscnt null, 0x0
	s_barrier
	buffer_gl0_inv
	ds_read_b128 v[16:19], v83
	ds_read_b128 v[26:29], v82 offset:9216
	ds_read_b128 v[30:33], v82 offset:9472
	ds_read_b128 v[34:37], v83 offset:4608
	s_waitcnt lgkmcnt(2)
	;;#ASMSTART
	v_dot2_f32_f16 v2, v16, v26, v2
	;;#ASMEND
	;;#ASMSTART
	v_dot2_f32_f16 v2, v17, v27, v2
	;;#ASMEND
	;;#ASMSTART
	v_dot2_f32_f16 v2, v18, v28, v2
	;;#ASMEND
	;;#ASMSTART
	v_dot2_f32_f16 v2, v19, v29, v2
	;;#ASMEND
	s_waitcnt lgkmcnt(1)
	;;#ASMSTART
	v_dot2_f32_f16 v7, v16, v30, v7
	;;#ASMEND
	;;#ASMSTART
	v_dot2_f32_f16 v7, v17, v31, v7
	;;#ASMEND
	;;#ASMSTART
	v_dot2_f32_f16 v7, v18, v32, v7
	;;#ASMEND
	;;#ASMSTART
	v_dot2_f32_f16 v7, v19, v33, v7
	;;#ASMEND
	s_waitcnt lgkmcnt(0)
	;;#ASMSTART
	v_dot2_f32_f16 v8, v34, v26, v8
	;;#ASMEND
	;;#ASMSTART
	v_dot2_f32_f16 v8, v35, v27, v8
	;;#ASMEND
	;;#ASMSTART
	v_dot2_f32_f16 v8, v36, v28, v8
	;;#ASMEND
	;;#ASMSTART
	v_dot2_f32_f16 v8, v37, v29, v8
	;;#ASMEND
	;;#ASMSTART
	v_dot2_f32_f16 v6, v34, v30, v6
	;;#ASMEND
	;;#ASMSTART
	v_dot2_f32_f16 v6, v35, v31, v6
	;;#ASMEND
	;;#ASMSTART
	v_dot2_f32_f16 v6, v36, v32, v6
	;;#ASMEND
	;;#ASMSTART
	v_dot2_f32_f16 v6, v37, v33, v6
	;;#ASMEND
	ds_read_b128 v[16:19], v83 offset:16
	ds_read_b128 v[26:29], v82 offset:9232
	ds_read_b128 v[30:33], v82 offset:9488
	ds_read_b128 v[34:37], v83 offset:4624
	s_waitcnt lgkmcnt(2)
	;;#ASMSTART
	v_dot2_f32_f16 v2, v16, v26, v2
	;;#ASMEND
	;;#ASMSTART
	v_dot2_f32_f16 v2, v17, v27, v2
	;;#ASMEND
	;;#ASMSTART
	v_dot2_f32_f16 v2, v18, v28, v2
	;;#ASMEND
	;;#ASMSTART
	v_dot2_f32_f16 v2, v19, v29, v2
	;;#ASMEND
	s_waitcnt lgkmcnt(1)
	;;#ASMSTART
	v_dot2_f32_f16 v7, v16, v30, v7
	;;#ASMEND
	;;#ASMSTART
	v_dot2_f32_f16 v7, v17, v31, v7
	;;#ASMEND
	;;#ASMSTART
	v_dot2_f32_f16 v7, v18, v32, v7
	;;#ASMEND
	;;#ASMSTART
	v_dot2_f32_f16 v7, v19, v33, v7
	;;#ASMEND
	s_waitcnt lgkmcnt(0)
	;;#ASMSTART
	v_dot2_f32_f16 v8, v34, v26, v8
	;;#ASMEND
	;;#ASMSTART
	v_dot2_f32_f16 v8, v35, v27, v8
	;;#ASMEND
	;;#ASMSTART
	v_dot2_f32_f16 v8, v36, v28, v8
	;;#ASMEND
	;;#ASMSTART
	v_dot2_f32_f16 v8, v37, v29, v8
	;;#ASMEND
	;;#ASMSTART
	v_dot2_f32_f16 v6, v34, v30, v6
	;;#ASMEND
	;;#ASMSTART
	v_dot2_f32_f16 v6, v35, v31, v6
	;;#ASMEND
	;;#ASMSTART
	v_dot2_f32_f16 v6, v36, v32, v6
	;;#ASMEND
	;;#ASMSTART
	v_dot2_f32_f16 v6, v37, v33, v6
	;;#ASMEND
	ds_read_b128 v[16:19], v83 offset:32
	ds_read_b128 v[26:29], v82 offset:9248
	ds_read_b128 v[30:33], v82 offset:9504
	ds_read_b128 v[34:37], v83 offset:4640
	s_waitcnt lgkmcnt(2)
	;;#ASMSTART
	v_dot2_f32_f16 v2, v16, v26, v2
	;;#ASMEND
	;;#ASMSTART
	v_dot2_f32_f16 v2, v17, v27, v2
	;;#ASMEND
	;;#ASMSTART
	v_dot2_f32_f16 v2, v18, v28, v2
	;;#ASMEND
	;;#ASMSTART
	v_dot2_f32_f16 v2, v19, v29, v2
	;;#ASMEND
	s_waitcnt lgkmcnt(1)
	;;#ASMSTART
	v_dot2_f32_f16 v7, v16, v30, v7
	;;#ASMEND
	;;#ASMSTART
	v_dot2_f32_f16 v7, v17, v31, v7
	;;#ASMEND
	;;#ASMSTART
	v_dot2_f32_f16 v7, v18, v32, v7
	;;#ASMEND
	;;#ASMSTART
	v_dot2_f32_f16 v7, v19, v33, v7
	;;#ASMEND
	s_waitcnt lgkmcnt(0)
	;;#ASMSTART
	v_dot2_f32_f16 v8, v34, v26, v8
	;;#ASMEND
	;;#ASMSTART
	v_dot2_f32_f16 v8, v35, v27, v8
	;;#ASMEND
	;;#ASMSTART
	v_dot2_f32_f16 v8, v36, v28, v8
	;;#ASMEND
	;;#ASMSTART
	v_dot2_f32_f16 v8, v37, v29, v8
	;;#ASMEND
	;;#ASMSTART
	v_dot2_f32_f16 v6, v34, v30, v6
	;;#ASMEND
	;;#ASMSTART
	v_dot2_f32_f16 v6, v35, v31, v6
	;;#ASMEND
	;;#ASMSTART
	v_dot2_f32_f16 v6, v36, v32, v6
	;;#ASMEND
	;;#ASMSTART
	v_dot2_f32_f16 v6, v37, v33, v6
	;;#ASMEND
	ds_read_b128 v[16:19], v83 offset:48
	ds_read_b128 v[26:29], v82 offset:9264
	ds_read_b128 v[30:33], v82 offset:9520
	ds_read_b128 v[34:37], v83 offset:4656
	s_waitcnt lgkmcnt(2)
	;;#ASMSTART
	v_dot2_f32_f16 v2, v16, v26, v2
	;;#ASMEND
	;;#ASMSTART
	v_dot2_f32_f16 v2, v17, v27, v2
	;;#ASMEND
	;;#ASMSTART
	v_dot2_f32_f16 v2, v18, v28, v2
	;;#ASMEND
	;;#ASMSTART
	v_dot2_f32_f16 v2, v19, v29, v2
	;;#ASMEND
	s_waitcnt lgkmcnt(1)
	;;#ASMSTART
	v_dot2_f32_f16 v7, v16, v30, v7
	;;#ASMEND
	;;#ASMSTART
	v_dot2_f32_f16 v7, v17, v31, v7
	;;#ASMEND
	;;#ASMSTART
	v_dot2_f32_f16 v7, v18, v32, v7
	;;#ASMEND
	;;#ASMSTART
	v_dot2_f32_f16 v7, v19, v33, v7
	;;#ASMEND
	s_waitcnt lgkmcnt(0)
	;;#ASMSTART
	v_dot2_f32_f16 v8, v34, v26, v8
	;;#ASMEND
	;;#ASMSTART
	v_dot2_f32_f16 v8, v35, v27, v8
	;;#ASMEND
	;;#ASMSTART
	v_dot2_f32_f16 v8, v36, v28, v8
	;;#ASMEND
	;;#ASMSTART
	v_dot2_f32_f16 v8, v37, v29, v8
	;;#ASMEND
	;;#ASMSTART
	v_dot2_f32_f16 v6, v34, v30, v6
	;;#ASMEND
	;;#ASMSTART
	v_dot2_f32_f16 v6, v35, v31, v6
	;;#ASMEND
	;;#ASMSTART
	v_dot2_f32_f16 v6, v36, v32, v6
	;;#ASMEND
	;;#ASMSTART
	v_dot2_f32_f16 v6, v37, v33, v6
	;;#ASMEND
	ds_read_b128 v[16:19], v83 offset:64
	ds_read_b128 v[26:29], v82 offset:9280
	ds_read_b128 v[30:33], v82 offset:9536
	ds_read_b128 v[34:37], v83 offset:4672
	s_waitcnt lgkmcnt(2)
	;;#ASMSTART
	v_dot2_f32_f16 v2, v16, v26, v2
	;;#ASMEND
	;;#ASMSTART
	v_dot2_f32_f16 v2, v17, v27, v2
	;;#ASMEND
	;;#ASMSTART
	v_dot2_f32_f16 v2, v18, v28, v2
	;;#ASMEND
	;;#ASMSTART
	v_dot2_f32_f16 v2, v19, v29, v2
	;;#ASMEND
	s_waitcnt lgkmcnt(1)
	;;#ASMSTART
	v_dot2_f32_f16 v7, v16, v30, v7
	;;#ASMEND
	;;#ASMSTART
	v_dot2_f32_f16 v7, v17, v31, v7
	;;#ASMEND
	;;#ASMSTART
	v_dot2_f32_f16 v7, v18, v32, v7
	;;#ASMEND
	;;#ASMSTART
	v_dot2_f32_f16 v7, v19, v33, v7
	;;#ASMEND
	s_waitcnt lgkmcnt(0)
	;;#ASMSTART
	v_dot2_f32_f16 v8, v34, v26, v8
	;;#ASMEND
	;;#ASMSTART
	v_dot2_f32_f16 v8, v35, v27, v8
	;;#ASMEND
	;;#ASMSTART
	v_dot2_f32_f16 v8, v36, v28, v8
	;;#ASMEND
	;;#ASMSTART
	v_dot2_f32_f16 v8, v37, v29, v8
	;;#ASMEND
	;;#ASMSTART
	v_dot2_f32_f16 v6, v34, v30, v6
	;;#ASMEND
	;;#ASMSTART
	v_dot2_f32_f16 v6, v35, v31, v6
	;;#ASMEND
	;;#ASMSTART
	v_dot2_f32_f16 v6, v36, v32, v6
	;;#ASMEND
	;;#ASMSTART
	v_dot2_f32_f16 v6, v37, v33, v6
	;;#ASMEND
	ds_read_b128 v[16:19], v83 offset:80
	ds_read_b128 v[26:29], v82 offset:9296
	ds_read_b128 v[30:33], v82 offset:9552
	ds_read_b128 v[34:37], v83 offset:4688
	s_waitcnt lgkmcnt(2)
	;;#ASMSTART
	v_dot2_f32_f16 v2, v16, v26, v2
	;;#ASMEND
	;;#ASMSTART
	v_dot2_f32_f16 v2, v17, v27, v2
	;;#ASMEND
	;;#ASMSTART
	v_dot2_f32_f16 v2, v18, v28, v2
	;;#ASMEND
	;;#ASMSTART
	v_dot2_f32_f16 v2, v19, v29, v2
	;;#ASMEND
	s_waitcnt lgkmcnt(1)
	;;#ASMSTART
	v_dot2_f32_f16 v7, v16, v30, v7
	;;#ASMEND
	;;#ASMSTART
	v_dot2_f32_f16 v7, v17, v31, v7
	;;#ASMEND
	;;#ASMSTART
	v_dot2_f32_f16 v7, v18, v32, v7
	;;#ASMEND
	;;#ASMSTART
	v_dot2_f32_f16 v7, v19, v33, v7
	;;#ASMEND
	s_waitcnt lgkmcnt(0)
	;;#ASMSTART
	v_dot2_f32_f16 v8, v34, v26, v8
	;;#ASMEND
	;;#ASMSTART
	v_dot2_f32_f16 v8, v35, v27, v8
	;;#ASMEND
	;;#ASMSTART
	v_dot2_f32_f16 v8, v36, v28, v8
	;;#ASMEND
	;;#ASMSTART
	v_dot2_f32_f16 v8, v37, v29, v8
	;;#ASMEND
	;;#ASMSTART
	v_dot2_f32_f16 v6, v34, v30, v6
	;;#ASMEND
	;;#ASMSTART
	v_dot2_f32_f16 v6, v35, v31, v6
	;;#ASMEND
	;;#ASMSTART
	v_dot2_f32_f16 v6, v36, v32, v6
	;;#ASMEND
	;;#ASMSTART
	v_dot2_f32_f16 v6, v37, v33, v6
	;;#ASMEND
	ds_read_b128 v[16:19], v83 offset:96
	ds_read_b128 v[26:29], v82 offset:9312
	ds_read_b128 v[30:33], v82 offset:9568
	ds_read_b128 v[34:37], v83 offset:4704
	s_waitcnt lgkmcnt(2)
	;;#ASMSTART
	v_dot2_f32_f16 v2, v16, v26, v2
	;;#ASMEND
	;;#ASMSTART
	v_dot2_f32_f16 v2, v17, v27, v2
	;;#ASMEND
	;;#ASMSTART
	v_dot2_f32_f16 v2, v18, v28, v2
	;;#ASMEND
	;;#ASMSTART
	v_dot2_f32_f16 v2, v19, v29, v2
	;;#ASMEND
	s_waitcnt lgkmcnt(1)
	;;#ASMSTART
	v_dot2_f32_f16 v7, v16, v30, v7
	;;#ASMEND
	;;#ASMSTART
	v_dot2_f32_f16 v7, v17, v31, v7
	;;#ASMEND
	;;#ASMSTART
	v_dot2_f32_f16 v7, v18, v32, v7
	;;#ASMEND
	;;#ASMSTART
	v_dot2_f32_f16 v7, v19, v33, v7
	;;#ASMEND
	s_waitcnt lgkmcnt(0)
	;;#ASMSTART
	v_dot2_f32_f16 v8, v34, v26, v8
	;;#ASMEND
	;;#ASMSTART
	v_dot2_f32_f16 v8, v35, v27, v8
	;;#ASMEND
	;;#ASMSTART
	v_dot2_f32_f16 v8, v36, v28, v8
	;;#ASMEND
	;;#ASMSTART
	v_dot2_f32_f16 v8, v37, v29, v8
	;;#ASMEND
	;;#ASMSTART
	v_dot2_f32_f16 v6, v34, v30, v6
	;;#ASMEND
	;;#ASMSTART
	v_dot2_f32_f16 v6, v35, v31, v6
	;;#ASMEND
	;;#ASMSTART
	v_dot2_f32_f16 v6, v36, v32, v6
	;;#ASMEND
	;;#ASMSTART
	v_dot2_f32_f16 v6, v37, v33, v6
	;;#ASMEND
	ds_read_b128 v[16:19], v83 offset:112
	ds_read_b128 v[26:29], v82 offset:9328
	ds_read_b128 v[30:33], v82 offset:9584
	ds_read_b128 v[34:37], v83 offset:4720
	s_waitcnt lgkmcnt(2)
	;;#ASMSTART
	v_dot2_f32_f16 v2, v16, v26, v2
	;;#ASMEND
	;;#ASMSTART
	v_dot2_f32_f16 v2, v17, v27, v2
	;;#ASMEND
	;;#ASMSTART
	v_dot2_f32_f16 v2, v18, v28, v2
	;;#ASMEND
	;;#ASMSTART
	v_dot2_f32_f16 v2, v19, v29, v2
	;;#ASMEND
	s_waitcnt lgkmcnt(1)
	;;#ASMSTART
	v_dot2_f32_f16 v7, v16, v30, v7
	;;#ASMEND
	;;#ASMSTART
	v_dot2_f32_f16 v7, v17, v31, v7
	;;#ASMEND
	;;#ASMSTART
	v_dot2_f32_f16 v7, v18, v32, v7
	;;#ASMEND
	;;#ASMSTART
	v_dot2_f32_f16 v7, v19, v33, v7
	;;#ASMEND
	;; [unrolled: 13-line block ×3, first 2 shown]
	;;#ASMSTART
	v_dot2_f32_f16 v6, v34, v30, v6
	;;#ASMEND
	;;#ASMSTART
	v_dot2_f32_f16 v6, v35, v31, v6
	;;#ASMEND
	;; [unrolled: 3-line block ×4, first 2 shown]
	s_barrier
	buffer_gl0_inv
	buffer_store_dword v3, off, s[0:3], 0
	buffer_store_dword v3, off, s[0:3], 0 offset:4
	buffer_store_dword v3, off, s[0:3], 0 offset:8
	;; [unrolled: 1-line block ×3, first 2 shown]
	flat_load_dwordx4 v[16:19], v[12:13]
	v_cndmask_b32_e32 v13, s13, v9, vcc_lo
	v_cndmask_b32_e32 v12, 0, v5, vcc_lo
	buffer_store_dword v3, off, s[0:3], 0
	buffer_store_dword v3, off, s[0:3], 0 offset:4
	buffer_store_dword v3, off, s[0:3], 0 offset:8
	;; [unrolled: 1-line block ×3, first 2 shown]
	v_add_co_u32 v5, vcc_lo, 0x80, v10
	v_add_co_ci_u32_e64 v9, null, 0, v11, vcc_lo
	v_cndmask_b32_e64 v10, s13, v9, s6
	v_cndmask_b32_e64 v9, 0, v5, s6
	v_add_co_u32 v5, vcc_lo, 0x80, v14
	s_waitcnt vmcnt(0) lgkmcnt(0)
	ds_write_b128 v4, v[16:19]
	flat_load_dwordx4 v[16:19], v[12:13]
	buffer_store_dword v3, off, s[0:3], 0
	buffer_store_dword v3, off, s[0:3], 0 offset:4
	buffer_store_dword v3, off, s[0:3], 0 offset:8
	;; [unrolled: 1-line block ×3, first 2 shown]
	v_add_co_ci_u32_e64 v13, null, 0, v15, vcc_lo
	v_cndmask_b32_e64 v14, s13, v13, s8
	v_cndmask_b32_e64 v13, 0, v5, s8
	s_waitcnt vmcnt(0) lgkmcnt(0)
	ds_write_b128 v4, v[16:19] offset:2304
	flat_load_dwordx4 v[9:12], v[9:10]
	buffer_store_dword v3, off, s[0:3], 0
	buffer_store_dword v3, off, s[0:3], 0 offset:4
	buffer_store_dword v3, off, s[0:3], 0 offset:8
	;; [unrolled: 1-line block ×3, first 2 shown]
                                        ; implicit-def: $vgpr3
	s_waitcnt vmcnt(0) lgkmcnt(0)
	ds_write_b128 v4, v[9:12] offset:4608
	flat_load_dwordx4 v[9:12], v[13:14]
	s_waitcnt vmcnt(0) lgkmcnt(0)
	ds_write_b128 v4, v[9:12] offset:6912
	s_waitcnt lgkmcnt(0)
	s_waitcnt_vscnt null, 0x0
	s_barrier
	buffer_gl0_inv
	ds_read_b128 v[9:12], v83
	ds_read_b128 v[13:16], v82 offset:9344
	ds_read_b128 v[17:20], v82 offset:9600
	ds_read_b128 v[26:29], v83 offset:4608
	s_waitcnt lgkmcnt(2)
	;;#ASMSTART
	v_dot2_f32_f16 v2, v9, v13, v2
	;;#ASMEND
	;;#ASMSTART
	v_dot2_f32_f16 v2, v10, v14, v2
	;;#ASMEND
	;;#ASMSTART
	v_dot2_f32_f16 v2, v11, v15, v2
	;;#ASMEND
	;;#ASMSTART
	v_dot2_f32_f16 v2, v12, v16, v2
	;;#ASMEND
	s_waitcnt lgkmcnt(1)
	;;#ASMSTART
	v_dot2_f32_f16 v7, v9, v17, v7
	;;#ASMEND
	;;#ASMSTART
	v_dot2_f32_f16 v7, v10, v18, v7
	;;#ASMEND
	;;#ASMSTART
	v_dot2_f32_f16 v7, v11, v19, v7
	;;#ASMEND
	;;#ASMSTART
	v_dot2_f32_f16 v7, v12, v20, v7
	;;#ASMEND
	s_waitcnt lgkmcnt(0)
	;;#ASMSTART
	v_dot2_f32_f16 v8, v26, v13, v8
	;;#ASMEND
	;;#ASMSTART
	v_dot2_f32_f16 v8, v27, v14, v8
	;;#ASMEND
	;;#ASMSTART
	v_dot2_f32_f16 v8, v28, v15, v8
	;;#ASMEND
	;;#ASMSTART
	v_dot2_f32_f16 v8, v29, v16, v8
	;;#ASMEND
	;;#ASMSTART
	v_dot2_f32_f16 v6, v26, v17, v6
	;;#ASMEND
	;;#ASMSTART
	v_dot2_f32_f16 v6, v27, v18, v6
	;;#ASMEND
	;;#ASMSTART
	v_dot2_f32_f16 v6, v28, v19, v6
	;;#ASMEND
	;;#ASMSTART
	v_dot2_f32_f16 v6, v29, v20, v6
	;;#ASMEND
	ds_read_b128 v[9:12], v83 offset:16
	ds_read_b128 v[13:16], v82 offset:9360
	ds_read_b128 v[17:20], v82 offset:9616
	ds_read_b128 v[26:29], v83 offset:4624
	s_waitcnt lgkmcnt(2)
	;;#ASMSTART
	v_dot2_f32_f16 v2, v9, v13, v2
	;;#ASMEND
	;;#ASMSTART
	v_dot2_f32_f16 v2, v10, v14, v2
	;;#ASMEND
	;;#ASMSTART
	v_dot2_f32_f16 v2, v11, v15, v2
	;;#ASMEND
	;;#ASMSTART
	v_dot2_f32_f16 v2, v12, v16, v2
	;;#ASMEND
	s_waitcnt lgkmcnt(1)
	;;#ASMSTART
	v_dot2_f32_f16 v7, v9, v17, v7
	;;#ASMEND
	;;#ASMSTART
	v_dot2_f32_f16 v7, v10, v18, v7
	;;#ASMEND
	;;#ASMSTART
	v_dot2_f32_f16 v7, v11, v19, v7
	;;#ASMEND
	;;#ASMSTART
	v_dot2_f32_f16 v7, v12, v20, v7
	;;#ASMEND
	s_waitcnt lgkmcnt(0)
	;;#ASMSTART
	v_dot2_f32_f16 v8, v26, v13, v8
	;;#ASMEND
	;;#ASMSTART
	v_dot2_f32_f16 v8, v27, v14, v8
	;;#ASMEND
	;;#ASMSTART
	v_dot2_f32_f16 v8, v28, v15, v8
	;;#ASMEND
	;;#ASMSTART
	v_dot2_f32_f16 v8, v29, v16, v8
	;;#ASMEND
	;;#ASMSTART
	v_dot2_f32_f16 v6, v26, v17, v6
	;;#ASMEND
	;;#ASMSTART
	v_dot2_f32_f16 v6, v27, v18, v6
	;;#ASMEND
	;;#ASMSTART
	v_dot2_f32_f16 v6, v28, v19, v6
	;;#ASMEND
	;;#ASMSTART
	v_dot2_f32_f16 v6, v29, v20, v6
	;;#ASMEND
	ds_read_b128 v[9:12], v83 offset:32
	;; [unrolled: 55-line block ×7, first 2 shown]
	ds_read_b128 v[13:16], v82 offset:9456
	ds_read_b128 v[17:20], v82 offset:9712
	;; [unrolled: 1-line block ×3, first 2 shown]
	s_waitcnt lgkmcnt(2)
	;;#ASMSTART
	v_dot2_f32_f16 v2, v9, v13, v2
	;;#ASMEND
	;;#ASMSTART
	v_dot2_f32_f16 v2, v10, v14, v2
	;;#ASMEND
	;; [unrolled: 3-line block ×4, first 2 shown]
	s_waitcnt lgkmcnt(1)
	;;#ASMSTART
	v_dot2_f32_f16 v7, v9, v17, v7
	;;#ASMEND
	;;#ASMSTART
	v_dot2_f32_f16 v7, v10, v18, v7
	;;#ASMEND
	;; [unrolled: 3-line block ×4, first 2 shown]
	s_waitcnt lgkmcnt(0)
	;;#ASMSTART
	v_dot2_f32_f16 v8, v26, v13, v8
	;;#ASMEND
	v_cmp_ngt_f32_e64 s6, 0x3f200000, |v2|
	;;#ASMSTART
	v_dot2_f32_f16 v8, v27, v14, v8
	;;#ASMEND
	;;#ASMSTART
	v_dot2_f32_f16 v8, v28, v15, v8
	;;#ASMEND
	;;#ASMSTART
	v_dot2_f32_f16 v8, v29, v16, v8
	;;#ASMEND
	;;#ASMSTART
	v_dot2_f32_f16 v6, v26, v17, v6
	;;#ASMEND
	;;#ASMSTART
	v_dot2_f32_f16 v6, v27, v18, v6
	;;#ASMEND
	;;#ASMSTART
	v_dot2_f32_f16 v6, v28, v19, v6
	;;#ASMEND
	;;#ASMSTART
	v_dot2_f32_f16 v6, v29, v20, v6
	;;#ASMEND
	s_and_saveexec_b32 s7, s6
	s_xor_b32 s6, exec_lo, s7
	s_cbranch_execz .LBB89_43
; %bb.42:
	v_add_f32_e64 v3, |v2|, |v2|
	v_mul_f32_e32 v4, 0x3fb8aa3b, v3
	v_cmp_ngt_f32_e32 vcc_lo, 0xc2ce8ed0, v3
	v_rndne_f32_e32 v5, v4
	v_fma_f32 v9, 0x3fb8aa3b, v3, -v4
	v_sub_f32_e32 v4, v4, v5
	v_fmamk_f32 v9, v3, 0x32a5705f, v9
	v_cvt_i32_f32_e32 v5, v5
	v_add_f32_e32 v4, v4, v9
	v_exp_f32_e32 v4, v4
	v_ldexp_f32 v4, v4, v5
	v_cndmask_b32_e32 v4, 0, v4, vcc_lo
	v_cmp_nlt_f32_e32 vcc_lo, 0x42b17218, v3
	v_cndmask_b32_e32 v3, 0x7f800000, v4, vcc_lo
	v_add_f32_e32 v3, 1.0, v3
	v_rcp_f32_e32 v3, v3
	v_fma_f32 v3, v3, -2.0, 1.0
.LBB89_43:
	s_andn2_saveexec_b32 s6, s6
	s_cbranch_execz .LBB89_45
; %bb.44:
	v_mul_f32_e32 v3, v2, v2
	s_mov_b32 s7, 0xbbbac73d
	v_fmaak_f32 v4, s7, v3, 0x3ca908c9
	v_fmaak_f32 v4, v3, v4, 0xbd5c1c4e
	;; [unrolled: 1-line block ×4, first 2 shown]
	v_mul_f32_e64 v4, |v2|, v4
	v_fma_f32 v3, v3, v4, |v2|
.LBB89_45:
	s_or_b32 exec_lo, exec_lo, s6
	v_bfi_b32 v2, 0x7fffffff, v3, v2
	s_cmp_lg_u64 s[46:47], 0
	v_mad_u64_u32 v[4:5], null, v81, s23, s[10:11]
	s_cselect_b32 s8, -1, 0
	v_mul_f32_e32 v9, s19, v2
	v_mov_b32_e32 v2, v50
	v_cmp_gt_i32_e64 s6, s16, v0
	v_cndmask_b32_e64 v17, 0, 1, s8
	v_mov_b32_e32 v3, v51
	s_and_saveexec_b32 s7, s6
	s_cbranch_execz .LBB89_50
; %bb.46:
	s_andn2_b32 vcc_lo, exec_lo, s8
	s_cbranch_vccnz .LBB89_48
; %bb.47:
	v_add_nc_u32_e32 v2, v4, v0
	v_ashrrev_i32_e32 v3, 31, v2
	v_lshlrev_b64 v[2:3], 1, v[2:3]
	v_add_co_u32 v2, vcc_lo, s46, v2
	v_add_co_ci_u32_e64 v3, null, s47, v3, vcc_lo
	global_load_ushort v2, v[2:3], off
	s_waitcnt vmcnt(0)
	v_cvt_f32_f16_e32 v2, v2
	v_mul_f32_e32 v2, v79, v2
	s_branch .LBB89_49
.LBB89_48:
	v_mov_b32_e32 v2, 0
.LBB89_49:
	v_add_f32_e32 v9, v9, v2
	v_max_f32_e32 v2, v50, v50
	v_add_f32_e32 v3, 0x40051340, v9
	v_max_f32_e32 v2, v2, v3
	v_mov_b32_e32 v3, v51
.LBB89_50:
	s_or_b32 exec_lo, exec_lo, s7
	v_cmp_ngt_f32_e64 s7, 0x3f200000, |v8|
                                        ; implicit-def: $vgpr5
	s_and_saveexec_b32 s8, s7
	s_xor_b32 s7, exec_lo, s8
	s_cbranch_execz .LBB89_52
; %bb.51:
	v_add_f32_e64 v5, |v8|, |v8|
	v_mul_f32_e32 v10, 0x3fb8aa3b, v5
	v_cmp_ngt_f32_e32 vcc_lo, 0xc2ce8ed0, v5
	v_rndne_f32_e32 v11, v10
	v_fma_f32 v12, 0x3fb8aa3b, v5, -v10
	v_sub_f32_e32 v10, v10, v11
	v_fmamk_f32 v12, v5, 0x32a5705f, v12
	v_cvt_i32_f32_e32 v11, v11
	v_add_f32_e32 v10, v10, v12
	v_exp_f32_e32 v10, v10
	v_ldexp_f32 v10, v10, v11
	v_cndmask_b32_e32 v10, 0, v10, vcc_lo
	v_cmp_nlt_f32_e32 vcc_lo, 0x42b17218, v5
	v_cndmask_b32_e32 v5, 0x7f800000, v10, vcc_lo
	v_add_f32_e32 v5, 1.0, v5
	v_rcp_f32_e32 v5, v5
	v_fma_f32 v5, v5, -2.0, 1.0
.LBB89_52:
	s_andn2_saveexec_b32 s7, s7
	s_cbranch_execz .LBB89_54
; %bb.53:
	v_mul_f32_e32 v5, v8, v8
	s_mov_b32 s8, 0xbbbac73d
	v_fmaak_f32 v10, s8, v5, 0x3ca908c9
	v_fmaak_f32 v10, v5, v10, 0xbd5c1c4e
	;; [unrolled: 1-line block ×4, first 2 shown]
	v_mul_f32_e64 v10, |v8|, v10
	v_fma_f32 v5, v5, v10, |v8|
.LBB89_54:
	s_or_b32 exec_lo, exec_lo, s7
	v_bfi_b32 v5, 0x7fffffff, v5, v8
	v_add_nc_u32_e32 v10, 32, v0
	v_mul_f32_e32 v8, s19, v5
	v_cmp_gt_i32_e64 s7, s16, v10
	s_and_saveexec_b32 s8, s7
	s_cbranch_execz .LBB89_59
; %bb.55:
	v_cmp_ne_u32_e32 vcc_lo, 1, v17
	s_cbranch_vccnz .LBB89_57
; %bb.56:
	v_ashrrev_i32_e32 v5, 31, v4
	v_add_co_u32 v4, vcc_lo, v4, v0
	v_add_co_ci_u32_e64 v5, null, 0, v5, vcc_lo
	v_lshlrev_b64 v[4:5], 1, v[4:5]
	v_add_co_u32 v4, vcc_lo, s46, v4
	v_add_co_ci_u32_e64 v5, null, s47, v5, vcc_lo
	global_load_ushort v4, v[4:5], off offset:64
	s_waitcnt vmcnt(0)
	v_cvt_f32_f16_e32 v4, v4
	v_mul_f32_e32 v4, v79, v4
	s_branch .LBB89_58
.LBB89_57:
	v_mov_b32_e32 v4, 0
.LBB89_58:
	v_add_f32_e32 v8, v8, v4
	v_max_f32_e32 v2, v2, v2
	v_add_f32_e32 v4, 0x40051340, v8
	v_max_f32_e32 v2, v2, v4
.LBB89_59:
	s_or_b32 exec_lo, exec_lo, s8
	v_xor_b32_e32 v12, 16, v73
	v_xor_b32_e32 v11, 8, v73
	;; [unrolled: 1-line block ×5, first 2 shown]
	v_cmp_gt_i32_e32 vcc_lo, 32, v12
	v_mov_b32_e32 v14, 32
	v_cmp_ngt_f32_e64 s8, 0x3f200000, |v7|
	v_cndmask_b32_e32 v4, v73, v12, vcc_lo
	v_cmp_gt_i32_e32 vcc_lo, 32, v11
	v_lshlrev_b32_e32 v18, 2, v4
	v_cndmask_b32_e32 v5, v73, v11, vcc_lo
	v_cmp_gt_i32_e32 vcc_lo, 32, v13
	ds_bpermute_b32 v4, v18, v2
	v_max_f32_e32 v2, v2, v2
	v_lshlrev_b32_e32 v19, 2, v5
	v_cndmask_b32_e32 v5, v73, v13, vcc_lo
	v_cmp_gt_i32_e32 vcc_lo, 32, v15
	v_lshlrev_b32_e32 v20, 2, v5
	v_cndmask_b32_e32 v5, v73, v15, vcc_lo
	v_cmp_gt_i32_e32 vcc_lo, 32, v16
	v_lshlrev_b32_e32 v21, 2, v5
	v_cndmask_b32_e32 v5, v73, v16, vcc_lo
	v_lshlrev_b32_e32 v26, 2, v5
	s_waitcnt lgkmcnt(0)
	v_max_f32_e32 v4, v4, v4
                                        ; implicit-def: $vgpr5
	v_max_f32_e32 v2, v2, v4
	ds_bpermute_b32 v4, v19, v2
	s_waitcnt lgkmcnt(0)
	v_max_f32_e32 v4, v4, v4
	v_max_f32_e32 v2, v2, v4
	ds_bpermute_b32 v4, v20, v2
	s_waitcnt lgkmcnt(0)
	v_max_f32_e32 v4, v4, v4
	v_max_f32_e32 v2, v2, v4
	ds_bpermute_b32 v4, v21, v2
	s_waitcnt lgkmcnt(0)
	v_max_f32_e32 v4, v4, v4
	v_max_f32_e32 v2, v2, v4
	ds_bpermute_b32 v4, v26, v2
	s_and_saveexec_b32 s9, s8
	s_xor_b32 s8, exec_lo, s9
	s_cbranch_execz .LBB89_61
; %bb.60:
	v_add_f32_e64 v5, |v7|, |v7|
	v_mul_f32_e32 v27, 0x3fb8aa3b, v5
	v_cmp_ngt_f32_e32 vcc_lo, 0xc2ce8ed0, v5
	v_rndne_f32_e32 v28, v27
	v_fma_f32 v29, 0x3fb8aa3b, v5, -v27
	v_sub_f32_e32 v27, v27, v28
	v_fmamk_f32 v29, v5, 0x32a5705f, v29
	v_cvt_i32_f32_e32 v28, v28
	v_add_f32_e32 v27, v27, v29
	v_exp_f32_e32 v27, v27
	v_ldexp_f32 v27, v27, v28
	v_cndmask_b32_e32 v27, 0, v27, vcc_lo
	v_cmp_nlt_f32_e32 vcc_lo, 0x42b17218, v5
	v_cndmask_b32_e32 v5, 0x7f800000, v27, vcc_lo
	v_add_f32_e32 v5, 1.0, v5
	v_rcp_f32_e32 v5, v5
	v_fma_f32 v5, v5, -2.0, 1.0
.LBB89_61:
	s_andn2_saveexec_b32 s8, s8
	s_cbranch_execz .LBB89_63
; %bb.62:
	v_mul_f32_e32 v5, v7, v7
	s_mov_b32 s9, 0xbbbac73d
	v_fmaak_f32 v27, s9, v5, 0x3ca908c9
	v_fmaak_f32 v27, v5, v27, 0xbd5c1c4e
	;; [unrolled: 1-line block ×4, first 2 shown]
	v_mul_f32_e64 v27, |v7|, v27
	v_fma_f32 v5, v5, v27, |v7|
.LBB89_63:
	s_or_b32 exec_lo, exec_lo, s8
	v_mul_hi_u32 v27, s28, v40
	s_waitcnt lgkmcnt(0)
	v_max_f32_e32 v28, v4, v4
	v_max_f32_e32 v2, v2, v2
	v_bfi_b32 v7, 0x7fffffff, v5, v7
	v_mul_f32_e32 v7, s19, v7
	v_add_nc_u32_e32 v27, v40, v27
	v_lshrrev_b32_e32 v27, s29, v27
	v_mul_lo_u32 v27, v27, s30
	v_sub_nc_u32_e32 v27, v40, v27
	v_mad_u64_u32 v[4:5], null, v27, s23, s[10:11]
	v_max_f32_e32 v5, v2, v28
	s_and_saveexec_b32 s8, s6
	s_cbranch_execz .LBB89_68
; %bb.64:
	v_cmp_ne_u32_e32 vcc_lo, 1, v17
	s_cbranch_vccnz .LBB89_66
; %bb.65:
	v_add_nc_u32_e32 v27, v4, v0
	v_ashrrev_i32_e32 v28, 31, v27
	v_lshlrev_b64 v[27:28], 1, v[27:28]
	v_add_co_u32 v27, vcc_lo, s46, v27
	v_add_co_ci_u32_e64 v28, null, s47, v28, vcc_lo
	global_load_ushort v2, v[27:28], off
	s_waitcnt vmcnt(0)
	v_cvt_f32_f16_e32 v2, v2
	v_mul_f32_e32 v2, v79, v2
	s_branch .LBB89_67
.LBB89_66:
	v_mov_b32_e32 v2, 0
.LBB89_67:
	v_add_f32_e32 v7, v7, v2
	v_max_f32_e32 v3, v3, v3
	v_add_f32_e32 v2, 0x40051340, v7
	v_max_f32_e32 v3, v3, v2
.LBB89_68:
	s_or_b32 exec_lo, exec_lo, s8
	v_cmp_ngt_f32_e64 s6, 0x3f200000, |v6|
                                        ; implicit-def: $vgpr2
	s_and_saveexec_b32 s8, s6
	s_xor_b32 s6, exec_lo, s8
	s_cbranch_execz .LBB89_70
; %bb.69:
	v_add_f32_e64 v2, |v6|, |v6|
	v_mul_f32_e32 v27, 0x3fb8aa3b, v2
	v_cmp_ngt_f32_e32 vcc_lo, 0xc2ce8ed0, v2
	v_rndne_f32_e32 v28, v27
	v_fma_f32 v29, 0x3fb8aa3b, v2, -v27
	v_sub_f32_e32 v27, v27, v28
	v_fmamk_f32 v29, v2, 0x32a5705f, v29
	v_cvt_i32_f32_e32 v28, v28
	v_add_f32_e32 v27, v27, v29
	v_exp_f32_e32 v27, v27
	v_ldexp_f32 v27, v27, v28
	v_cndmask_b32_e32 v27, 0, v27, vcc_lo
	v_cmp_nlt_f32_e32 vcc_lo, 0x42b17218, v2
	v_cndmask_b32_e32 v2, 0x7f800000, v27, vcc_lo
	v_add_f32_e32 v2, 1.0, v2
	v_rcp_f32_e32 v2, v2
	v_fma_f32 v2, v2, -2.0, 1.0
.LBB89_70:
	s_andn2_saveexec_b32 s6, s6
	s_cbranch_execz .LBB89_72
; %bb.71:
	v_mul_f32_e32 v2, v6, v6
	s_mov_b32 s8, 0xbbbac73d
	v_fmaak_f32 v27, s8, v2, 0x3ca908c9
	v_fmaak_f32 v27, v2, v27, 0xbd5c1c4e
	;; [unrolled: 1-line block ×4, first 2 shown]
	v_mul_f32_e64 v27, |v6|, v27
	v_fma_f32 v2, v2, v27, |v6|
.LBB89_72:
	s_or_b32 exec_lo, exec_lo, s6
	v_bfi_b32 v2, 0x7fffffff, v2, v6
	v_mul_f32_e32 v2, s19, v2
	s_and_saveexec_b32 s6, s7
	s_cbranch_execz .LBB89_77
; %bb.73:
	v_cmp_ne_u32_e32 vcc_lo, 1, v17
	s_cbranch_vccnz .LBB89_75
; %bb.74:
	v_ashrrev_i32_e32 v6, 31, v4
	v_add_co_u32 v27, vcc_lo, v4, v0
	v_add_co_ci_u32_e64 v28, null, 0, v6, vcc_lo
	v_lshlrev_b64 v[27:28], 1, v[27:28]
	v_add_co_u32 v27, vcc_lo, s46, v27
	v_add_co_ci_u32_e64 v28, null, s47, v28, vcc_lo
	global_load_ushort v4, v[27:28], off offset:64
	s_waitcnt vmcnt(0)
	v_cvt_f32_f16_e32 v4, v4
	v_mul_f32_e32 v4, v79, v4
	s_branch .LBB89_76
.LBB89_75:
	v_mov_b32_e32 v4, 0
.LBB89_76:
	v_add_f32_e32 v2, v2, v4
	v_max_f32_e32 v3, v3, v3
	v_add_f32_e32 v4, 0x40051340, v2
	v_max_f32_e32 v3, v3, v4
.LBB89_77:
	s_or_b32 exec_lo, exec_lo, s6
	ds_bpermute_b32 v4, v18, v3
	v_max_f32_e32 v3, v3, v3
	s_waitcnt lgkmcnt(0)
	s_barrier
	buffer_gl0_inv
	v_add_nc_u32_e32 v29, v39, v85
	s_mov_b64 s[12:13], src_private_base
	s_lshl_b32 s12, s22, 3
	v_lshlrev_b32_e32 v28, 2, v38
	v_mov_b32_e32 v30, 0
	v_add_nc_u32_e32 v31, 8, v29
	v_add_nc_u32_e32 v33, 16, v29
	v_lshl_or_b32 v32, v29, 8, v28
	v_lshl_or_b32 v34, v31, 8, v28
	v_max_f32_e32 v4, v4, v4
	v_max_f32_e32 v3, v3, v4
	ds_bpermute_b32 v4, v19, v3
	v_lshlrev_b32_e32 v19, 8, v1
	v_add_nc_u32_e32 v1, 0x2c00, v19
	s_waitcnt lgkmcnt(0)
	v_max_f32_e32 v4, v4, v4
	v_max_f32_e32 v3, v3, v4
	ds_bpermute_b32 v4, v20, v3
	s_waitcnt lgkmcnt(0)
	v_max_f32_e32 v4, v4, v4
	v_max_f32_e32 v3, v3, v4
	ds_bpermute_b32 v4, v21, v3
	;; [unrolled: 4-line block ×3, first 2 shown]
	s_waitcnt lgkmcnt(0)
	v_max_f32_e32 v4, v4, v4
	v_max_f32_e32 v6, v3, v4
	v_sub_f32_e32 v3, v9, v5
	v_sub_f32_e32 v7, v7, v6
	v_mul_f32_e32 v4, 0x3fb8aa3b, v3
	v_cmp_ngt_f32_e32 vcc_lo, 0xc2ce8ed0, v3
	v_cmp_nlt_f32_e64 s6, 0x42b17218, v3
	v_sub_f32_e32 v2, v2, v6
	v_cmp_ngt_f32_e64 s7, 0xc2ce8ed0, v7
	v_fma_f32 v9, 0x3fb8aa3b, v3, -v4
	v_cmp_nlt_f32_e64 s8, 0x42b17218, v7
	v_sub_f32_e32 v46, v51, v6
	v_cmp_nlt_f32_e64 s9, 0x42b17218, v2
	v_fmac_f32_e32 v9, 0x32a5705f, v3
	v_rndne_f32_e32 v3, v4
	v_sub_f32_e32 v4, v4, v3
	v_cvt_i32_f32_e32 v3, v3
	v_add_f32_e32 v4, v4, v9
	v_mul_f32_e32 v9, 0x3fb8aa3b, v7
	v_exp_f32_e32 v4, v4
	v_fma_f32 v17, 0x3fb8aa3b, v7, -v9
	v_rndne_f32_e32 v18, v9
	v_fmac_f32_e32 v17, 0x32a5705f, v7
	v_sub_f32_e32 v9, v9, v18
	v_ldexp_f32 v3, v4, v3
	v_add_f32_e32 v9, v9, v17
	v_cndmask_b32_e32 v3, 0, v3, vcc_lo
	v_cmp_gt_u32_e32 vcc_lo, s16, v0
	v_exp_f32_e32 v4, v9
	v_cvt_i32_f32_e32 v9, v18
	v_cndmask_b32_e64 v3, 0x7f800000, v3, s6
	v_cndmask_b32_e32 v18, 0, v3, vcc_lo
	v_ldexp_f32 v4, v4, v9
	v_cvt_f16_f32_e32 v3, v18
	v_cndmask_b32_e64 v4, 0, v4, s7
	v_cndmask_b32_e64 v4, 0x7f800000, v4, s8
	v_cmp_ngt_f32_e64 s8, 0xc2ce8ed0, v2
	v_cndmask_b32_e32 v17, 0, v4, vcc_lo
	v_cmp_gt_u32_e32 vcc_lo, s16, v10
	v_cvt_f16_f32_e32 v4, v17
	v_pack_b32_f16 v3, v3, v4
	v_add_nc_u32_e32 v4, v1, v72
	v_lshl_add_u32 v1, v10, 2, v1
	ds_write_b32 v4, v3
	v_sub_f32_e32 v3, v8, v5
	v_mul_f32_e32 v4, 0x3fb8aa3b, v3
	v_cmp_ngt_f32_e64 s6, 0xc2ce8ed0, v3
	v_cmp_nlt_f32_e64 s7, 0x42b17218, v3
	v_fma_f32 v7, 0x3fb8aa3b, v3, -v4
	v_fmac_f32_e32 v7, 0x32a5705f, v3
	v_rndne_f32_e32 v3, v4
	v_sub_f32_e32 v4, v4, v3
	v_cvt_i32_f32_e32 v3, v3
	v_add_f32_e32 v4, v4, v7
	v_mul_f32_e32 v7, 0x3fb8aa3b, v2
	v_exp_f32_e32 v4, v4
	v_fma_f32 v8, 0x3fb8aa3b, v2, -v7
	v_rndne_f32_e32 v9, v7
	v_fmac_f32_e32 v8, 0x32a5705f, v2
	v_sub_f32_e32 v7, v7, v9
	v_ldexp_f32 v3, v4, v3
	v_add_f32_e32 v7, v7, v8
	v_cndmask_b32_e64 v2, 0, v3, s6
	s_mul_i32 s6, s10, s22
	v_exp_f32_e32 v4, v7
	v_cvt_i32_f32_e32 v7, v9
	v_mul_lo_u32 v9, s22, v29
	v_cndmask_b32_e64 v2, 0x7f800000, v2, s7
	s_mul_hi_i32 s7, s10, s22
	s_lshl_b64 s[6:7], s[6:7], 2
	v_cndmask_b32_e32 v21, 0, v2, vcc_lo
	v_ldexp_f32 v4, v4, v7
	v_ashrrev_i32_e32 v10, 31, v9
	v_cvt_f16_f32_e32 v2, v21
	v_add_f32_e32 v18, v18, v21
	v_cndmask_b32_e64 v3, 0, v4, s8
	v_lshlrev_b64 v[7:8], 2, v[9:10]
	v_cndmask_b32_e64 v3, 0x7f800000, v3, s9
	s_add_u32 s9, s14, s6
	s_addc_u32 s8, s11, s7
	v_cndmask_b32_e32 v20, 0, v3, vcc_lo
	v_cmp_gt_i32_e32 vcc_lo, s16, v29
	v_cvt_f16_f32_e32 v3, v20
	v_add_f32_e32 v17, v17, v20
	v_pack_b32_f16 v2, v2, v3
	ds_write_b32 v1, v2
	v_add_co_u32 v1, s6, s9, v7
	v_add_co_ci_u32_e64 v2, null, s8, v8, s6
	buffer_store_dword v30, off, s[0:3], 0
	buffer_store_dword v30, off, s[0:3], 0 offset:4
	buffer_store_dword v30, off, s[0:3], 0 offset:8
	;; [unrolled: 1-line block ×3, first 2 shown]
	v_add_co_u32 v1, s7, v1, v28
	v_add_co_ci_u32_e64 v2, null, 0, v2, s7
	v_cndmask_b32_e32 v1, 0, v1, vcc_lo
	v_cndmask_b32_e32 v2, s13, v2, vcc_lo
	v_cmp_gt_i32_e32 vcc_lo, s16, v31
	flat_load_dwordx4 v[1:4], v[1:2]
	s_waitcnt vmcnt(0) lgkmcnt(0)
	ds_write_b128 v32, v[1:4]
	v_add_nc_u32_e32 v3, s12, v9
	buffer_store_dword v30, off, s[0:3], 0
	buffer_store_dword v30, off, s[0:3], 0 offset:4
	buffer_store_dword v30, off, s[0:3], 0 offset:8
	;; [unrolled: 1-line block ×3, first 2 shown]
	v_ashrrev_i32_e32 v4, 31, v3
	v_lshlrev_b64 v[1:2], 2, v[3:4]
	v_add_nc_u32_e32 v3, s12, v3
	v_add_co_u32 v4, s6, s9, v1
	v_add_co_ci_u32_e64 v9, null, s8, v2, s6
	v_add_co_u32 v4, s7, v4, v28
	v_add_co_ci_u32_e64 v10, null, 0, v9, s7
	v_cndmask_b32_e32 v9, 0, v4, vcc_lo
	v_ashrrev_i32_e32 v4, 31, v3
	v_cndmask_b32_e32 v10, s13, v10, vcc_lo
	v_cmp_gt_i32_e32 vcc_lo, s16, v33
	flat_load_dwordx4 v[35:38], v[9:10]
	v_lshlrev_b64 v[9:10], 2, v[3:4]
	v_add_nc_u32_e32 v3, s12, v3
	v_add_co_u32 v4, s6, s9, v9
	v_add_co_ci_u32_e64 v26, null, s8, v10, s6
	v_add_co_u32 v4, s7, v4, v28
	v_add_co_ci_u32_e64 v27, null, 0, v26, s7
	v_cndmask_b32_e32 v26, 0, v4, vcc_lo
	v_ashrrev_i32_e32 v4, 31, v3
	v_cndmask_b32_e32 v27, s13, v27, vcc_lo
	v_lshlrev_b64 v[3:4], 2, v[3:4]
	s_waitcnt vmcnt(0) lgkmcnt(0)
	ds_write_b128 v34, v[35:38]
	buffer_store_dword v30, off, s[0:3], 0
	buffer_store_dword v30, off, s[0:3], 0 offset:4
	buffer_store_dword v30, off, s[0:3], 0 offset:8
	buffer_store_dword v30, off, s[0:3], 0 offset:12
	flat_load_dwordx4 v[38:41], v[26:27]
	v_add_co_u32 v26, s6, s9, v3
	v_add_nc_u32_e32 v35, 24, v29
	v_add_co_ci_u32_e64 v27, null, s8, v4, s6
	v_add_co_u32 v26, s7, v26, v28
	v_cmp_gt_i32_e32 vcc_lo, s16, v35
	v_add_co_ci_u32_e64 v27, null, 0, v27, s7
	v_lshl_or_b32 v37, v33, 8, v28
	v_lshl_or_b32 v36, v35, 8, v28
	v_cndmask_b32_e32 v26, 0, v26, vcc_lo
	v_cndmask_b32_e32 v27, s13, v27, vcc_lo
	s_waitcnt vmcnt(0) lgkmcnt(0)
	ds_write_b128 v37, v[38:41]
	buffer_store_dword v30, off, s[0:3], 0
	buffer_store_dword v30, off, s[0:3], 0 offset:4
	buffer_store_dword v30, off, s[0:3], 0 offset:8
	;; [unrolled: 1-line block ×3, first 2 shown]
	flat_load_dwordx4 v[38:41], v[26:27]
	v_sub_f32_e32 v26, v50, v5
	v_mul_f32_e32 v27, 0x3fb8aa3b, v26
	v_cmp_ngt_f32_e32 vcc_lo, 0xc2ce8ed0, v26
	v_cmp_nlt_f32_e64 s6, 0x42b17218, v26
	s_waitcnt vmcnt(0) lgkmcnt(0)
	ds_write_b128 v36, v[38:41]
	v_fma_f32 v38, 0x3fb8aa3b, v26, -v27
	v_rndne_f32_e32 v39, v27
	s_waitcnt lgkmcnt(0)
	s_waitcnt_vscnt null, 0x0
	s_barrier
	buffer_gl0_inv
	v_fmac_f32_e32 v38, 0x32a5705f, v26
	v_sub_f32_e32 v27, v27, v39
	ds_read2_b64 v[42:45], v74 offset1:32
	v_add_f32_e32 v27, v27, v38
	v_exp_f32_e32 v26, v27
	v_cvt_i32_f32_e32 v27, v39
	v_ldexp_f32 v26, v26, v27
	v_mul_f32_e32 v27, 0x3fb8aa3b, v46
	v_cndmask_b32_e32 v26, 0, v26, vcc_lo
	v_fma_f32 v38, 0x3fb8aa3b, v46, -v27
	v_rndne_f32_e32 v47, v27
	v_cmp_ngt_f32_e32 vcc_lo, 0xc2ce8ed0, v46
	v_cndmask_b32_e64 v26, 0x7f800000, v26, s6
	v_fmac_f32_e32 v38, 0x32a5705f, v46
	v_sub_f32_e32 v27, v27, v47
	v_cvt_i32_f32_e32 v47, v47
	v_cmp_nlt_f32_e64 s6, 0x42b17218, v46
	v_fmac_f32_e32 v18, v76, v26
	v_add_f32_e32 v48, v27, v38
	v_mov_b32_e32 v27, 0x10001
	v_cvt_f16_f32_e32 v38, v26
	v_mov_b32_e32 v76, v18
	v_mul_u32_u24_sdwa v49, v38, v27 dst_sel:DWORD dst_unused:UNUSED_PAD src0_sel:WORD_0 src1_sel:DWORD
	ds_read_b128 v[38:41], v19 offset:11264
	v_pk_mul_f16 v25, v25, v49
	s_waitcnt lgkmcnt(0)
	v_mul_u32_u24_sdwa v50, v38, v27 dst_sel:DWORD dst_unused:UNUSED_PAD src0_sel:WORD_0 src1_sel:DWORD
	v_mul_u32_u24_sdwa v38, v38, v27 dst_sel:DWORD dst_unused:UNUSED_PAD src0_sel:WORD_1 src1_sel:DWORD
	v_pk_mul_f16 v51, v42, v50
	v_pk_mul_f16 v42, v42, v38
	v_pk_fma_f16 v25, v43, v50, v25
	v_pk_fma_f16 v51, v23, v49, v51
	v_exp_f32_e32 v23, v48
	v_ldexp_f32 v23, v23, v47
	v_cndmask_b32_e32 v23, 0, v23, vcc_lo
	v_cndmask_b32_e64 v23, 0x7f800000, v23, s6
	s_or_b32 s6, s10, 32
	s_mul_hi_i32 s7, s6, s22
	s_mul_i32 s6, s6, s22
	v_cvt_f16_f32_e32 v46, v23
	s_lshl_b64 s[6:7], s[6:7], 2
	v_fmac_f32_e32 v17, v75, v23
	s_add_u32 s8, s14, s6
	s_addc_u32 s7, s11, s7
	v_mul_u32_u24_sdwa v46, v46, v27 dst_sel:DWORD dst_unused:UNUSED_PAD src0_sel:WORD_0 src1_sel:DWORD
	v_add_co_u32 v7, vcc_lo, s8, v7
	v_add_co_ci_u32_e64 v8, null, s7, v8, vcc_lo
	v_pk_mul_f16 v24, v24, v46
	v_pk_fma_f16 v22, v22, v46, v42
	v_mul_u32_u24_sdwa v46, v41, v27 dst_sel:DWORD dst_unused:UNUSED_PAD src0_sel:WORD_1 src1_sel:DWORD
	s_sub_i32 s9, s16, 32
	v_add_co_u32 v7, s6, v7, v28
	v_pk_fma_f16 v24, v43, v38, v24
	v_mul_u32_u24_sdwa v38, v39, v27 dst_sel:DWORD dst_unused:UNUSED_PAD src0_sel:WORD_0 src1_sel:DWORD
	v_mul_u32_u24_sdwa v43, v40, v27 dst_sel:DWORD dst_unused:UNUSED_PAD src0_sel:WORD_0 src1_sel:DWORD
	v_cmp_gt_i32_e32 vcc_lo, s9, v29
	v_add_co_ci_u32_e64 v8, null, 0, v8, s6
	v_pk_fma_f16 v25, v45, v38, v25
	v_pk_fma_f16 v42, v44, v38, v51
	v_mul_u32_u24_sdwa v38, v39, v27 dst_sel:DWORD dst_unused:UNUSED_PAD src0_sel:WORD_1 src1_sel:DWORD
	v_cndmask_b32_e32 v7, 0, v7, vcc_lo
	v_cndmask_b32_e32 v8, s13, v8, vcc_lo
	v_add_co_u32 v1, vcc_lo, s8, v1
	v_pk_fma_f16 v24, v45, v38, v24
	v_pk_fma_f16 v22, v44, v38, v22
	v_mul_u32_u24_sdwa v44, v40, v27 dst_sel:DWORD dst_unused:UNUSED_PAD src0_sel:WORD_1 src1_sel:DWORD
	v_mul_u32_u24_sdwa v45, v41, v27 dst_sel:DWORD dst_unused:UNUSED_PAD src0_sel:WORD_0 src1_sel:DWORD
	ds_read2_b64 v[38:41], v74 offset0:64 offset1:96
	v_add_co_ci_u32_e64 v2, null, s7, v2, vcc_lo
	v_add_co_u32 v1, s6, v1, v28
	v_cmp_gt_i32_e32 vcc_lo, s9, v31
	v_add_co_ci_u32_e64 v2, null, 0, v2, s6
	v_mov_b32_e32 v75, v17
	v_cndmask_b32_e32 v1, 0, v1, vcc_lo
	v_cndmask_b32_e32 v2, s13, v2, vcc_lo
	s_waitcnt lgkmcnt(0)
	v_pk_fma_f16 v25, v39, v43, v25
	v_pk_fma_f16 v42, v38, v43, v42
	;; [unrolled: 1-line block ×8, first 2 shown]
	ds_read_b128 v[38:41], v19 offset:11280
	ds_read2_b64 v[42:45], v74 offset0:128 offset1:160
	s_waitcnt lgkmcnt(1)
	v_mul_u32_u24_sdwa v46, v38, v27 dst_sel:DWORD dst_unused:UNUSED_PAD src0_sel:WORD_0 src1_sel:DWORD
	v_mul_u32_u24_sdwa v38, v38, v27 dst_sel:DWORD dst_unused:UNUSED_PAD src0_sel:WORD_1 src1_sel:DWORD
	s_waitcnt lgkmcnt(0)
	v_pk_fma_f16 v25, v43, v46, v25
	v_pk_fma_f16 v46, v42, v46, v47
	;; [unrolled: 1-line block ×4, first 2 shown]
	v_mul_u32_u24_sdwa v38, v39, v27 dst_sel:DWORD dst_unused:UNUSED_PAD src0_sel:WORD_0 src1_sel:DWORD
	v_mul_u32_u24_sdwa v43, v40, v27 dst_sel:DWORD dst_unused:UNUSED_PAD src0_sel:WORD_0 src1_sel:DWORD
	v_pk_fma_f16 v25, v45, v38, v25
	v_pk_fma_f16 v42, v44, v38, v46
	v_mul_u32_u24_sdwa v38, v39, v27 dst_sel:DWORD dst_unused:UNUSED_PAD src0_sel:WORD_1 src1_sel:DWORD
	v_mul_u32_u24_sdwa v46, v41, v27 dst_sel:DWORD dst_unused:UNUSED_PAD src0_sel:WORD_1 src1_sel:DWORD
	v_pk_fma_f16 v24, v45, v38, v24
	v_pk_fma_f16 v22, v44, v38, v22
	v_mul_u32_u24_sdwa v44, v40, v27 dst_sel:DWORD dst_unused:UNUSED_PAD src0_sel:WORD_1 src1_sel:DWORD
	v_mul_u32_u24_sdwa v45, v41, v27 dst_sel:DWORD dst_unused:UNUSED_PAD src0_sel:WORD_0 src1_sel:DWORD
	ds_read2_b64 v[38:41], v74 offset0:192 offset1:224
	s_waitcnt lgkmcnt(0)
	v_pk_fma_f16 v25, v39, v43, v25
	v_pk_fma_f16 v42, v38, v43, v42
	;; [unrolled: 1-line block ×8, first 2 shown]
	v_add_nc_u32_e32 v22, 0x800, v74
	ds_read_b128 v[38:41], v19 offset:11296
	ds_read2_b64 v[42:45], v22 offset1:32
	s_waitcnt lgkmcnt(1)
	v_mul_u32_u24_sdwa v48, v38, v27 dst_sel:DWORD dst_unused:UNUSED_PAD src0_sel:WORD_0 src1_sel:DWORD
	v_mul_u32_u24_sdwa v38, v38, v27 dst_sel:DWORD dst_unused:UNUSED_PAD src0_sel:WORD_1 src1_sel:DWORD
	s_waitcnt lgkmcnt(0)
	v_pk_fma_f16 v25, v43, v48, v25
	v_pk_fma_f16 v47, v42, v48, v47
	;; [unrolled: 1-line block ×4, first 2 shown]
	v_mul_u32_u24_sdwa v42, v39, v27 dst_sel:DWORD dst_unused:UNUSED_PAD src0_sel:WORD_0 src1_sel:DWORD
	v_mul_u32_u24_sdwa v39, v39, v27 dst_sel:DWORD dst_unused:UNUSED_PAD src0_sel:WORD_1 src1_sel:DWORD
	v_mul_u32_u24_sdwa v46, v41, v27 dst_sel:DWORD dst_unused:UNUSED_PAD src0_sel:WORD_0 src1_sel:DWORD
	v_pk_fma_f16 v25, v45, v42, v25
	v_pk_fma_f16 v42, v44, v42, v47
	v_pk_fma_f16 v24, v45, v39, v24
	v_pk_fma_f16 v43, v44, v39, v38
	v_mul_u32_u24_sdwa v44, v40, v27 dst_sel:DWORD dst_unused:UNUSED_PAD src0_sel:WORD_0 src1_sel:DWORD
	v_mul_u32_u24_sdwa v45, v40, v27 dst_sel:DWORD dst_unused:UNUSED_PAD src0_sel:WORD_1 src1_sel:DWORD
	v_mul_u32_u24_sdwa v47, v41, v27 dst_sel:DWORD dst_unused:UNUSED_PAD src0_sel:WORD_1 src1_sel:DWORD
	ds_read2_b64 v[38:41], v22 offset0:64 offset1:96
	s_waitcnt lgkmcnt(0)
	v_pk_fma_f16 v25, v39, v44, v25
	v_pk_fma_f16 v42, v38, v44, v42
	v_pk_fma_f16 v24, v39, v45, v24
	v_pk_fma_f16 v38, v38, v45, v43
	v_pk_fma_f16 v25, v41, v46, v25
	v_pk_fma_f16 v46, v40, v46, v42
	v_pk_fma_f16 v24, v41, v47, v24
	v_pk_fma_f16 v47, v40, v47, v38
	ds_read_b128 v[38:41], v19 offset:11312
	ds_read2_b64 v[42:45], v22 offset0:128 offset1:160
	s_waitcnt lgkmcnt(1)
	v_mul_u32_u24_sdwa v48, v38, v27 dst_sel:DWORD dst_unused:UNUSED_PAD src0_sel:WORD_0 src1_sel:DWORD
	v_mul_u32_u24_sdwa v38, v38, v27 dst_sel:DWORD dst_unused:UNUSED_PAD src0_sel:WORD_1 src1_sel:DWORD
	s_waitcnt lgkmcnt(0)
	v_pk_fma_f16 v25, v43, v48, v25
	v_pk_fma_f16 v46, v42, v48, v46
	;; [unrolled: 1-line block ×4, first 2 shown]
	v_mul_u32_u24_sdwa v42, v39, v27 dst_sel:DWORD dst_unused:UNUSED_PAD src0_sel:WORD_0 src1_sel:DWORD
	v_mul_u32_u24_sdwa v39, v39, v27 dst_sel:DWORD dst_unused:UNUSED_PAD src0_sel:WORD_1 src1_sel:DWORD
	v_mul_u32_u24_sdwa v47, v41, v27 dst_sel:DWORD dst_unused:UNUSED_PAD src0_sel:WORD_1 src1_sel:DWORD
	v_pk_fma_f16 v25, v45, v42, v25
	v_pk_fma_f16 v42, v44, v42, v46
	;; [unrolled: 1-line block ×4, first 2 shown]
	v_mul_u32_u24_sdwa v44, v40, v27 dst_sel:DWORD dst_unused:UNUSED_PAD src0_sel:WORD_0 src1_sel:DWORD
	v_mul_u32_u24_sdwa v45, v40, v27 dst_sel:DWORD dst_unused:UNUSED_PAD src0_sel:WORD_1 src1_sel:DWORD
	v_mul_u32_u24_sdwa v46, v41, v27 dst_sel:DWORD dst_unused:UNUSED_PAD src0_sel:WORD_0 src1_sel:DWORD
	ds_read2_b64 v[38:41], v22 offset0:192 offset1:224
	s_waitcnt lgkmcnt(0)
	v_pk_fma_f16 v25, v39, v44, v25
	v_pk_fma_f16 v42, v38, v44, v42
	v_pk_fma_f16 v24, v39, v45, v24
	v_pk_fma_f16 v38, v38, v45, v43
	v_pk_fma_f16 v48, v41, v46, v25
	v_pk_fma_f16 v46, v40, v46, v42
	v_pk_fma_f16 v24, v41, v47, v24
	v_pk_fma_f16 v47, v40, v47, v38
	v_add_nc_u32_e32 v25, 0x1000, v74
	ds_read_b128 v[38:41], v19 offset:11328
	ds_read2_b64 v[42:45], v25 offset1:32
	s_waitcnt lgkmcnt(1)
	v_mul_u32_u24_sdwa v49, v38, v27 dst_sel:DWORD dst_unused:UNUSED_PAD src0_sel:WORD_0 src1_sel:DWORD
	v_mul_u32_u24_sdwa v38, v38, v27 dst_sel:DWORD dst_unused:UNUSED_PAD src0_sel:WORD_1 src1_sel:DWORD
	s_waitcnt lgkmcnt(0)
	v_pk_fma_f16 v48, v43, v49, v48
	v_pk_fma_f16 v46, v42, v49, v46
	;; [unrolled: 1-line block ×4, first 2 shown]
	v_mul_u32_u24_sdwa v42, v39, v27 dst_sel:DWORD dst_unused:UNUSED_PAD src0_sel:WORD_0 src1_sel:DWORD
	v_mul_u32_u24_sdwa v39, v39, v27 dst_sel:DWORD dst_unused:UNUSED_PAD src0_sel:WORD_1 src1_sel:DWORD
	v_mul_u32_u24_sdwa v47, v41, v27 dst_sel:DWORD dst_unused:UNUSED_PAD src0_sel:WORD_0 src1_sel:DWORD
	v_pk_fma_f16 v43, v45, v42, v48
	v_pk_fma_f16 v42, v44, v42, v46
	;; [unrolled: 1-line block ×4, first 2 shown]
	v_mul_u32_u24_sdwa v45, v40, v27 dst_sel:DWORD dst_unused:UNUSED_PAD src0_sel:WORD_0 src1_sel:DWORD
	v_mul_u32_u24_sdwa v46, v40, v27 dst_sel:DWORD dst_unused:UNUSED_PAD src0_sel:WORD_1 src1_sel:DWORD
	v_mul_u32_u24_sdwa v48, v41, v27 dst_sel:DWORD dst_unused:UNUSED_PAD src0_sel:WORD_1 src1_sel:DWORD
	ds_read2_b64 v[38:41], v25 offset0:64 offset1:96
	s_waitcnt lgkmcnt(0)
	v_pk_fma_f16 v43, v39, v45, v43
	v_pk_fma_f16 v42, v38, v45, v42
	;; [unrolled: 1-line block ×8, first 2 shown]
	ds_read_b128 v[38:41], v19 offset:11344
	ds_read2_b64 v[42:45], v25 offset0:128 offset1:160
	s_waitcnt lgkmcnt(1)
	v_mul_u32_u24_sdwa v49, v38, v27 dst_sel:DWORD dst_unused:UNUSED_PAD src0_sel:WORD_0 src1_sel:DWORD
	v_mul_u32_u24_sdwa v38, v38, v27 dst_sel:DWORD dst_unused:UNUSED_PAD src0_sel:WORD_1 src1_sel:DWORD
	s_waitcnt lgkmcnt(0)
	v_pk_fma_f16 v46, v43, v49, v46
	v_pk_fma_f16 v47, v42, v49, v47
	;; [unrolled: 1-line block ×4, first 2 shown]
	v_mul_u32_u24_sdwa v42, v39, v27 dst_sel:DWORD dst_unused:UNUSED_PAD src0_sel:WORD_0 src1_sel:DWORD
	v_mul_u32_u24_sdwa v39, v39, v27 dst_sel:DWORD dst_unused:UNUSED_PAD src0_sel:WORD_1 src1_sel:DWORD
	v_mul_u32_u24_sdwa v48, v41, v27 dst_sel:DWORD dst_unused:UNUSED_PAD src0_sel:WORD_1 src1_sel:DWORD
	v_pk_fma_f16 v43, v45, v42, v46
	v_pk_fma_f16 v42, v44, v42, v47
	v_pk_fma_f16 v24, v45, v39, v24
	v_pk_fma_f16 v44, v44, v39, v38
	v_mul_u32_u24_sdwa v45, v40, v27 dst_sel:DWORD dst_unused:UNUSED_PAD src0_sel:WORD_0 src1_sel:DWORD
	v_mul_u32_u24_sdwa v46, v40, v27 dst_sel:DWORD dst_unused:UNUSED_PAD src0_sel:WORD_1 src1_sel:DWORD
	v_mul_u32_u24_sdwa v47, v41, v27 dst_sel:DWORD dst_unused:UNUSED_PAD src0_sel:WORD_0 src1_sel:DWORD
	ds_read2_b64 v[38:41], v25 offset0:192 offset1:224
	s_waitcnt lgkmcnt(0)
	v_pk_fma_f16 v43, v39, v45, v43
	v_pk_fma_f16 v42, v38, v45, v42
	;; [unrolled: 1-line block ×8, first 2 shown]
	v_add_nc_u32_e32 v24, 0x1800, v74
	ds_read_b128 v[38:41], v19 offset:11360
	ds_read2_b64 v[42:45], v24 offset1:32
	s_waitcnt lgkmcnt(1)
	v_mul_u32_u24_sdwa v50, v38, v27 dst_sel:DWORD dst_unused:UNUSED_PAD src0_sel:WORD_0 src1_sel:DWORD
	v_mul_u32_u24_sdwa v38, v38, v27 dst_sel:DWORD dst_unused:UNUSED_PAD src0_sel:WORD_1 src1_sel:DWORD
	s_waitcnt lgkmcnt(0)
	v_pk_fma_f16 v46, v43, v50, v46
	v_pk_fma_f16 v47, v42, v50, v47
	;; [unrolled: 1-line block ×4, first 2 shown]
	v_mul_u32_u24_sdwa v42, v39, v27 dst_sel:DWORD dst_unused:UNUSED_PAD src0_sel:WORD_0 src1_sel:DWORD
	v_mul_u32_u24_sdwa v39, v39, v27 dst_sel:DWORD dst_unused:UNUSED_PAD src0_sel:WORD_1 src1_sel:DWORD
	v_mul_u32_u24_sdwa v48, v41, v27 dst_sel:DWORD dst_unused:UNUSED_PAD src0_sel:WORD_0 src1_sel:DWORD
	v_mul_u32_u24_sdwa v49, v41, v27 dst_sel:DWORD dst_unused:UNUSED_PAD src0_sel:WORD_1 src1_sel:DWORD
	v_pk_fma_f16 v46, v45, v42, v46
	v_pk_fma_f16 v42, v44, v42, v47
	;; [unrolled: 1-line block ×4, first 2 shown]
	v_mul_u32_u24_sdwa v45, v40, v27 dst_sel:DWORD dst_unused:UNUSED_PAD src0_sel:WORD_0 src1_sel:DWORD
	v_mul_u32_u24_sdwa v47, v40, v27 dst_sel:DWORD dst_unused:UNUSED_PAD src0_sel:WORD_1 src1_sel:DWORD
	ds_read2_b64 v[38:41], v24 offset0:64 offset1:96
	s_waitcnt lgkmcnt(0)
	v_pk_fma_f16 v46, v39, v45, v46
	v_pk_fma_f16 v42, v38, v45, v42
	;; [unrolled: 1-line block ×8, first 2 shown]
	ds_read_b128 v[38:41], v19 offset:11376
	ds_read2_b64 v[42:45], v24 offset0:128 offset1:160
	s_waitcnt lgkmcnt(1)
	v_mul_u32_u24_sdwa v50, v38, v27 dst_sel:DWORD dst_unused:UNUSED_PAD src0_sel:WORD_0 src1_sel:DWORD
	v_mul_u32_u24_sdwa v38, v38, v27 dst_sel:DWORD dst_unused:UNUSED_PAD src0_sel:WORD_1 src1_sel:DWORD
	s_waitcnt lgkmcnt(0)
	v_pk_fma_f16 v46, v43, v50, v46
	v_pk_fma_f16 v47, v42, v50, v47
	;; [unrolled: 1-line block ×4, first 2 shown]
	v_mul_u32_u24_sdwa v42, v39, v27 dst_sel:DWORD dst_unused:UNUSED_PAD src0_sel:WORD_0 src1_sel:DWORD
	v_mul_u32_u24_sdwa v39, v39, v27 dst_sel:DWORD dst_unused:UNUSED_PAD src0_sel:WORD_1 src1_sel:DWORD
	v_mul_u32_u24_sdwa v48, v41, v27 dst_sel:DWORD dst_unused:UNUSED_PAD src0_sel:WORD_0 src1_sel:DWORD
	v_mul_u32_u24_sdwa v49, v41, v27 dst_sel:DWORD dst_unused:UNUSED_PAD src0_sel:WORD_1 src1_sel:DWORD
	v_mov_b32_e32 v51, v6
	v_pk_fma_f16 v46, v45, v42, v46
	v_pk_fma_f16 v47, v44, v42, v47
	;; [unrolled: 1-line block ×4, first 2 shown]
	v_mul_u32_u24_sdwa v39, v40, v27 dst_sel:DWORD dst_unused:UNUSED_PAD src0_sel:WORD_0 src1_sel:DWORD
	v_mul_u32_u24_sdwa v44, v40, v27 dst_sel:DWORD dst_unused:UNUSED_PAD src0_sel:WORD_1 src1_sel:DWORD
	ds_read2_b64 v[40:43], v24 offset0:192 offset1:224
	s_waitcnt lgkmcnt(0)
	s_barrier
	buffer_gl0_inv
	buffer_store_dword v30, off, s[0:3], 0
	buffer_store_dword v30, off, s[0:3], 0 offset:4
	buffer_store_dword v30, off, s[0:3], 0 offset:8
	;; [unrolled: 1-line block ×3, first 2 shown]
	v_mov_b32_e32 v50, v5
	v_pk_fma_f16 v46, v41, v39, v46
	v_pk_fma_f16 v47, v40, v39, v47
	;; [unrolled: 1-line block ×8, first 2 shown]
	flat_load_dwordx4 v[42:45], v[7:8]
	s_waitcnt vmcnt(0) lgkmcnt(0)
	ds_write_b128 v32, v[42:45]
	buffer_store_dword v30, off, s[0:3], 0
	buffer_store_dword v30, off, s[0:3], 0 offset:4
	buffer_store_dword v30, off, s[0:3], 0 offset:8
	;; [unrolled: 1-line block ×3, first 2 shown]
	flat_load_dwordx4 v[42:45], v[1:2]
	v_add_co_u32 v1, vcc_lo, s8, v9
	v_add_co_ci_u32_e64 v2, null, s7, v10, vcc_lo
	v_cmp_gt_i32_e32 vcc_lo, s9, v33
	v_add_co_u32 v1, s6, v1, v28
	v_add_co_ci_u32_e64 v2, null, 0, v2, s6
	v_cndmask_b32_e32 v1, 0, v1, vcc_lo
	v_cndmask_b32_e32 v2, s13, v2, vcc_lo
	s_waitcnt vmcnt(0) lgkmcnt(0)
	ds_write_b128 v34, v[42:45]
	buffer_store_dword v30, off, s[0:3], 0
	buffer_store_dword v30, off, s[0:3], 0 offset:4
	buffer_store_dword v30, off, s[0:3], 0 offset:8
	buffer_store_dword v30, off, s[0:3], 0 offset:12
	flat_load_dwordx4 v[7:10], v[1:2]
	v_add_co_u32 v1, vcc_lo, s8, v3
	v_add_co_ci_u32_e64 v2, null, s7, v4, vcc_lo
	v_cmp_gt_i32_e32 vcc_lo, s9, v35
	v_add_co_u32 v1, s6, v1, v28
	v_add_co_ci_u32_e64 v2, null, 0, v2, s6
	v_cndmask_b32_e32 v1, 0, v1, vcc_lo
	v_cndmask_b32_e32 v2, s13, v2, vcc_lo
	s_waitcnt vmcnt(0) lgkmcnt(0)
	ds_write_b128 v37, v[7:10]
	buffer_store_dword v30, off, s[0:3], 0
	buffer_store_dword v30, off, s[0:3], 0 offset:4
	buffer_store_dword v30, off, s[0:3], 0 offset:8
	;; [unrolled: 1-line block ×3, first 2 shown]
	flat_load_dwordx4 v[1:4], v[1:2]
	s_waitcnt vmcnt(0) lgkmcnt(0)
	ds_write_b128 v36, v[1:4]
	s_waitcnt lgkmcnt(0)
	s_waitcnt_vscnt null, 0x0
	s_barrier
	buffer_gl0_inv
	ds_read_b128 v[1:4], v19 offset:11392
	ds_read2_b64 v[7:10], v74 offset1:32
	s_waitcnt lgkmcnt(1)
	v_mul_u32_u24_sdwa v28, v1, v27 dst_sel:DWORD dst_unused:UNUSED_PAD src0_sel:WORD_0 src1_sel:DWORD
	v_mul_u32_u24_sdwa v1, v1, v27 dst_sel:DWORD dst_unused:UNUSED_PAD src0_sel:WORD_1 src1_sel:DWORD
	v_mul_u32_u24_sdwa v30, v4, v27 dst_sel:DWORD dst_unused:UNUSED_PAD src0_sel:WORD_0 src1_sel:DWORD
	v_mul_u32_u24_sdwa v31, v4, v27 dst_sel:DWORD dst_unused:UNUSED_PAD src0_sel:WORD_1 src1_sel:DWORD
	s_waitcnt lgkmcnt(0)
	v_pk_fma_f16 v29, v7, v28, v41
	v_pk_fma_f16 v28, v8, v28, v39
	;; [unrolled: 1-line block ×4, first 2 shown]
	v_mul_u32_u24_sdwa v8, v2, v27 dst_sel:DWORD dst_unused:UNUSED_PAD src0_sel:WORD_0 src1_sel:DWORD
	v_mul_u32_u24_sdwa v2, v2, v27 dst_sel:DWORD dst_unused:UNUSED_PAD src0_sel:WORD_1 src1_sel:DWORD
	v_pk_fma_f16 v29, v9, v8, v29
	v_pk_fma_f16 v8, v10, v8, v28
	v_pk_fma_f16 v7, v9, v2, v7
	v_pk_fma_f16 v9, v10, v2, v1
	v_mul_u32_u24_sdwa v10, v3, v27 dst_sel:DWORD dst_unused:UNUSED_PAD src0_sel:WORD_0 src1_sel:DWORD
	v_mul_u32_u24_sdwa v28, v3, v27 dst_sel:DWORD dst_unused:UNUSED_PAD src0_sel:WORD_1 src1_sel:DWORD
	ds_read2_b64 v[1:4], v74 offset0:64 offset1:96
	s_waitcnt lgkmcnt(0)
	v_pk_fma_f16 v29, v1, v10, v29
	v_pk_fma_f16 v8, v2, v10, v8
	v_pk_fma_f16 v1, v1, v28, v7
	v_pk_fma_f16 v2, v2, v28, v9
	v_pk_fma_f16 v28, v3, v30, v29
	v_pk_fma_f16 v29, v4, v30, v8
	v_pk_fma_f16 v30, v3, v31, v1
	v_pk_fma_f16 v31, v4, v31, v2
	ds_read_b128 v[1:4], v19 offset:11408
	ds_read2_b64 v[7:10], v74 offset0:128 offset1:160
	s_waitcnt lgkmcnt(1)
	v_mul_u32_u24_sdwa v32, v1, v27 dst_sel:DWORD dst_unused:UNUSED_PAD src0_sel:WORD_0 src1_sel:DWORD
	v_mul_u32_u24_sdwa v1, v1, v27 dst_sel:DWORD dst_unused:UNUSED_PAD src0_sel:WORD_1 src1_sel:DWORD
	s_waitcnt lgkmcnt(0)
	v_pk_fma_f16 v28, v7, v32, v28
	v_pk_fma_f16 v29, v8, v32, v29
	v_pk_fma_f16 v7, v7, v1, v30
	v_pk_fma_f16 v1, v8, v1, v31
	v_mul_u32_u24_sdwa v8, v2, v27 dst_sel:DWORD dst_unused:UNUSED_PAD src0_sel:WORD_0 src1_sel:DWORD
	v_mul_u32_u24_sdwa v2, v2, v27 dst_sel:DWORD dst_unused:UNUSED_PAD src0_sel:WORD_1 src1_sel:DWORD
	v_mul_u32_u24_sdwa v30, v4, v27 dst_sel:DWORD dst_unused:UNUSED_PAD src0_sel:WORD_0 src1_sel:DWORD
	v_mul_u32_u24_sdwa v31, v4, v27 dst_sel:DWORD dst_unused:UNUSED_PAD src0_sel:WORD_1 src1_sel:DWORD
	v_pk_fma_f16 v28, v9, v8, v28
	v_pk_fma_f16 v8, v10, v8, v29
	v_pk_fma_f16 v7, v9, v2, v7
	v_pk_fma_f16 v9, v10, v2, v1
	v_mul_u32_u24_sdwa v10, v3, v27 dst_sel:DWORD dst_unused:UNUSED_PAD src0_sel:WORD_0 src1_sel:DWORD
	v_mul_u32_u24_sdwa v29, v3, v27 dst_sel:DWORD dst_unused:UNUSED_PAD src0_sel:WORD_1 src1_sel:DWORD
	ds_read2_b64 v[1:4], v74 offset0:192 offset1:224
	s_waitcnt lgkmcnt(0)
	v_pk_fma_f16 v28, v1, v10, v28
	v_pk_fma_f16 v8, v2, v10, v8
	v_pk_fma_f16 v1, v1, v29, v7
	v_pk_fma_f16 v2, v2, v29, v9
	v_pk_fma_f16 v28, v3, v30, v28
	v_pk_fma_f16 v29, v4, v30, v8
	v_pk_fma_f16 v30, v3, v31, v1
	v_pk_fma_f16 v31, v4, v31, v2
	ds_read_b128 v[1:4], v19 offset:11424
	ds_read2_b64 v[7:10], v22 offset1:32
	s_waitcnt lgkmcnt(1)
	v_mul_u32_u24_sdwa v32, v1, v27 dst_sel:DWORD dst_unused:UNUSED_PAD src0_sel:WORD_0 src1_sel:DWORD
	v_mul_u32_u24_sdwa v1, v1, v27 dst_sel:DWORD dst_unused:UNUSED_PAD src0_sel:WORD_1 src1_sel:DWORD
	s_waitcnt lgkmcnt(0)
	v_pk_fma_f16 v28, v7, v32, v28
	v_pk_fma_f16 v29, v8, v32, v29
	v_pk_fma_f16 v7, v7, v1, v30
	v_pk_fma_f16 v1, v8, v1, v31
	v_mul_u32_u24_sdwa v8, v2, v27 dst_sel:DWORD dst_unused:UNUSED_PAD src0_sel:WORD_0 src1_sel:DWORD
	v_mul_u32_u24_sdwa v2, v2, v27 dst_sel:DWORD dst_unused:UNUSED_PAD src0_sel:WORD_1 src1_sel:DWORD
	v_mul_u32_u24_sdwa v30, v4, v27 dst_sel:DWORD dst_unused:UNUSED_PAD src0_sel:WORD_0 src1_sel:DWORD
	v_mul_u32_u24_sdwa v31, v4, v27 dst_sel:DWORD dst_unused:UNUSED_PAD src0_sel:WORD_1 src1_sel:DWORD
	v_pk_fma_f16 v28, v9, v8, v28
	v_pk_fma_f16 v8, v10, v8, v29
	v_pk_fma_f16 v7, v9, v2, v7
	v_pk_fma_f16 v9, v10, v2, v1
	v_mul_u32_u24_sdwa v10, v3, v27 dst_sel:DWORD dst_unused:UNUSED_PAD src0_sel:WORD_0 src1_sel:DWORD
	v_mul_u32_u24_sdwa v29, v3, v27 dst_sel:DWORD dst_unused:UNUSED_PAD src0_sel:WORD_1 src1_sel:DWORD
	ds_read2_b64 v[1:4], v22 offset0:64 offset1:96
	s_waitcnt lgkmcnt(0)
	v_pk_fma_f16 v28, v1, v10, v28
	v_pk_fma_f16 v8, v2, v10, v8
	v_pk_fma_f16 v1, v1, v29, v7
	v_pk_fma_f16 v2, v2, v29, v9
	v_pk_fma_f16 v28, v3, v30, v28
	v_pk_fma_f16 v29, v4, v30, v8
	v_pk_fma_f16 v30, v3, v31, v1
	v_pk_fma_f16 v31, v4, v31, v2
	ds_read_b128 v[1:4], v19 offset:11440
	ds_read2_b64 v[7:10], v22 offset0:128 offset1:160
	s_waitcnt lgkmcnt(1)
	v_mul_u32_u24_sdwa v32, v1, v27 dst_sel:DWORD dst_unused:UNUSED_PAD src0_sel:WORD_0 src1_sel:DWORD
	v_mul_u32_u24_sdwa v1, v1, v27 dst_sel:DWORD dst_unused:UNUSED_PAD src0_sel:WORD_1 src1_sel:DWORD
	s_waitcnt lgkmcnt(0)
	v_pk_fma_f16 v28, v7, v32, v28
	v_pk_fma_f16 v29, v8, v32, v29
	v_pk_fma_f16 v7, v7, v1, v30
	v_pk_fma_f16 v1, v8, v1, v31
	v_mul_u32_u24_sdwa v8, v2, v27 dst_sel:DWORD dst_unused:UNUSED_PAD src0_sel:WORD_0 src1_sel:DWORD
	v_mul_u32_u24_sdwa v2, v2, v27 dst_sel:DWORD dst_unused:UNUSED_PAD src0_sel:WORD_1 src1_sel:DWORD
	v_mul_u32_u24_sdwa v30, v4, v27 dst_sel:DWORD dst_unused:UNUSED_PAD src0_sel:WORD_0 src1_sel:DWORD
	v_mul_u32_u24_sdwa v31, v4, v27 dst_sel:DWORD dst_unused:UNUSED_PAD src0_sel:WORD_1 src1_sel:DWORD
	v_pk_fma_f16 v28, v9, v8, v28
	v_pk_fma_f16 v8, v10, v8, v29
	v_pk_fma_f16 v7, v9, v2, v7
	v_pk_fma_f16 v9, v10, v2, v1
	v_mul_u32_u24_sdwa v10, v3, v27 dst_sel:DWORD dst_unused:UNUSED_PAD src0_sel:WORD_0 src1_sel:DWORD
	v_mul_u32_u24_sdwa v29, v3, v27 dst_sel:DWORD dst_unused:UNUSED_PAD src0_sel:WORD_1 src1_sel:DWORD
	ds_read2_b64 v[1:4], v22 offset0:192 offset1:224
	s_waitcnt lgkmcnt(0)
	v_pk_fma_f16 v22, v1, v10, v28
	v_pk_fma_f16 v8, v2, v10, v8
	v_pk_fma_f16 v1, v1, v29, v7
	v_pk_fma_f16 v2, v2, v29, v9
	v_pk_fma_f16 v22, v3, v30, v22
	v_pk_fma_f16 v28, v4, v30, v8
	v_pk_fma_f16 v29, v3, v31, v1
	v_pk_fma_f16 v30, v4, v31, v2
	ds_read_b128 v[1:4], v19 offset:11456
	ds_read2_b64 v[7:10], v25 offset1:32
	s_waitcnt lgkmcnt(1)
	v_mul_u32_u24_sdwa v31, v1, v27 dst_sel:DWORD dst_unused:UNUSED_PAD src0_sel:WORD_0 src1_sel:DWORD
	v_mul_u32_u24_sdwa v1, v1, v27 dst_sel:DWORD dst_unused:UNUSED_PAD src0_sel:WORD_1 src1_sel:DWORD
	s_waitcnt lgkmcnt(0)
	v_pk_fma_f16 v22, v7, v31, v22
	v_pk_fma_f16 v28, v8, v31, v28
	v_pk_fma_f16 v7, v7, v1, v29
	v_pk_fma_f16 v1, v8, v1, v30
	v_mul_u32_u24_sdwa v8, v2, v27 dst_sel:DWORD dst_unused:UNUSED_PAD src0_sel:WORD_0 src1_sel:DWORD
	v_mul_u32_u24_sdwa v2, v2, v27 dst_sel:DWORD dst_unused:UNUSED_PAD src0_sel:WORD_1 src1_sel:DWORD
	;; [unrolled: 60-line block ×3, first 2 shown]
	v_mul_u32_u24_sdwa v28, v4, v27 dst_sel:DWORD dst_unused:UNUSED_PAD src0_sel:WORD_0 src1_sel:DWORD
	v_mul_u32_u24_sdwa v29, v4, v27 dst_sel:DWORD dst_unused:UNUSED_PAD src0_sel:WORD_1 src1_sel:DWORD
	v_pk_fma_f16 v22, v9, v8, v22
	v_pk_fma_f16 v8, v10, v8, v25
	;; [unrolled: 1-line block ×4, first 2 shown]
	v_mul_u32_u24_sdwa v10, v3, v27 dst_sel:DWORD dst_unused:UNUSED_PAD src0_sel:WORD_0 src1_sel:DWORD
	v_mul_u32_u24_sdwa v25, v3, v27 dst_sel:DWORD dst_unused:UNUSED_PAD src0_sel:WORD_1 src1_sel:DWORD
	ds_read2_b64 v[1:4], v24 offset0:64 offset1:96
	s_waitcnt lgkmcnt(0)
	v_pk_fma_f16 v22, v1, v10, v22
	v_pk_fma_f16 v8, v2, v10, v8
	;; [unrolled: 1-line block ×8, first 2 shown]
	ds_read_b128 v[1:4], v19 offset:11504
	ds_read2_b64 v[7:10], v24 offset0:128 offset1:160
	s_waitcnt lgkmcnt(1)
	v_mul_u32_u24_sdwa v19, v1, v27 dst_sel:DWORD dst_unused:UNUSED_PAD src0_sel:WORD_0 src1_sel:DWORD
	v_mul_u32_u24_sdwa v1, v1, v27 dst_sel:DWORD dst_unused:UNUSED_PAD src0_sel:WORD_1 src1_sel:DWORD
	s_waitcnt lgkmcnt(0)
	v_pk_fma_f16 v22, v7, v19, v22
	v_pk_fma_f16 v19, v8, v19, v25
	;; [unrolled: 1-line block ×4, first 2 shown]
	v_mul_u32_u24_sdwa v7, v2, v27 dst_sel:DWORD dst_unused:UNUSED_PAD src0_sel:WORD_0 src1_sel:DWORD
	v_mul_u32_u24_sdwa v2, v2, v27 dst_sel:DWORD dst_unused:UNUSED_PAD src0_sel:WORD_1 src1_sel:DWORD
	v_mul_u32_u24_sdwa v28, v3, v27 dst_sel:DWORD dst_unused:UNUSED_PAD src0_sel:WORD_1 src1_sel:DWORD
	v_pk_fma_f16 v8, v9, v7, v22
	v_pk_fma_f16 v7, v10, v7, v19
	;; [unrolled: 1-line block ×4, first 2 shown]
	v_mul_u32_u24_sdwa v25, v3, v27 dst_sel:DWORD dst_unused:UNUSED_PAD src0_sel:WORD_0 src1_sel:DWORD
	v_mul_u32_u24_sdwa v9, v4, v27 dst_sel:DWORD dst_unused:UNUSED_PAD src0_sel:WORD_0 src1_sel:DWORD
	v_mul_u32_u24_sdwa v10, v4, v27 dst_sel:DWORD dst_unused:UNUSED_PAD src0_sel:WORD_1 src1_sel:DWORD
	ds_read2_b64 v[1:4], v24 offset0:192 offset1:224
	s_waitcnt lgkmcnt(0)
	s_barrier
	buffer_gl0_inv
	v_pk_fma_f16 v8, v1, v25, v8
	v_pk_fma_f16 v1, v1, v28, v22
	;; [unrolled: 1-line block ×8, first 2 shown]
.LBB89_78:
	v_cmp_lt_i32_e32 vcc_lo, v12, v14
	s_cmp_eq_u64 s[20:21], 0
	s_cselect_b32 s6, -1, 0
	s_cmp_lg_u32 s34, 0
	v_cndmask_b32_e32 v1, v73, v12, vcc_lo
	v_cmp_lt_i32_e32 vcc_lo, v11, v14
	s_cselect_b32 s7, -1, 0
	s_or_b32 s6, s7, s6
	v_lshlrev_b32_e32 v1, 2, v1
	v_cndmask_b32_e32 v3, v73, v11, vcc_lo
	v_cmp_lt_i32_e32 vcc_lo, v13, v14
	ds_bpermute_b32 v2, v1, v76
	ds_bpermute_b32 v1, v1, v75
	v_lshlrev_b32_e32 v3, 2, v3
	v_cndmask_b32_e32 v5, v73, v13, vcc_lo
	v_cmp_lt_i32_e32 vcc_lo, v15, v14
	v_lshlrev_b32_e32 v5, 2, v5
	s_waitcnt lgkmcnt(1)
	v_add_f32_e32 v2, v76, v2
	s_waitcnt lgkmcnt(0)
	v_add_f32_e32 v1, v75, v1
	ds_bpermute_b32 v4, v3, v2
	ds_bpermute_b32 v3, v3, v1
	s_waitcnt lgkmcnt(1)
	v_add_f32_e32 v2, v2, v4
	s_waitcnt lgkmcnt(0)
	v_add_f32_e32 v1, v1, v3
	ds_bpermute_b32 v3, v5, v2
	ds_bpermute_b32 v4, v5, v1
	v_cndmask_b32_e32 v5, v73, v15, vcc_lo
	v_cmp_lt_i32_e32 vcc_lo, v16, v14
	v_lshlrev_b32_e32 v5, 2, v5
	s_waitcnt lgkmcnt(1)
	v_add_f32_e32 v2, v2, v3
	s_waitcnt lgkmcnt(0)
	v_add_f32_e32 v1, v1, v4
	ds_bpermute_b32 v3, v5, v2
	ds_bpermute_b32 v4, v5, v1
	v_cndmask_b32_e32 v5, v73, v16, vcc_lo
	s_and_b32 vcc_lo, exec_lo, s6
	v_lshlrev_b32_e32 v5, 2, v5
	s_waitcnt lgkmcnt(1)
	v_add_f32_e32 v2, v2, v3
	s_waitcnt lgkmcnt(0)
	v_add_f32_e32 v3, v1, v4
	ds_bpermute_b32 v1, v5, v2
	ds_bpermute_b32 v4, v5, v3
	s_waitcnt lgkmcnt(1)
	v_add_f32_e32 v1, v2, v1
	s_waitcnt lgkmcnt(0)
	v_add_f32_e32 v2, v3, v4
	s_cbranch_vccnz .LBB89_80
; %bb.79:
	s_lshl_b64 s[6:7], s[44:45], 2
	v_mov_b32_e32 v3, 0
	s_add_u32 s6, s20, s6
	s_addc_u32 s7, s21, s7
	v_max_f32_e32 v4, v50, v50
	v_max_f32_e32 v7, v51, v51
	global_load_dword v3, v3, s[6:7]
	s_waitcnt vmcnt(0)
	v_max_f32_e32 v6, v3, v3
	v_max_f32_e32 v5, v4, v6
	;; [unrolled: 1-line block ×3, first 2 shown]
	v_sub_f32_e32 v4, v50, v5
	v_sub_f32_e32 v7, v3, v5
	;; [unrolled: 1-line block ×4, first 2 shown]
	v_mov_b32_e32 v51, v6
	v_mul_f32_e32 v3, 0x3fb8aa3b, v4
	v_mul_f32_e32 v10, 0x3fb8aa3b, v7
	;; [unrolled: 1-line block ×4, first 2 shown]
	v_cmp_ngt_f32_e32 vcc_lo, 0xc2ce8ed0, v4
	v_fma_f32 v13, 0x3fb8aa3b, v4, -v3
	v_rndne_f32_e32 v14, v3
	v_fma_f32 v15, 0x3fb8aa3b, v7, -v10
	v_rndne_f32_e32 v16, v10
	v_fma_f32 v17, 0x3fb8aa3b, v8, -v11
	v_fmac_f32_e32 v13, 0x32a5705f, v4
	v_sub_f32_e32 v3, v3, v14
	v_rndne_f32_e32 v18, v11
	v_fmac_f32_e32 v15, 0x32a5705f, v7
	v_sub_f32_e32 v10, v10, v16
	v_fma_f32 v19, 0x3fb8aa3b, v9, -v12
	v_add_f32_e32 v3, v3, v13
	v_rndne_f32_e32 v20, v12
	v_fmac_f32_e32 v17, 0x32a5705f, v8
	v_sub_f32_e32 v11, v11, v18
	v_add_f32_e32 v10, v10, v15
	v_exp_f32_e32 v3, v3
	v_fmac_f32_e32 v19, 0x32a5705f, v9
	v_sub_f32_e32 v12, v12, v20
	v_add_f32_e32 v11, v11, v17
	v_exp_f32_e32 v10, v10
	v_cvt_i32_f32_e32 v13, v14
	v_cvt_i32_f32_e32 v14, v16
	v_add_f32_e32 v12, v12, v19
	v_exp_f32_e32 v11, v11
	v_cvt_i32_f32_e32 v15, v18
	v_ldexp_f32 v3, v3, v13
	v_cvt_i32_f32_e32 v16, v20
	v_exp_f32_e32 v12, v12
	v_mov_b32_e32 v17, 0x10001
	v_ldexp_f32 v10, v10, v14
	v_cndmask_b32_e32 v3, 0, v3, vcc_lo
	v_cmp_ngt_f32_e32 vcc_lo, 0xc2ce8ed0, v7
	v_mov_b32_e32 v50, v5
	v_ldexp_f32 v11, v11, v15
	v_cndmask_b32_e32 v10, 0, v10, vcc_lo
	v_cmp_ngt_f32_e32 vcc_lo, 0xc2ce8ed0, v8
	v_ldexp_f32 v12, v12, v16
	v_cndmask_b32_e32 v11, 0, v11, vcc_lo
	v_cmp_ngt_f32_e32 vcc_lo, 0xc2ce8ed0, v9
	v_cndmask_b32_e32 v12, 0, v12, vcc_lo
	v_cmp_nlt_f32_e32 vcc_lo, 0x42b17218, v4
	v_cndmask_b32_e32 v13, 0x7f800000, v3, vcc_lo
	v_cmp_nlt_f32_e32 vcc_lo, 0x42b17218, v7
	;; [unrolled: 2-line block ×3, first 2 shown]
	v_cvt_f16_f32_e32 v8, v13
	v_fmac_f32_e32 v3, v1, v13
	v_cndmask_b32_e32 v7, 0x7f800000, v11, vcc_lo
	v_cmp_nlt_f32_e32 vcc_lo, 0x42b17218, v9
	v_cvt_f16_f32_e32 v9, v7
	v_cndmask_b32_e32 v4, 0x7f800000, v12, vcc_lo
	v_fmac_f32_e32 v4, v2, v7
	v_mul_u32_u24_sdwa v7, v8, v17 dst_sel:DWORD dst_unused:UNUSED_PAD src0_sel:WORD_0 src1_sel:DWORD
	v_mul_u32_u24_sdwa v8, v9, v17 dst_sel:DWORD dst_unused:UNUSED_PAD src0_sel:WORD_0 src1_sel:DWORD
	v_mov_b32_e32 v1, v3
	v_mov_b32_e32 v2, v4
	v_pk_mul_f16 v23, v23, v7
	v_pk_mul_f16 v25, v25, v7
	;; [unrolled: 1-line block ×4, first 2 shown]
	s_mov_b32 s6, exec_lo
	v_cmpx_gt_i32_e64 s30, v84
	s_cbranch_execnz .LBB89_81
	s_branch .LBB89_90
.LBB89_80:
	v_mov_b32_e32 v3, v1
	v_mov_b32_e32 v4, v2
	s_mov_b32 s6, exec_lo
	v_cmpx_gt_i32_e64 s30, v84
	s_cbranch_execz .LBB89_90
.LBB89_81:
	s_load_dword s5, s[4:5], 0xd4
	v_mov_b32_e32 v7, 1.0
	s_waitcnt lgkmcnt(0)
	s_cmp_lg_u32 s5, 1
	s_cselect_b32 s8, -1, 0
	s_cmp_eq_u32 s5, 1
	s_cselect_b32 s6, -1, 0
	s_and_b32 vcc_lo, exec_lo, s8
	s_cbranch_vccnz .LBB89_83
; %bb.82:
	v_div_scale_f32 v5, null, v3, v3, 1.0
	v_rcp_f32_e32 v6, v5
	v_fma_f32 v7, -v5, v6, 1.0
	v_fmac_f32_e32 v6, v7, v6
	v_div_scale_f32 v7, vcc_lo, 1.0, v3, 1.0
	v_mul_f32_e32 v8, v7, v6
	v_fma_f32 v9, -v5, v8, v7
	v_fmac_f32_e32 v8, v9, v6
	v_fma_f32 v5, -v5, v8, v7
	v_div_fmas_f32 v5, v5, v6, v8
	v_div_fixup_f32 v7, v5, v3, 1.0
.LBB89_83:
	s_mul_i32 s7, s33, s30
	v_mov_b32_e32 v9, 0
	s_add_i32 s7, s7, s18
	v_cmp_eq_u32_e32 vcc_lo, 0, v0
	v_add_nc_u32_e32 v3, s7, v85
	v_cvt_f32_f16_e32 v0, v23
	v_cvt_f32_f16_sdwa v11, v25 dst_sel:DWORD dst_unused:UNUSED_PAD src0_sel:WORD_1
	v_mad_u64_u32 v[5:6], null, v3, s31, s[44:45]
	v_cvt_f32_f16_sdwa v3, v23 dst_sel:DWORD dst_unused:UNUSED_PAD src0_sel:WORD_1
	v_mul_f32_e32 v11, v7, v11
	v_mad_u64_u32 v[5:6], null, s5, v5, s[34:35]
	v_cvt_f32_f16_e32 v6, v25
	v_mul_f32_e32 v10, v7, v6
	v_lshl_add_u32 v8, v5, 7, v72
	v_lshlrev_b64 v[12:13], 2, v[8:9]
	v_mul_f32_e32 v8, v7, v0
	v_mul_f32_e32 v9, v7, v3
	v_add_co_u32 v6, s4, s24, v12
	v_add_co_ci_u32_e64 v7, null, s25, v13, s4
	s_and_b32 s4, vcc_lo, s8
	global_store_dwordx4 v[6:7], v[8:11], off
	s_and_saveexec_b32 s8, s4
	s_cbranch_execz .LBB89_85
; %bb.84:
	v_ashrrev_i32_e32 v6, 31, v5
	v_mov_b32_e32 v0, v50
	v_lshlrev_b64 v[5:6], 3, v[5:6]
	v_add_co_u32 v5, vcc_lo, s26, v5
	v_add_co_ci_u32_e64 v6, null, s27, v6, vcc_lo
	global_store_dwordx2 v[5:6], v[0:1], off
.LBB89_85:
	s_or_b32 exec_lo, exec_lo, s8
	s_waitcnt vmcnt(0)
	v_cmp_gt_i32_e32 vcc_lo, s30, v53
	s_and_b32 exec_lo, exec_lo, vcc_lo
	s_cbranch_execz .LBB89_90
; %bb.86:
	v_mov_b32_e32 v3, 1.0
	s_andn2_b32 vcc_lo, exec_lo, s6
	s_cbranch_vccnz .LBB89_88
; %bb.87:
	v_div_scale_f32 v0, null, v4, v4, 1.0
	v_rcp_f32_e32 v1, v0
	v_fma_f32 v3, -v0, v1, 1.0
	v_fmac_f32_e32 v1, v3, v1
	v_div_scale_f32 v3, vcc_lo, 1.0, v4, 1.0
	v_mul_f32_e32 v5, v3, v1
	v_fma_f32 v6, -v0, v5, v3
	v_fmac_f32_e32 v5, v6, v1
	v_fma_f32 v0, -v0, v5, v3
	v_div_fmas_f32 v0, v0, v1, v5
	v_div_fixup_f32 v3, v0, v4, 1.0
.LBB89_88:
	v_add_nc_u32_e32 v0, s7, v52
	v_mov_b32_e32 v5, 0
	v_cvt_f32_f16_sdwa v6, v22 dst_sel:DWORD dst_unused:UNUSED_PAD src0_sel:WORD_1
	v_cvt_f32_f16_e32 v7, v24
	v_cvt_f32_f16_sdwa v10, v24 dst_sel:DWORD dst_unused:UNUSED_PAD src0_sel:WORD_1
	v_mad_u64_u32 v[0:1], null, v0, s31, s[44:45]
	v_mad_u64_u32 v[0:1], null, s5, v0, s[34:35]
	v_cvt_f32_f16_e32 v1, v22
	v_lshl_add_u32 v4, v0, 7, v72
	v_lshlrev_b64 v[8:9], 2, v[4:5]
	v_mul_f32_e32 v4, v3, v1
	v_mul_f32_e32 v5, v3, v6
	;; [unrolled: 1-line block ×4, first 2 shown]
	v_add_co_u32 v8, vcc_lo, s24, v8
	v_add_co_ci_u32_e64 v9, null, s25, v9, vcc_lo
	global_store_dwordx4 v[8:9], v[4:7], off
	s_and_b32 exec_lo, exec_lo, s4
	s_cbranch_execz .LBB89_90
; %bb.89:
	v_ashrrev_i32_e32 v1, 31, v0
	v_lshlrev_b64 v[0:1], 3, v[0:1]
	v_add_co_u32 v3, vcc_lo, s26, v0
	v_add_co_ci_u32_e64 v4, null, s27, v1, vcc_lo
	v_mov_b32_e32 v1, v51
	global_store_dwordx2 v[3:4], v[1:2], off
	s_endpgm
.LBB89_90:
	s_endpgm
	.section	.rodata,"a",@progbits
	.p2align	6, 0x0
	.amdhsa_kernel _ZL15flash_attn_tileILi128ELi128ELi8ELi1ELb1EEvPKcS1_S1_S1_S1_PKiPfP15HIP_vector_typeIfLj2EEffffjfiS5_IjLj3EEiiiiiiiiiiiliiliiiiil
		.amdhsa_group_segment_fixed_size 12288
		.amdhsa_private_segment_fixed_size 32
		.amdhsa_kernarg_size 464
		.amdhsa_user_sgpr_count 8
		.amdhsa_user_sgpr_private_segment_buffer 1
		.amdhsa_user_sgpr_dispatch_ptr 0
		.amdhsa_user_sgpr_queue_ptr 0
		.amdhsa_user_sgpr_kernarg_segment_ptr 1
		.amdhsa_user_sgpr_dispatch_id 0
		.amdhsa_user_sgpr_flat_scratch_init 1
		.amdhsa_user_sgpr_private_segment_size 0
		.amdhsa_wavefront_size32 1
		.amdhsa_uses_dynamic_stack 0
		.amdhsa_system_sgpr_private_segment_wavefront_offset 1
		.amdhsa_system_sgpr_workgroup_id_x 1
		.amdhsa_system_sgpr_workgroup_id_y 1
		.amdhsa_system_sgpr_workgroup_id_z 1
		.amdhsa_system_sgpr_workgroup_info 0
		.amdhsa_system_vgpr_workitem_id 1
		.amdhsa_next_free_vgpr 128
		.amdhsa_next_free_sgpr 53
		.amdhsa_reserve_vcc 1
		.amdhsa_reserve_flat_scratch 1
		.amdhsa_float_round_mode_32 0
		.amdhsa_float_round_mode_16_64 0
		.amdhsa_float_denorm_mode_32 3
		.amdhsa_float_denorm_mode_16_64 3
		.amdhsa_dx10_clamp 1
		.amdhsa_ieee_mode 1
		.amdhsa_fp16_overflow 0
		.amdhsa_workgroup_processor_mode 1
		.amdhsa_memory_ordered 1
		.amdhsa_forward_progress 1
		.amdhsa_shared_vgpr_count 0
		.amdhsa_exception_fp_ieee_invalid_op 0
		.amdhsa_exception_fp_denorm_src 0
		.amdhsa_exception_fp_ieee_div_zero 0
		.amdhsa_exception_fp_ieee_overflow 0
		.amdhsa_exception_fp_ieee_underflow 0
		.amdhsa_exception_fp_ieee_inexact 0
		.amdhsa_exception_int_div_zero 0
	.end_amdhsa_kernel
	.section	.text._ZL15flash_attn_tileILi128ELi128ELi8ELi1ELb1EEvPKcS1_S1_S1_S1_PKiPfP15HIP_vector_typeIfLj2EEffffjfiS5_IjLj3EEiiiiiiiiiiiliiliiiiil,"axG",@progbits,_ZL15flash_attn_tileILi128ELi128ELi8ELi1ELb1EEvPKcS1_S1_S1_S1_PKiPfP15HIP_vector_typeIfLj2EEffffjfiS5_IjLj3EEiiiiiiiiiiiliiliiiiil,comdat
.Lfunc_end89:
	.size	_ZL15flash_attn_tileILi128ELi128ELi8ELi1ELb1EEvPKcS1_S1_S1_S1_PKiPfP15HIP_vector_typeIfLj2EEffffjfiS5_IjLj3EEiiiiiiiiiiiliiliiiiil, .Lfunc_end89-_ZL15flash_attn_tileILi128ELi128ELi8ELi1ELb1EEvPKcS1_S1_S1_S1_PKiPfP15HIP_vector_typeIfLj2EEffffjfiS5_IjLj3EEiiiiiiiiiiiliiliiiiil
                                        ; -- End function
	.set _ZL15flash_attn_tileILi128ELi128ELi8ELi1ELb1EEvPKcS1_S1_S1_S1_PKiPfP15HIP_vector_typeIfLj2EEffffjfiS5_IjLj3EEiiiiiiiiiiiliiliiiiil.num_vgpr, 128
	.set _ZL15flash_attn_tileILi128ELi128ELi8ELi1ELb1EEvPKcS1_S1_S1_S1_PKiPfP15HIP_vector_typeIfLj2EEffffjfiS5_IjLj3EEiiiiiiiiiiiliiliiiiil.num_agpr, 0
	.set _ZL15flash_attn_tileILi128ELi128ELi8ELi1ELb1EEvPKcS1_S1_S1_S1_PKiPfP15HIP_vector_typeIfLj2EEffffjfiS5_IjLj3EEiiiiiiiiiiiliiliiiiil.numbered_sgpr, 53
	.set _ZL15flash_attn_tileILi128ELi128ELi8ELi1ELb1EEvPKcS1_S1_S1_S1_PKiPfP15HIP_vector_typeIfLj2EEffffjfiS5_IjLj3EEiiiiiiiiiiiliiliiiiil.num_named_barrier, 0
	.set _ZL15flash_attn_tileILi128ELi128ELi8ELi1ELb1EEvPKcS1_S1_S1_S1_PKiPfP15HIP_vector_typeIfLj2EEffffjfiS5_IjLj3EEiiiiiiiiiiiliiliiiiil.private_seg_size, 32
	.set _ZL15flash_attn_tileILi128ELi128ELi8ELi1ELb1EEvPKcS1_S1_S1_S1_PKiPfP15HIP_vector_typeIfLj2EEffffjfiS5_IjLj3EEiiiiiiiiiiiliiliiiiil.uses_vcc, 1
	.set _ZL15flash_attn_tileILi128ELi128ELi8ELi1ELb1EEvPKcS1_S1_S1_S1_PKiPfP15HIP_vector_typeIfLj2EEffffjfiS5_IjLj3EEiiiiiiiiiiiliiliiiiil.uses_flat_scratch, 1
	.set _ZL15flash_attn_tileILi128ELi128ELi8ELi1ELb1EEvPKcS1_S1_S1_S1_PKiPfP15HIP_vector_typeIfLj2EEffffjfiS5_IjLj3EEiiiiiiiiiiiliiliiiiil.has_dyn_sized_stack, 0
	.set _ZL15flash_attn_tileILi128ELi128ELi8ELi1ELb1EEvPKcS1_S1_S1_S1_PKiPfP15HIP_vector_typeIfLj2EEffffjfiS5_IjLj3EEiiiiiiiiiiiliiliiiiil.has_recursion, 0
	.set _ZL15flash_attn_tileILi128ELi128ELi8ELi1ELb1EEvPKcS1_S1_S1_S1_PKiPfP15HIP_vector_typeIfLj2EEffffjfiS5_IjLj3EEiiiiiiiiiiiliiliiiiil.has_indirect_call, 0
	.section	.AMDGPU.csdata,"",@progbits
; Kernel info:
; codeLenInByte = 30576
; TotalNumSgprs: 55
; NumVgprs: 128
; ScratchSize: 32
; MemoryBound: 0
; FloatMode: 240
; IeeeMode: 1
; LDSByteSize: 12288 bytes/workgroup (compile time only)
; SGPRBlocks: 0
; VGPRBlocks: 15
; NumSGPRsForWavesPerEU: 55
; NumVGPRsForWavesPerEU: 128
; Occupancy: 8
; WaveLimiterHint : 1
; COMPUTE_PGM_RSRC2:SCRATCH_EN: 1
; COMPUTE_PGM_RSRC2:USER_SGPR: 8
; COMPUTE_PGM_RSRC2:TRAP_HANDLER: 0
; COMPUTE_PGM_RSRC2:TGID_X_EN: 1
; COMPUTE_PGM_RSRC2:TGID_Y_EN: 1
; COMPUTE_PGM_RSRC2:TGID_Z_EN: 1
; COMPUTE_PGM_RSRC2:TIDIG_COMP_CNT: 1
	.section	.text._ZL15flash_attn_tileILi128ELi128ELi4ELi1ELb1EEvPKcS1_S1_S1_S1_PKiPfP15HIP_vector_typeIfLj2EEffffjfiS5_IjLj3EEiiiiiiiiiiiliiliiiiil,"axG",@progbits,_ZL15flash_attn_tileILi128ELi128ELi4ELi1ELb1EEvPKcS1_S1_S1_S1_PKiPfP15HIP_vector_typeIfLj2EEffffjfiS5_IjLj3EEiiiiiiiiiiiliiliiiiil,comdat
	.globl	_ZL15flash_attn_tileILi128ELi128ELi4ELi1ELb1EEvPKcS1_S1_S1_S1_PKiPfP15HIP_vector_typeIfLj2EEffffjfiS5_IjLj3EEiiiiiiiiiiiliiliiiiil ; -- Begin function _ZL15flash_attn_tileILi128ELi128ELi4ELi1ELb1EEvPKcS1_S1_S1_S1_PKiPfP15HIP_vector_typeIfLj2EEffffjfiS5_IjLj3EEiiiiiiiiiiiliiliiiiil
	.p2align	8
	.type	_ZL15flash_attn_tileILi128ELi128ELi4ELi1ELb1EEvPKcS1_S1_S1_S1_PKiPfP15HIP_vector_typeIfLj2EEffffjfiS5_IjLj3EEiiiiiiiiiiiliiliiiiil,@function
_ZL15flash_attn_tileILi128ELi128ELi4ELi1ELb1EEvPKcS1_S1_S1_S1_PKiPfP15HIP_vector_typeIfLj2EEffffjfiS5_IjLj3EEiiiiiiiiiiiliiliiiiil: ; @_ZL15flash_attn_tileILi128ELi128ELi4ELi1ELb1EEvPKcS1_S1_S1_S1_PKiPfP15HIP_vector_typeIfLj2EEffffjfiS5_IjLj3EEiiiiiiiiiiiliiliiiiil
; %bb.0:
	s_add_u32 s6, s6, s11
	s_addc_u32 s7, s7, 0
	s_setreg_b32 hwreg(HW_REG_FLAT_SCR_LO), s6
	s_setreg_b32 hwreg(HW_REG_FLAT_SCR_HI), s7
	s_clause 0x1
	s_load_dwordx4 s[28:31], s[4:5], 0x5c
	s_load_dwordx2 s[44:45], s[4:5], 0x80
	s_add_u32 s0, s0, s11
	s_addc_u32 s1, s1, 0
	s_mov_b32 s34, s9
	s_load_dwordx2 s[46:47], s[4:5], 0xb8
	s_mov_b64 s[42:43], 0
	s_waitcnt lgkmcnt(0)
	v_cvt_f32_u32_e32 v2, s31
	s_sub_i32 s7, 0, s31
	v_rcp_iflag_f32_e32 v2, v2
	v_mul_f32_e32 v2, 0x4f7ffffe, v2
	v_cvt_u32_f32_e32 v2, v2
	v_readfirstlane_b32 s6, v2
	s_mul_i32 s7, s7, s6
	s_mul_hi_u32 s7, s6, s7
	s_add_i32 s6, s6, s7
	s_mul_hi_u32 s6, s10, s6
	s_mul_i32 s7, s6, s31
	s_add_i32 s9, s6, 1
	s_sub_i32 s7, s10, s7
	s_sub_i32 s11, s7, s31
	s_cmp_ge_u32 s7, s31
	s_cselect_b32 s6, s9, s6
	s_cselect_b32 s7, s11, s7
	s_add_i32 s9, s6, 1
	s_cmp_ge_u32 s7, s31
	s_cselect_b32 s33, s9, s6
	s_abs_i32 s6, s45
	s_abs_i32 s12, s31
	v_cvt_f32_u32_e32 v2, s6
	s_sub_i32 s9, 0, s6
	s_mul_i32 s11, s33, s31
	s_sub_i32 s40, s10, s11
	v_rcp_iflag_f32_e32 v2, v2
	v_mul_f32_e32 v2, 0x4f7ffffe, v2
	v_cvt_u32_f32_e32 v2, v2
	v_readfirstlane_b32 s7, v2
	s_mul_i32 s9, s9, s7
	s_mul_hi_u32 s9, s7, s9
	s_add_i32 s7, s7, s9
	s_xor_b32 s9, s31, s45
	s_mul_hi_u32 s7, s12, s7
	s_ashr_i32 s9, s9, 31
	s_mul_i32 s10, s7, s6
	s_add_i32 s11, s7, 1
	s_sub_i32 s10, s12, s10
	s_sub_i32 s12, s10, s6
	s_cmp_ge_u32 s10, s6
	s_cselect_b32 s7, s11, s7
	s_cselect_b32 s10, s12, s10
	s_add_i32 s11, s7, 1
	s_cmp_ge_u32 s10, s6
	s_load_dwordx16 s[12:27], s[4:5], 0x0
	s_cselect_b32 s6, s11, s7
	s_abs_i32 s45, s40
	s_xor_b32 s6, s6, s9
	s_sub_i32 s10, s6, s9
	s_abs_i32 s35, s10
	v_cvt_f32_u32_e32 v2, s35
	s_sub_i32 s7, 0, s35
	v_rcp_iflag_f32_e32 v2, v2
	v_mul_f32_e32 v2, 0x4f7ffffe, v2
	v_cvt_u32_f32_e32 v2, v2
	v_readfirstlane_b32 s6, v2
	s_mul_i32 s7, s7, s6
	s_mul_hi_u32 s7, s6, s7
	s_add_i32 s6, s6, s7
	s_waitcnt lgkmcnt(0)
	s_cmp_eq_u64 s[18:19], 0
	s_cbranch_scc1 .LBB90_2
; %bb.1:
	s_abs_i32 s7, s46
	s_abs_i32 s38, s33
	v_cvt_f32_u32_e32 v2, s7
	s_sub_i32 s11, 0, s7
	s_load_dwordx2 s[36:37], s[4:5], 0xc8
	v_rcp_iflag_f32_e32 v2, v2
	v_mul_f32_e32 v2, 0x4f7ffffe, v2
	v_cvt_u32_f32_e32 v2, v2
	v_readfirstlane_b32 s9, v2
	s_mul_i32 s11, s11, s9
	s_mul_hi_u32 s11, s9, s11
	s_add_i32 s9, s9, s11
	s_ashr_i32 s11, s33, 31
	s_mul_hi_u32 s9, s38, s9
	s_mul_i32 s9, s9, s7
	s_sub_i32 s9, s38, s9
	s_sub_i32 s38, s9, s7
	s_cmp_ge_u32 s9, s7
	s_cselect_b32 s9, s38, s9
	s_sub_i32 s38, s9, s7
	s_cmp_ge_u32 s9, s7
	s_cselect_b32 s7, s38, s9
	s_xor_b32 s7, s7, s11
	s_sub_i32 s7, s7, s11
	s_ashr_i32 s9, s7, 31
	s_waitcnt lgkmcnt(0)
	s_mul_hi_u32 s11, s36, s7
	s_mul_i32 s9, s36, s9
	s_add_i32 s9, s11, s9
	s_mul_i32 s11, s37, s7
	s_mul_i32 s7, s36, s7
	s_add_i32 s9, s9, s11
	s_add_u32 s42, s18, s7
	s_addc_u32 s43, s19, s9
.LBB90_2:
	s_clause 0x1
	s_load_dwordx4 s[36:39], s[4:5], 0x40
	s_load_dwordx2 s[18:19], s[4:5], 0x50
	v_mov_b32_e32 v39, 1.0
	s_waitcnt lgkmcnt(0)
	v_cmp_le_f32_e64 s7, s37, 0
	s_mul_hi_u32 s37, s45, s6
	s_and_b32 vcc_lo, exec_lo, s7
	s_cbranch_vccnz .LBB90_4
; %bb.3:
	v_sub_co_u32 v3, vcc_lo, s40, s18
	v_mov_b32_e32 v2, s38
	s_add_i32 s6, s40, 1
	v_lshlrev_b32_e32 v3, 1, v3
	v_cndmask_b32_e32 v2, s39, v2, vcc_lo
	v_or_b32_e32 v3, 1, v3
	v_cndmask_b32_e64 v3, v3, s6, vcc_lo
	v_cmp_neq_f32_e32 vcc_lo, 1.0, v2
	s_mov_b32 s6, 0x3e76c4e1
	v_cvt_f32_i32_e32 v3, v3
	v_cndmask_b32_e32 v4, 1.0, v3, vcc_lo
	v_cmp_neq_f32_e32 vcc_lo, 0, v4
	v_cndmask_b32_e32 v5, 1.0, v2, vcc_lo
	v_frexp_mant_f32_e64 v2, |v5|
	v_cmp_eq_f32_e64 s9, 0, v5
	v_cmp_gt_f32_e32 vcc_lo, 0x3f2aaaab, v2
	v_cndmask_b32_e64 v3, 1.0, 2.0, vcc_lo
	v_mul_f32_e32 v2, v2, v3
	v_add_f32_e32 v3, 1.0, v2
	v_add_f32_e32 v7, -1.0, v2
	v_rcp_f32_e32 v6, v3
	v_add_f32_e32 v9, -1.0, v3
	v_sub_f32_e32 v2, v2, v9
	v_mul_f32_e32 v8, v7, v6
	v_mul_f32_e32 v10, v3, v8
	v_fma_f32 v3, v8, v3, -v10
	v_fmac_f32_e32 v3, v8, v2
	v_add_f32_e32 v2, v10, v3
	v_sub_f32_e32 v9, v7, v2
	v_sub_f32_e32 v10, v2, v10
	;; [unrolled: 1-line block ×5, first 2 shown]
	v_add_f32_e32 v2, v3, v2
	v_add_f32_e32 v2, v9, v2
	v_mul_f32_e32 v2, v6, v2
	v_add_f32_e32 v6, v8, v2
	v_sub_f32_e32 v3, v6, v8
	v_mul_f32_e32 v7, v6, v6
	v_sub_f32_e32 v8, v2, v3
	v_fma_f32 v2, v6, v6, -v7
	v_add_f32_e32 v3, v8, v8
	v_fmac_f32_e32 v2, v6, v3
	v_add_f32_e32 v9, v7, v2
	v_fmaak_f32 v3, s6, v9, 0x3e91f4c4
	v_sub_f32_e32 v7, v9, v7
	v_mul_f32_e32 v14, v6, v9
	v_fmaak_f32 v3, v9, v3, 0x3ecccdef
	v_sub_f32_e32 v7, v2, v7
	v_fma_f32 v15, v9, v6, -v14
	v_mul_f32_e32 v10, v9, v3
	v_fmac_f32_e32 v15, v9, v8
	v_ldexp_f32 v8, v8, 1
	v_fma_f32 v11, v9, v3, -v10
	v_fmac_f32_e32 v15, v7, v6
	v_fmac_f32_e32 v11, v7, v3
	v_cvt_f64_f32_e64 v[2:3], |v5|
	v_add_f32_e32 v12, v10, v11
	v_sub_f32_e32 v10, v12, v10
	v_add_f32_e32 v13, 0x3f2aaaaa, v12
	v_sub_f32_e32 v10, v11, v10
	v_add_f32_e32 v11, 0xbf2aaaaa, v13
	v_add_f32_e32 v10, 0x31739010, v10
	v_sub_f32_e32 v11, v12, v11
	v_frexp_exp_i32_f64_e32 v2, v[2:3]
	v_add_f32_e32 v9, v10, v11
	v_add_f32_e32 v10, v14, v15
	;; [unrolled: 1-line block ×3, first 2 shown]
	v_sub_f32_e32 v12, v10, v14
	v_sub_f32_e32 v3, v13, v7
	v_mul_f32_e32 v11, v10, v7
	v_sub_f32_e32 v12, v15, v12
	v_add_f32_e32 v3, v9, v3
	v_fma_f32 v9, v10, v7, -v11
	v_subrev_co_ci_u32_e64 v2, null, 0, v2, vcc_lo
	v_fmac_f32_e32 v9, v10, v3
	v_ldexp_f32 v3, v6, 1
	v_cvt_f32_i32_e32 v2, v2
	v_fmac_f32_e32 v9, v12, v7
	v_add_f32_e32 v6, v11, v9
	v_add_f32_e32 v7, v3, v6
	v_sub_f32_e32 v10, v6, v11
	v_mul_f32_e32 v11, 0x3f317218, v2
	v_sub_f32_e32 v3, v7, v3
	v_sub_f32_e32 v9, v9, v10
	v_fma_f32 v10, 0x3f317218, v2, -v11
	v_sub_f32_e32 v3, v6, v3
	v_add_f32_e32 v6, v8, v9
	v_fmamk_f32 v2, v2, 0xb102e308, v10
	v_add_f32_e32 v3, v6, v3
	v_add_f32_e32 v6, v11, v2
	;; [unrolled: 1-line block ×3, first 2 shown]
	v_sub_f32_e32 v11, v6, v11
	v_add_f32_e32 v9, v6, v8
	v_sub_f32_e32 v7, v8, v7
	v_sub_f32_e32 v2, v2, v11
	;; [unrolled: 1-line block ×6, first 2 shown]
	v_add_f32_e32 v8, v2, v3
	v_sub_f32_e32 v6, v6, v12
	v_add_f32_e32 v6, v7, v6
	v_sub_f32_e32 v7, v8, v2
	v_add_f32_e32 v6, v8, v6
	v_sub_f32_e32 v8, v8, v7
	v_sub_f32_e32 v3, v3, v7
	v_add_f32_e32 v10, v9, v6
	v_sub_f32_e32 v2, v2, v8
	v_sub_f32_e32 v7, v10, v9
	v_add_f32_e32 v2, v3, v2
	v_sub_f32_e32 v3, v6, v7
	v_add_f32_e32 v2, v2, v3
	v_add_f32_e32 v3, v10, v2
	v_sub_f32_e32 v6, v3, v10
	v_mul_f32_e32 v7, v4, v3
	v_sub_f32_e32 v2, v2, v6
	v_fma_f32 v3, v4, v3, -v7
	v_cmp_class_f32_e64 vcc_lo, v7, 0x204
	v_fmac_f32_e32 v3, v4, v2
	v_add_f32_e32 v2, v7, v3
	v_cndmask_b32_e32 v6, v2, v7, vcc_lo
	v_sub_f32_e32 v2, v2, v7
	v_cmp_eq_f32_e32 vcc_lo, 0x42b17218, v6
	v_sub_f32_e32 v2, v3, v2
	v_cndmask_b32_e64 v8, 0, 0x37000000, vcc_lo
	v_cmp_neq_f32_e64 vcc_lo, 0x7f800000, |v6|
	v_sub_f32_e32 v9, v6, v8
	v_cndmask_b32_e32 v2, 0, v2, vcc_lo
	v_trunc_f32_e32 v6, v4
	v_mul_f32_e32 v10, 0x3fb8aa3b, v9
	v_cmp_ngt_f32_e32 vcc_lo, 0xc2ce8ed0, v9
	v_add_f32_e32 v2, v8, v2
	v_fma_f32 v11, 0x3fb8aa3b, v9, -v10
	v_rndne_f32_e32 v12, v10
	v_fmamk_f32 v11, v9, 0x32a5705f, v11
	v_sub_f32_e32 v10, v10, v12
	v_cvt_i32_f32_e32 v7, v12
	v_add_f32_e32 v10, v10, v11
	v_exp_f32_e32 v10, v10
	v_ldexp_f32 v3, v10, v7
	v_mul_f32_e32 v7, 0.5, v4
	v_cndmask_b32_e32 v3, 0, v3, vcc_lo
	v_cmp_nlt_f32_e32 vcc_lo, 0x42b17218, v9
	v_trunc_f32_e32 v10, v7
	v_cndmask_b32_e32 v3, 0x7f800000, v3, vcc_lo
	v_cmp_eq_f32_e32 vcc_lo, v6, v4
	v_cmp_neq_f32_e64 s6, v10, v7
	v_fma_f32 v2, v3, v2, v3
	v_cmp_class_f32_e64 s7, v3, 0x204
	s_and_b32 s6, vcc_lo, s6
	v_cndmask_b32_e64 v6, 1.0, v5, s6
	v_cndmask_b32_e64 v2, v2, v3, s7
	v_cmp_gt_f32_e64 s7, 0, v4
	v_bfi_b32 v2, 0x7fffffff, v2, v6
	s_xor_b32 s7, s7, s9
	v_cndmask_b32_e64 v6, 0, v5, s6
	v_cndmask_b32_e64 v3, 0x7f800000, 0, s7
	v_cmp_class_f32_e64 s6, v5, 0x204
	v_cndmask_b32_e32 v4, 0x7fc00000, v2, vcc_lo
	v_cmp_gt_f32_e32 vcc_lo, 0, v5
	v_bfi_b32 v3, 0x7fffffff, v3, v6
	v_cndmask_b32_e32 v2, v2, v4, vcc_lo
	s_or_b32 vcc_lo, s9, s6
	v_cndmask_b32_e32 v2, v2, v3, vcc_lo
	v_cmp_o_f32_e32 vcc_lo, v5, v5
	v_cndmask_b32_e32 v39, 0x7fc00000, v2, vcc_lo
.LBB90_4:
	v_lshl_add_u32 v14, s8, 2, v1
	s_load_dwordx4 s[48:51], s[4:5], 0x70
	s_ashr_i32 s41, s40, 31
	v_lshlrev_b32_e32 v35, 3, v0
	v_lshl_add_u32 v42, v1, 8, 0x2400
	v_mul_hi_u32 v2, s28, v14
	s_ashr_i32 s28, s10, 31
	v_mov_b32_e32 v13, 0
	v_add_nc_u32_e32 v6, v42, v35
	v_add_nc_u32_e32 v2, v14, v2
	v_lshrrev_b32_e32 v2, s29, v2
	s_waitcnt lgkmcnt(0)
	s_mul_i32 s6, s33, s50
	s_mul_i32 s7, s40, s49
	v_mul_lo_u32 v2, v2, s30
	s_ashr_i32 s9, s6, 31
	s_add_u32 s6, s12, s6
	s_addc_u32 s9, s13, s9
	s_ashr_i32 s10, s7, 31
	s_add_u32 s11, s6, s7
	s_addc_u32 s9, s9, s10
	s_ashr_i32 s49, s48, 31
	v_sub_nc_u32_e32 v41, v14, v2
	s_lshr_b64 s[6:7], s[48:49], 2
	s_mov_b32 s7, 0
	v_mad_u64_u32 v[2:3], null, s6, v41, 0
	s_lshr_b32 s6, s49, 2
	s_cmp_eq_u64 s[22:23], 0
	v_mad_u64_u32 v[3:4], null, s6, v41, v[3:4]
	v_lshlrev_b32_e32 v4, 4, v0
	v_lshlrev_b64 v[2:3], 2, v[2:3]
	v_add_co_u32 v2, vcc_lo, s11, v2
	v_add_co_ci_u32_e64 v3, null, s9, v3, vcc_lo
	v_add_co_u32 v2, vcc_lo, v2, v4
	v_add_co_ci_u32_e64 v3, null, 0, v3, vcc_lo
	global_load_dwordx4 v[2:5], v[2:3], off
	s_waitcnt vmcnt(0)
	v_fma_mixlo_f16 v3, s36, v3, 0
	v_fma_mixlo_f16 v2, s36, v2, 0
	;; [unrolled: 1-line block ×4, first 2 shown]
	v_lshlrev_b32_e32 v3, 16, v3
	v_and_b32_e32 v2, 0xffff, v2
	v_and_b32_e32 v4, 0xffff, v4
	v_lshlrev_b32_e32 v5, 16, v5
	v_or_b32_e32 v2, v3, v2
	v_or3_b32 v3, v5, v4, 0
	v_or3_b32 v2, 0, 0, v2
	ds_write_b64 v6, v[2:3]
	s_waitcnt lgkmcnt(0)
	s_barrier
	buffer_gl0_inv
	s_cbranch_scc1 .LBB90_6
; %bb.5:
	s_load_dword s6, s[4:5], 0xd0
	s_waitcnt lgkmcnt(0)
	s_mul_i32 s6, s6, s33
	s_add_i32 s6, s6, s8
	s_lshl_b64 s[6:7], s[6:7], 2
	s_add_u32 s6, s22, s6
	s_addc_u32 s7, s23, s7
	s_load_dword s44, s[6:7], 0x0
.LBB90_6:
	s_clause 0x1
	s_load_dwordx2 s[6:7], s[4:5], 0x8c
	s_load_dwordx4 s[8:11], s[4:5], 0x98
	s_ashr_i32 s29, s33, 31
	s_load_dwordx2 s[12:13], s[4:5], 0xa8
	s_ashr_i32 s22, s47, 1
	s_mul_i32 s36, s37, s35
	v_lshlrev_b32_e32 v33, 2, v0
	v_lshrrev_b32_e32 v45, 3, v0
	v_mul_u32_u24_e32 v43, 0x90, v0
	v_lshrrev_b32_e32 v36, 4, v0
	v_mbcnt_lo_u32_b32 v34, -1, 0
	v_and_b32_e32 v44, 28, v33
	v_and_b32_e32 v38, 60, v33
	s_waitcnt lgkmcnt(0)
	s_ashr_i32 s23, s6, 2
	s_ashr_i32 s18, s10, 2
	s_mul_hi_u32 s6, s8, s33
	s_mul_i32 s10, s8, s29
	s_mul_i32 s9, s9, s33
	s_add_i32 s6, s6, s10
	s_mul_i32 s8, s8, s33
	s_add_i32 s6, s6, s9
	s_add_u32 s8, s14, s8
	s_addc_u32 s6, s15, s6
	s_sub_i32 s10, s45, s36
	s_xor_b32 s9, s41, s28
	s_add_i32 s14, s37, 1
	s_sub_i32 s15, s10, s35
	s_cmp_ge_u32 s10, s35
	s_mul_i32 s13, s13, s33
	s_cselect_b32 s14, s14, s37
	s_cselect_b32 s10, s15, s10
	s_add_i32 s15, s14, 1
	s_cmp_ge_u32 s10, s35
	s_cselect_b32 s10, s15, s14
	s_mul_hi_u32 s14, s12, s33
	s_xor_b32 s10, s10, s9
	s_mul_i32 s15, s12, s29
	s_sub_i32 s10, s10, s9
	s_mul_i32 s12, s12, s33
	s_mul_i32 s7, s10, s7
	;; [unrolled: 1-line block ×3, first 2 shown]
	s_ashr_i32 s9, s7, 31
	s_add_u32 s8, s8, s7
	s_addc_u32 s9, s6, s9
	s_add_i32 s6, s14, s15
	s_add_i32 s6, s6, s13
	s_add_u32 s7, s16, s12
	s_addc_u32 s6, s17, s6
	s_ashr_i32 s12, s10, 31
	s_add_u32 s11, s7, s10
	s_addc_u32 s14, s6, s12
	s_lshl_b32 s10, s34, 6
	s_sub_i32 s12, s44, 64
	s_cmp_ge_i32 s10, s12
	s_cbranch_scc1 .LBB90_23
; %bb.7:
	v_lshl_add_u32 v3, v1, 2, v45
	v_lshl_add_u32 v7, v1, 1, v36
	s_lshl_b32 s6, s23, 4
	s_cmp_lg_u64 s[42:43], 0
	v_lshlrev_b32_e32 v8, 2, v38
	v_mul_lo_u32 v2, s23, v3
	v_mul_lo_u32 v4, s18, v7
	s_cselect_b32 s13, -1, 0
	s_lshl_b32 s7, s18, 3
	v_lshl_or_b32 v49, v7, 8, v8
	v_lshlrev_b32_e32 v5, 2, v44
	v_lshl_add_u32 v46, v1, 7, 0x2800
	v_mad_u64_u32 v[16:17], null, v41, s22, v[0:1]
	v_add_nc_u32_e32 v6, s6, v2
	v_add_nc_u32_e32 v11, s7, v4
	v_mad_u32_u24 v47, 0x90, v3, v5
	v_ashrrev_i32_e32 v3, 31, v2
	v_ashrrev_i32_e32 v5, 31, v4
	v_add_nc_u32_e32 v8, s6, v6
	v_add_nc_u32_e32 v29, s7, v11
	v_ashrrev_i32_e32 v7, 31, v6
	v_ashrrev_i32_e32 v12, 31, v11
	v_lshlrev_b64 v[17:18], 2, v[2:3]
	v_add_nc_u32_e32 v23, s6, v8
	v_add_nc_u32_e32 v31, s7, v29
	v_ashrrev_i32_e32 v9, 31, v8
	v_ashrrev_i32_e32 v30, 31, v29
	v_lshlrev_b64 v[19:20], 2, v[6:7]
	v_ashrrev_i32_e32 v24, 31, v23
	v_ashrrev_i32_e32 v32, 31, v31
	v_lshlrev_b64 v[21:22], 2, v[8:9]
	v_lshlrev_b64 v[25:26], 2, v[4:5]
	v_lshlrev_b64 v[27:28], 2, v[11:12]
	v_lshlrev_b64 v[23:24], 2, v[23:24]
	v_lshlrev_b64 v[29:30], 2, v[29:30]
	v_lshlrev_b64 v[31:32], 2, v[31:32]
	v_mov_b32_e32 v37, 0
	v_lshl_add_u32 v48, v0, 1, v46
	v_add_nc_u32_e32 v50, 0x900, v47
	v_add_nc_u32_e32 v51, 0x1200, v47
	;; [unrolled: 1-line block ×6, first 2 shown]
	v_mov_b32_e32 v10, 0xfeffffff
	v_lshlrev_b32_e32 v56, 2, v44
	v_lshlrev_b32_e32 v57, 2, v38
	v_mbcnt_lo_u32_b32 v58, -1, 0
	v_mov_b32_e32 v59, 0x10001
	v_mov_b32_e32 v40, 0
	;; [unrolled: 1-line block ×3, first 2 shown]
	s_add_u32 s6, s4, 0xd0
	s_addc_u32 s7, s5, 0
	s_mov_b32 s15, 0xbbbac73d
.LBB90_8:                               ; =>This Inner Loop Header: Depth=1
	s_mul_hi_i32 s17, s10, s23
	s_mul_i32 s16, s10, s23
	v_mov_b32_e32 v11, 0
	s_lshl_b64 s[16:17], s[16:17], 2
	v_mov_b32_e32 v12, 0
	s_add_u32 s16, s8, s16
	s_addc_u32 s17, s9, s17
	v_add_co_u32 v2, vcc_lo, s16, v17
	v_add_co_ci_u32_e64 v3, null, s17, v18, vcc_lo
	v_add_co_u32 v4, vcc_lo, s16, v19
	v_add_co_ci_u32_e64 v5, null, s17, v20, vcc_lo
	;; [unrolled: 2-line block ×8, first 2 shown]
	s_clause 0x3
	global_load_dwordx4 v[61:64], v[2:3], off
	global_load_dwordx4 v[65:68], v[4:5], off
	;; [unrolled: 1-line block ×4, first 2 shown]
	s_waitcnt vmcnt(3)
	ds_write_b128 v47, v[61:64]
	s_waitcnt vmcnt(2)
	ds_write_b128 v50, v[65:68]
	s_waitcnt vmcnt(1)
	ds_write_b128 v51, v[69:72]
	s_waitcnt vmcnt(0)
	ds_write_b128 v52, v[73:76]
	s_waitcnt lgkmcnt(0)
	s_barrier
	buffer_gl0_inv
	ds_read_b128 v[61:64], v43
	ds_read_b128 v[65:68], v42
	ds_read_b128 v[69:72], v43 offset:4608
	s_waitcnt lgkmcnt(1)
	;;#ASMSTART
	v_dot2_f32_f16 v11, v61, v65, v11
	;;#ASMEND
	;;#ASMSTART
	v_dot2_f32_f16 v11, v62, v66, v11
	;;#ASMEND
	;;#ASMSTART
	v_dot2_f32_f16 v11, v63, v67, v11
	;;#ASMEND
	;;#ASMSTART
	v_dot2_f32_f16 v11, v64, v68, v11
	;;#ASMEND
	s_waitcnt lgkmcnt(0)
	;;#ASMSTART
	v_dot2_f32_f16 v12, v69, v65, v12
	;;#ASMEND
	;;#ASMSTART
	v_dot2_f32_f16 v12, v70, v66, v12
	;;#ASMEND
	;;#ASMSTART
	v_dot2_f32_f16 v12, v71, v67, v12
	;;#ASMEND
	;;#ASMSTART
	v_dot2_f32_f16 v12, v72, v68, v12
	;;#ASMEND
	ds_read_b128 v[61:64], v43 offset:16
	ds_read_b128 v[65:68], v42 offset:16
	ds_read_b128 v[69:72], v43 offset:4624
	s_waitcnt lgkmcnt(1)
	;;#ASMSTART
	v_dot2_f32_f16 v11, v61, v65, v11
	;;#ASMEND
	;;#ASMSTART
	v_dot2_f32_f16 v11, v62, v66, v11
	;;#ASMEND
	;;#ASMSTART
	v_dot2_f32_f16 v11, v63, v67, v11
	;;#ASMEND
	;;#ASMSTART
	v_dot2_f32_f16 v11, v64, v68, v11
	;;#ASMEND
	s_waitcnt lgkmcnt(0)
	;;#ASMSTART
	v_dot2_f32_f16 v12, v69, v65, v12
	;;#ASMEND
	;;#ASMSTART
	v_dot2_f32_f16 v12, v70, v66, v12
	;;#ASMEND
	;;#ASMSTART
	v_dot2_f32_f16 v12, v71, v67, v12
	;;#ASMEND
	;;#ASMSTART
	v_dot2_f32_f16 v12, v72, v68, v12
	;;#ASMEND
	ds_read_b128 v[61:64], v43 offset:32
	ds_read_b128 v[65:68], v42 offset:32
	;; [unrolled: 29-line block ×7, first 2 shown]
	ds_read_b128 v[69:72], v43 offset:4720
	s_waitcnt lgkmcnt(1)
	;;#ASMSTART
	v_dot2_f32_f16 v11, v61, v65, v11
	;;#ASMEND
	;;#ASMSTART
	v_dot2_f32_f16 v11, v62, v66, v11
	;;#ASMEND
	;;#ASMSTART
	v_dot2_f32_f16 v11, v63, v67, v11
	;;#ASMEND
	;;#ASMSTART
	v_dot2_f32_f16 v11, v64, v68, v11
	;;#ASMEND
	s_waitcnt lgkmcnt(0)
	;;#ASMSTART
	v_dot2_f32_f16 v12, v69, v65, v12
	;;#ASMEND
	;;#ASMSTART
	v_dot2_f32_f16 v12, v70, v66, v12
	;;#ASMEND
	;; [unrolled: 3-line block ×4, first 2 shown]
	s_barrier
	buffer_gl0_inv
	s_clause 0x3
	global_load_dwordx4 v[61:64], v[2:3], off offset:128
	global_load_dwordx4 v[2:5], v[4:5], off offset:128
	;; [unrolled: 1-line block ×4, first 2 shown]
	s_waitcnt vmcnt(3)
	ds_write_b128 v47, v[61:64]
	s_waitcnt vmcnt(2)
	ds_write_b128 v50, v[2:5]
	;; [unrolled: 2-line block ×4, first 2 shown]
	s_waitcnt lgkmcnt(0)
	s_barrier
	buffer_gl0_inv
	ds_read_b128 v[2:5], v43
	ds_read_b128 v[6:9], v42 offset:128
	ds_read_b128 v[61:64], v43 offset:4608
	s_waitcnt lgkmcnt(1)
	;;#ASMSTART
	v_dot2_f32_f16 v11, v2, v6, v11
	;;#ASMEND
	;;#ASMSTART
	v_dot2_f32_f16 v11, v3, v7, v11
	;;#ASMEND
	;;#ASMSTART
	v_dot2_f32_f16 v11, v4, v8, v11
	;;#ASMEND
	;;#ASMSTART
	v_dot2_f32_f16 v11, v5, v9, v11
	;;#ASMEND
	s_waitcnt lgkmcnt(0)
	;;#ASMSTART
	v_dot2_f32_f16 v12, v61, v6, v12
	;;#ASMEND
	;;#ASMSTART
	v_dot2_f32_f16 v12, v62, v7, v12
	;;#ASMEND
	;;#ASMSTART
	v_dot2_f32_f16 v12, v63, v8, v12
	;;#ASMEND
	;;#ASMSTART
	v_dot2_f32_f16 v12, v64, v9, v12
	;;#ASMEND
	ds_read_b128 v[2:5], v43 offset:16
	ds_read_b128 v[6:9], v42 offset:144
	ds_read_b128 v[61:64], v43 offset:4624
	s_waitcnt lgkmcnt(1)
	;;#ASMSTART
	v_dot2_f32_f16 v11, v2, v6, v11
	;;#ASMEND
	;;#ASMSTART
	v_dot2_f32_f16 v11, v3, v7, v11
	;;#ASMEND
	;;#ASMSTART
	v_dot2_f32_f16 v11, v4, v8, v11
	;;#ASMEND
	;;#ASMSTART
	v_dot2_f32_f16 v11, v5, v9, v11
	;;#ASMEND
	s_waitcnt lgkmcnt(0)
	;;#ASMSTART
	v_dot2_f32_f16 v12, v61, v6, v12
	;;#ASMEND
	;;#ASMSTART
	v_dot2_f32_f16 v12, v62, v7, v12
	;;#ASMEND
	;;#ASMSTART
	v_dot2_f32_f16 v12, v63, v8, v12
	;;#ASMEND
	;;#ASMSTART
	v_dot2_f32_f16 v12, v64, v9, v12
	;;#ASMEND
	ds_read_b128 v[2:5], v43 offset:32
	;; [unrolled: 29-line block ×7, first 2 shown]
	ds_read_b128 v[6:9], v42 offset:240
	ds_read_b128 v[61:64], v43 offset:4720
	s_waitcnt lgkmcnt(1)
	;;#ASMSTART
	v_dot2_f32_f16 v11, v2, v6, v11
	;;#ASMEND
	;;#ASMSTART
	v_dot2_f32_f16 v11, v3, v7, v11
	;;#ASMEND
	;; [unrolled: 3-line block ×4, first 2 shown]
	v_cmp_ngt_f32_e64 s16, 0x3f200000, |v11|
	s_waitcnt lgkmcnt(0)
	;;#ASMSTART
	v_dot2_f32_f16 v12, v61, v6, v12
	;;#ASMEND
	;;#ASMSTART
	v_dot2_f32_f16 v12, v62, v7, v12
	;;#ASMEND
	;;#ASMSTART
	v_dot2_f32_f16 v12, v63, v8, v12
	;;#ASMEND
	;;#ASMSTART
	v_dot2_f32_f16 v12, v64, v9, v12
	;;#ASMEND
                                        ; implicit-def: $vgpr4
	s_and_saveexec_b32 s17, s16
	s_xor_b32 s16, exec_lo, s17
	s_cbranch_execz .LBB90_10
; %bb.9:                                ;   in Loop: Header=BB90_8 Depth=1
	v_add_f32_e64 v2, |v11|, |v11|
	v_mul_f32_e32 v3, 0x3fb8aa3b, v2
	v_cmp_ngt_f32_e32 vcc_lo, 0xc2ce8ed0, v2
	v_rndne_f32_e32 v4, v3
	v_fma_f32 v5, 0x3fb8aa3b, v2, -v3
	v_sub_f32_e32 v3, v3, v4
	v_fmac_f32_e32 v5, 0x32a5705f, v2
	v_cvt_i32_f32_e32 v4, v4
	v_add_f32_e32 v3, v3, v5
	v_exp_f32_e32 v3, v3
	v_ldexp_f32 v3, v3, v4
	v_cndmask_b32_e32 v3, 0, v3, vcc_lo
	v_cmp_nlt_f32_e32 vcc_lo, 0x42b17218, v2
	v_cndmask_b32_e32 v2, 0x7f800000, v3, vcc_lo
	v_add_f32_e32 v2, 1.0, v2
	v_rcp_f32_e32 v2, v2
	v_fma_f32 v4, v2, -2.0, 1.0
.LBB90_10:                              ;   in Loop: Header=BB90_8 Depth=1
	s_andn2_saveexec_b32 s16, s16
	s_cbranch_execz .LBB90_12
; %bb.11:                               ;   in Loop: Header=BB90_8 Depth=1
	v_mul_f32_e32 v2, v11, v11
	v_fmaak_f32 v3, s15, v2, 0x3ca908c9
	v_fmaak_f32 v3, v2, v3, 0xbd5c1c4e
	;; [unrolled: 1-line block ×4, first 2 shown]
	v_mul_f32_e64 v3, |v11|, v3
	v_fma_f32 v4, v2, v3, |v11|
.LBB90_12:                              ;   in Loop: Header=BB90_8 Depth=1
	s_or_b32 exec_lo, exec_lo, s16
	v_add_nc_u32_e32 v2, s10, v16
	s_andn2_b32 vcc_lo, exec_lo, s13
	v_ashrrev_i32_e32 v3, 31, v2
	s_cbranch_vccnz .LBB90_22
; %bb.13:                               ;   in Loop: Header=BB90_8 Depth=1
	v_lshlrev_b64 v[5:6], 1, v[2:3]
	v_add_co_u32 v5, vcc_lo, s42, v5
	v_add_co_ci_u32_e64 v6, null, s43, v6, vcc_lo
	global_load_ushort v5, v[5:6], off
	s_waitcnt vmcnt(0)
	v_cvt_f32_f16_e32 v5, v5
	v_mul_f32_e32 v5, v39, v5
	v_cmp_ngt_f32_e64 s16, 0x3f200000, |v12|
                                        ; implicit-def: $vgpr6
	s_and_saveexec_b32 s17, s16
	s_xor_b32 s16, exec_lo, s17
	s_cbranch_execz .LBB90_15
.LBB90_14:                              ;   in Loop: Header=BB90_8 Depth=1
	v_add_f32_e64 v6, |v12|, |v12|
	v_mul_f32_e32 v7, 0x3fb8aa3b, v6
	v_cmp_ngt_f32_e32 vcc_lo, 0xc2ce8ed0, v6
	v_rndne_f32_e32 v8, v7
	v_fma_f32 v9, 0x3fb8aa3b, v6, -v7
	v_sub_f32_e32 v7, v7, v8
	v_fmac_f32_e32 v9, 0x32a5705f, v6
	v_cvt_i32_f32_e32 v8, v8
	v_add_f32_e32 v7, v7, v9
	v_exp_f32_e32 v7, v7
	v_ldexp_f32 v7, v7, v8
	v_cndmask_b32_e32 v7, 0, v7, vcc_lo
	v_cmp_nlt_f32_e32 vcc_lo, 0x42b17218, v6
	v_cndmask_b32_e32 v6, 0x7f800000, v7, vcc_lo
	v_add_f32_e32 v6, 1.0, v6
	v_rcp_f32_e32 v6, v6
	v_fma_f32 v6, v6, -2.0, 1.0
.LBB90_15:                              ;   in Loop: Header=BB90_8 Depth=1
	s_andn2_saveexec_b32 s16, s16
	s_cbranch_execz .LBB90_18
; %bb.16:                               ;   in Loop: Header=BB90_8 Depth=1
	v_mul_f32_e32 v6, v12, v12
	v_fmaak_f32 v7, s15, v6, 0x3ca908c9
	v_fmaak_f32 v7, v6, v7, 0xbd5c1c4e
	;; [unrolled: 1-line block ×4, first 2 shown]
	v_mul_f32_e64 v7, |v12|, v7
	v_fma_f32 v6, v6, v7, |v12|
	s_or_b32 exec_lo, exec_lo, s16
	s_andn2_b32 vcc_lo, exec_lo, s13
	s_cbranch_vccz .LBB90_19
.LBB90_17:                              ;   in Loop: Header=BB90_8 Depth=1
	v_mov_b32_e32 v2, 0
	s_branch .LBB90_20
.LBB90_18:                              ;   in Loop: Header=BB90_8 Depth=1
	s_or_b32 exec_lo, exec_lo, s16
	s_andn2_b32 vcc_lo, exec_lo, s13
	s_cbranch_vccnz .LBB90_17
.LBB90_19:                              ;   in Loop: Header=BB90_8 Depth=1
	v_lshlrev_b64 v[2:3], 1, v[2:3]
	v_add_co_u32 v2, vcc_lo, s42, v2
	v_add_co_ci_u32_e64 v3, null, s43, v3, vcc_lo
	global_load_ushort v2, v[2:3], off offset:64
	s_waitcnt vmcnt(0)
	v_cvt_f32_f16_e32 v2, v2
	v_mul_f32_e32 v2, v39, v2
.LBB90_20:                              ;   in Loop: Header=BB90_8 Depth=1
	s_mul_hi_i32 s17, s10, s18
	s_mul_i32 s16, s10, s18
	s_lshl_b64 s[16:17], s[16:17], 2
	s_barrier
	s_add_u32 s16, s11, s16
	s_addc_u32 s17, s14, s17
	v_add_co_u32 v3, vcc_lo, s16, v25
	v_add_co_ci_u32_e64 v8, null, s17, v26, vcc_lo
	v_add_co_u32 v9, vcc_lo, s16, v27
	v_add_co_ci_u32_e64 v13, null, s17, v28, vcc_lo
	v_add_co_u32 v7, vcc_lo, v3, v57
	v_add_co_ci_u32_e64 v8, null, 0, v8, vcc_lo
	v_add_co_u32 v61, vcc_lo, v9, v57
	v_add_co_ci_u32_e64 v62, null, 0, v13, vcc_lo
	v_add_co_u32 v3, vcc_lo, s16, v29
	v_add_co_ci_u32_e64 v9, null, s17, v30, vcc_lo
	v_add_co_u32 v13, vcc_lo, s16, v31
	v_add_co_ci_u32_e64 v15, null, s17, v32, vcc_lo
	v_add_co_u32 v71, vcc_lo, v3, v57
	v_add_co_ci_u32_e64 v72, null, 0, v9, vcc_lo
	v_add_co_u32 v75, vcc_lo, v13, v57
	v_add_co_ci_u32_e64 v76, null, 0, v15, vcc_lo
	buffer_gl0_inv
	s_clause 0x3
	global_load_dwordx4 v[63:66], v[7:8], off
	global_load_dwordx4 v[67:70], v[61:62], off
	;; [unrolled: 1-line block ×4, first 2 shown]
	v_bfi_b32 v3, 0x7fffffff, v4, v11
	v_bfi_b32 v4, 0x7fffffff, v6, v12
	v_xor_b32_e32 v6, 16, v58
	s_or_b32 s16, s10, 32
	v_fmac_f32_e32 v5, s19, v3
	v_fmac_f32_e32 v2, s19, v4
	v_cmp_gt_i32_e32 vcc_lo, 32, v6
	s_mul_hi_i32 s17, s16, s18
	s_mul_i32 s16, s16, s18
	v_add_f32_e32 v4, 0x40051340, v5
	s_lshl_b64 s[16:17], s[16:17], 2
	v_cndmask_b32_e32 v3, v58, v6, vcc_lo
	v_add_f32_e32 v6, 0x40051340, v2
	s_add_u32 s16, s11, s16
	s_addc_u32 s17, s14, s17
	v_lshlrev_b32_e32 v3, 2, v3
	v_max3_f32 v4, v10, v4, v6
	v_xor_b32_e32 v6, 8, v58
	ds_bpermute_b32 v3, v3, v4
	v_cmp_gt_i32_e32 vcc_lo, 32, v6
	v_cndmask_b32_e32 v6, v58, v6, vcc_lo
	v_lshlrev_b32_e32 v6, 2, v6
	s_waitcnt lgkmcnt(0)
	v_max_f32_e32 v3, v3, v3
	v_max_f32_e32 v3, v4, v3
	ds_bpermute_b32 v4, v6, v3
	v_xor_b32_e32 v6, 4, v58
	v_cmp_gt_i32_e32 vcc_lo, 32, v6
	v_cndmask_b32_e32 v6, v58, v6, vcc_lo
	v_lshlrev_b32_e32 v6, 2, v6
	s_waitcnt lgkmcnt(0)
	v_max_f32_e32 v4, v4, v4
	v_max_f32_e32 v3, v3, v4
	ds_bpermute_b32 v4, v6, v3
	v_xor_b32_e32 v6, 2, v58
	;; [unrolled: 8-line block ×3, first 2 shown]
	v_cmp_gt_i32_e32 vcc_lo, 32, v6
	v_cndmask_b32_e32 v6, v58, v6, vcc_lo
	v_lshlrev_b32_e32 v6, 2, v6
	s_waitcnt lgkmcnt(0)
	v_max_f32_e32 v4, v4, v4
	v_max_f32_e32 v3, v3, v4
	ds_bpermute_b32 v4, v6, v3
	s_waitcnt lgkmcnt(0)
	v_max_f32_e32 v4, v4, v4
	v_max_f32_e32 v15, v3, v4
	v_sub_f32_e32 v3, v5, v15
	v_sub_f32_e32 v2, v2, v15
	;; [unrolled: 1-line block ×3, first 2 shown]
	v_mul_f32_e32 v4, 0x3fb8aa3b, v3
	v_mul_f32_e32 v5, 0x3fb8aa3b, v2
	v_cmp_ngt_f32_e32 vcc_lo, 0xc2ce8ed0, v3
	v_fma_f32 v6, 0x3fb8aa3b, v3, -v4
	v_rndne_f32_e32 v7, v4
	v_fma_f32 v8, 0x3fb8aa3b, v2, -v5
	v_rndne_f32_e32 v9, v5
	v_fmac_f32_e32 v6, 0x32a5705f, v3
	v_sub_f32_e32 v4, v4, v7
	v_fmac_f32_e32 v8, 0x32a5705f, v2
	v_sub_f32_e32 v5, v5, v9
	v_cvt_i32_f32_e32 v7, v7
	v_add_f32_e32 v4, v4, v6
	v_mul_f32_e32 v6, 0x3fb8aa3b, v10
	v_add_f32_e32 v5, v5, v8
	v_cvt_i32_f32_e32 v8, v9
	v_exp_f32_e32 v4, v4
	v_fma_f32 v9, 0x3fb8aa3b, v10, -v6
	v_exp_f32_e32 v5, v5
	v_fmac_f32_e32 v9, 0x32a5705f, v10
	v_ldexp_f32 v4, v4, v7
	v_rndne_f32_e32 v7, v6
	v_ldexp_f32 v5, v5, v8
	v_cndmask_b32_e32 v4, 0, v4, vcc_lo
	v_cmp_ngt_f32_e32 vcc_lo, 0xc2ce8ed0, v2
	v_sub_f32_e32 v6, v6, v7
	v_cndmask_b32_e32 v5, 0, v5, vcc_lo
	v_cmp_nlt_f32_e32 vcc_lo, 0x42b17218, v3
	v_cndmask_b32_e32 v61, 0x7f800000, v4, vcc_lo
	v_cmp_nlt_f32_e32 vcc_lo, 0x42b17218, v2
	v_add_f32_e32 v2, v6, v9
	v_cvt_f16_f32_e32 v3, v61
	v_cndmask_b32_e32 v62, 0x7f800000, v5, vcc_lo
	v_exp_f32_e32 v2, v2
	v_cvt_i32_f32_e32 v5, v7
	v_cmp_ngt_f32_e32 vcc_lo, 0xc2ce8ed0, v10
	v_cvt_f16_f32_e32 v4, v62
	ds_write_b16 v48, v3
	ds_write_b16 v48, v4 offset:64
	s_waitcnt vmcnt(3)
	ds_write_b128 v49, v[63:66]
	s_waitcnt vmcnt(2)
	ds_write_b128 v53, v[67:70]
	;; [unrolled: 2-line block ×4, first 2 shown]
	s_waitcnt lgkmcnt(0)
	s_barrier
	buffer_gl0_inv
	ds_read_b128 v[6:9], v46
	v_ldexp_f32 v2, v2, v5
	ds_read2_b64 v[64:67], v35 offset1:32
	v_cndmask_b32_e32 v2, 0, v2, vcc_lo
	v_cmp_nlt_f32_e32 vcc_lo, 0x42b17218, v10
	v_cndmask_b32_e32 v63, 0x7f800000, v2, vcc_lo
	ds_read_b128 v[2:5], v46 offset:16
	ds_read2_b64 v[68:71], v35 offset0:64 offset1:96
	v_cvt_f16_f32_e32 v10, v63
	s_waitcnt lgkmcnt(3)
	v_mul_u32_u24_sdwa v11, v6, v59 dst_sel:DWORD dst_unused:UNUSED_PAD src0_sel:WORD_0 src1_sel:DWORD
	v_mul_u32_u24_sdwa v6, v6, v59 dst_sel:DWORD dst_unused:UNUSED_PAD src0_sel:WORD_1 src1_sel:DWORD
	v_mul_u32_u24_sdwa v72, v10, v59 dst_sel:DWORD dst_unused:UNUSED_PAD src0_sel:WORD_0 src1_sel:DWORD
	s_waitcnt lgkmcnt(2)
	v_pk_mul_f16 v64, v64, v11
	v_pk_mul_f16 v65, v65, v11
	ds_read2_b64 v[10:13], v35 offset0:128 offset1:160
	v_pk_fma_f16 v37, v37, v72, v64
	v_pk_fma_f16 v64, v40, v72, v65
	v_mul_u32_u24_sdwa v72, v7, v59 dst_sel:DWORD dst_unused:UNUSED_PAD src0_sel:WORD_0 src1_sel:DWORD
	v_mul_u32_u24_sdwa v7, v7, v59 dst_sel:DWORD dst_unused:UNUSED_PAD src0_sel:WORD_1 src1_sel:DWORD
	v_add_nc_u32_e32 v40, 0x800, v35
	v_pk_fma_f16 v73, v66, v6, v37
	v_pk_fma_f16 v6, v67, v6, v64
	ds_read2_b64 v[64:67], v35 offset0:192 offset1:224
	v_add_nc_u32_e32 v37, 0x1000, v35
	s_waitcnt lgkmcnt(3)
	v_mul_u32_u24_sdwa v80, v5, v59 dst_sel:DWORD dst_unused:UNUSED_PAD src0_sel:WORD_1 src1_sel:DWORD
	s_waitcnt lgkmcnt(2)
	v_pk_fma_f16 v68, v68, v72, v73
	v_pk_fma_f16 v69, v69, v72, v6
	v_mul_u32_u24_sdwa v72, v8, v59 dst_sel:DWORD dst_unused:UNUSED_PAD src0_sel:WORD_0 src1_sel:DWORD
	v_mul_u32_u24_sdwa v8, v8, v59 dst_sel:DWORD dst_unused:UNUSED_PAD src0_sel:WORD_1 src1_sel:DWORD
	v_add_nc_u32_e32 v6, 0x1800, v35
	v_pk_fma_f16 v68, v70, v7, v68
	v_pk_fma_f16 v7, v71, v7, v69
	s_waitcnt lgkmcnt(1)
	v_pk_fma_f16 v10, v10, v72, v68
	v_pk_fma_f16 v7, v11, v72, v7
	ds_read2_b64 v[68:71], v40 offset1:32
	v_mul_u32_u24_sdwa v11, v9, v59 dst_sel:DWORD dst_unused:UNUSED_PAD src0_sel:WORD_0 src1_sel:DWORD
	v_add_co_u32 v72, vcc_lo, s16, v25
	v_pk_fma_f16 v10, v12, v8, v10
	v_pk_fma_f16 v7, v13, v8, v7
	v_mul_u32_u24_sdwa v12, v9, v59 dst_sel:DWORD dst_unused:UNUSED_PAD src0_sel:WORD_1 src1_sel:DWORD
	v_add_co_ci_u32_e64 v73, null, s17, v26, vcc_lo
	s_waitcnt lgkmcnt(1)
	v_pk_fma_f16 v13, v64, v11, v10
	v_pk_fma_f16 v11, v65, v11, v7
	ds_read2_b64 v[7:10], v40 offset0:64 offset1:96
	v_mul_u32_u24_sdwa v64, v2, v59 dst_sel:DWORD dst_unused:UNUSED_PAD src0_sel:WORD_0 src1_sel:DWORD
	v_mul_u32_u24_sdwa v2, v2, v59 dst_sel:DWORD dst_unused:UNUSED_PAD src0_sel:WORD_1 src1_sel:DWORD
	v_pk_fma_f16 v13, v66, v12, v13
	v_pk_fma_f16 v11, v67, v12, v11
	v_add_co_u32 v74, vcc_lo, s16, v27
	v_add_co_ci_u32_e64 v75, null, s17, v28, vcc_lo
	s_waitcnt lgkmcnt(1)
	v_pk_fma_f16 v12, v68, v64, v13
	v_pk_fma_f16 v11, v69, v64, v11
	ds_read2_b64 v[64:67], v40 offset0:128 offset1:160
	v_mul_u32_u24_sdwa v68, v3, v59 dst_sel:DWORD dst_unused:UNUSED_PAD src0_sel:WORD_0 src1_sel:DWORD
	v_add_co_u32 v13, vcc_lo, s16, v29
	v_pk_fma_f16 v12, v70, v2, v12
	v_pk_fma_f16 v2, v71, v2, v11
	v_mul_u32_u24_sdwa v3, v3, v59 dst_sel:DWORD dst_unused:UNUSED_PAD src0_sel:WORD_1 src1_sel:DWORD
	v_add_co_ci_u32_e64 v76, null, s17, v30, vcc_lo
	s_waitcnt lgkmcnt(1)
	v_pk_fma_f16 v7, v7, v68, v12
	v_pk_fma_f16 v2, v8, v68, v2
	ds_read2_b64 v[68:71], v40 offset0:192 offset1:224
	v_add_co_u32 v77, vcc_lo, s16, v31
	v_add_co_ci_u32_e64 v78, null, s17, v32, vcc_lo
	v_add_co_u32 v11, vcc_lo, v72, v57
	v_add_co_ci_u32_e64 v12, null, 0, v73, vcc_lo
	v_mul_u32_u24_sdwa v72, v4, v59 dst_sel:DWORD dst_unused:UNUSED_PAD src0_sel:WORD_0 src1_sel:DWORD
	v_pk_fma_f16 v73, v9, v3, v7
	v_pk_fma_f16 v2, v10, v3, v2
	ds_read_b128 v[7:10], v46 offset:32
	v_add_co_u32 v92, vcc_lo, v74, v57
	v_add_co_ci_u32_e64 v93, null, 0, v75, vcc_lo
	v_mul_u32_u24_sdwa v3, v4, v59 dst_sel:DWORD dst_unused:UNUSED_PAD src0_sel:WORD_1 src1_sel:DWORD
	s_waitcnt lgkmcnt(2)
	v_pk_fma_f16 v4, v64, v72, v73
	v_pk_fma_f16 v2, v65, v72, v2
	ds_read2_b64 v[72:75], v37 offset1:32
	v_add_co_u32 v96, vcc_lo, v13, v57
	v_mul_u32_u24_sdwa v13, v5, v59 dst_sel:DWORD dst_unused:UNUSED_PAD src0_sel:WORD_0 src1_sel:DWORD
	v_pk_fma_f16 v4, v66, v3, v4
	v_pk_fma_f16 v2, v67, v3, v2
	ds_read2_b64 v[64:67], v37 offset0:64 offset1:96
	v_add_co_ci_u32_e64 v97, null, 0, v76, vcc_lo
	s_waitcnt lgkmcnt(3)
	v_pk_fma_f16 v68, v68, v13, v4
	v_pk_fma_f16 v13, v69, v13, v2
	v_add_co_u32 v98, vcc_lo, v77, v57
	s_waitcnt lgkmcnt(2)
	v_mul_u32_u24_sdwa v84, v7, v59 dst_sel:DWORD dst_unused:UNUSED_PAD src0_sel:WORD_0 src1_sel:DWORD
	v_pk_fma_f16 v85, v70, v80, v68
	v_pk_fma_f16 v13, v71, v80, v13
	v_add_co_ci_u32_e64 v99, null, 0, v78, vcc_lo
	ds_read_b128 v[2:5], v46 offset:48
	ds_read2_b64 v[76:79], v37 offset0:128 offset1:160
	v_mul_u32_u24_sdwa v7, v7, v59 dst_sel:DWORD dst_unused:UNUSED_PAD src0_sel:WORD_1 src1_sel:DWORD
	s_waitcnt lgkmcnt(3)
	v_pk_fma_f16 v72, v72, v84, v85
	v_pk_fma_f16 v13, v73, v84, v13
	v_mul_u32_u24_sdwa v94, v8, v59 dst_sel:DWORD dst_unused:UNUSED_PAD src0_sel:WORD_0 src1_sel:DWORD
	v_mul_u32_u24_sdwa v8, v8, v59 dst_sel:DWORD dst_unused:UNUSED_PAD src0_sel:WORD_1 src1_sel:DWORD
	v_mul_u32_u24_sdwa v100, v9, v59 dst_sel:DWORD dst_unused:UNUSED_PAD src0_sel:WORD_0 src1_sel:DWORD
	v_pk_fma_f16 v95, v74, v7, v72
	v_pk_fma_f16 v7, v75, v7, v13
	ds_read2_b64 v[68:71], v37 offset0:192 offset1:224
	ds_read2_b64 v[80:83], v6 offset1:32
	ds_read2_b64 v[84:87], v6 offset0:64 offset1:96
	ds_read2_b64 v[88:91], v6 offset0:128 offset1:160
	ds_read2_b64 v[72:75], v6 offset0:192 offset1:224
	s_waitcnt lgkmcnt(7)
	v_pk_fma_f16 v13, v64, v94, v95
	v_pk_fma_f16 v7, v65, v94, v7
	s_waitcnt lgkmcnt(0)
	s_barrier
	buffer_gl0_inv
	v_pk_fma_f16 v13, v66, v8, v13
	v_pk_fma_f16 v7, v67, v8, v7
	s_clause 0x1
	global_load_dwordx4 v[64:67], v[11:12], off
	global_load_dwordx4 v[92:95], v[92:93], off
	v_mul_u32_u24_sdwa v11, v9, v59 dst_sel:DWORD dst_unused:UNUSED_PAD src0_sel:WORD_1 src1_sel:DWORD
	v_mul_u32_u24_sdwa v12, v10, v59 dst_sel:DWORD dst_unused:UNUSED_PAD src0_sel:WORD_0 src1_sel:DWORD
	v_mul_u32_u24_sdwa v101, v10, v59 dst_sel:DWORD dst_unused:UNUSED_PAD src0_sel:WORD_1 src1_sel:DWORD
	v_pk_fma_f16 v13, v76, v100, v13
	v_pk_fma_f16 v76, v77, v100, v7
	s_clause 0x1
	global_load_dwordx4 v[7:10], v[96:97], off
	global_load_dwordx4 v[96:99], v[98:99], off
	s_waitcnt vmcnt(3)
	ds_write_b128 v49, v[64:67]
	s_waitcnt vmcnt(2)
	ds_write_b128 v53, v[92:95]
	;; [unrolled: 2-line block ×4, first 2 shown]
	v_pk_fma_f16 v13, v78, v11, v13
	v_pk_fma_f16 v11, v79, v11, v76
	s_waitcnt lgkmcnt(0)
	s_barrier
	buffer_gl0_inv
	v_pk_fma_f16 v13, v68, v12, v13
	v_pk_fma_f16 v11, v69, v12, v11
	v_mul_u32_u24_sdwa v68, v2, v59 dst_sel:DWORD dst_unused:UNUSED_PAD src0_sel:WORD_0 src1_sel:DWORD
	v_mul_u32_u24_sdwa v2, v2, v59 dst_sel:DWORD dst_unused:UNUSED_PAD src0_sel:WORD_1 src1_sel:DWORD
	ds_read_b128 v[7:10], v46 offset:64
	v_pk_fma_f16 v12, v70, v101, v13
	v_pk_fma_f16 v11, v71, v101, v11
	v_mul_u32_u24_sdwa v13, v3, v59 dst_sel:DWORD dst_unused:UNUSED_PAD src0_sel:WORD_0 src1_sel:DWORD
	v_mul_u32_u24_sdwa v3, v3, v59 dst_sel:DWORD dst_unused:UNUSED_PAD src0_sel:WORD_1 src1_sel:DWORD
	ds_read2_b64 v[64:67], v35 offset1:32
	v_pk_fma_f16 v12, v80, v68, v12
	v_pk_fma_f16 v11, v81, v68, v11
	;; [unrolled: 1-line block ×6, first 2 shown]
	v_mul_u32_u24_sdwa v12, v4, v59 dst_sel:DWORD dst_unused:UNUSED_PAD src0_sel:WORD_0 src1_sel:DWORD
	v_mul_u32_u24_sdwa v13, v5, v59 dst_sel:DWORD dst_unused:UNUSED_PAD src0_sel:WORD_1 src1_sel:DWORD
	v_pk_fma_f16 v11, v86, v3, v11
	v_pk_fma_f16 v2, v87, v3, v2
	v_mul_u32_u24_sdwa v3, v4, v59 dst_sel:DWORD dst_unused:UNUSED_PAD src0_sel:WORD_1 src1_sel:DWORD
	v_pk_fma_f16 v4, v88, v12, v11
	v_pk_fma_f16 v2, v89, v12, v2
	v_mul_u32_u24_sdwa v11, v5, v59 dst_sel:DWORD dst_unused:UNUSED_PAD src0_sel:WORD_0 src1_sel:DWORD
	v_pk_fma_f16 v4, v90, v3, v4
	v_pk_fma_f16 v12, v91, v3, v2
	;; [unrolled: 1-line block ×3, first 2 shown]
	ds_read2_b64 v[2:5], v35 offset0:64 offset1:96
	v_pk_fma_f16 v11, v73, v11, v12
	v_pk_fma_f16 v12, v74, v13, v68
	ds_read_b128 v[68:71], v46 offset:80
	s_waitcnt lgkmcnt(3)
	v_mul_u32_u24_sdwa v76, v7, v59 dst_sel:DWORD dst_unused:UNUSED_PAD src0_sel:WORD_0 src1_sel:DWORD
	v_pk_fma_f16 v11, v75, v13, v11
	ds_read2_b64 v[72:75], v35 offset0:128 offset1:160
	v_mul_u32_u24_sdwa v7, v7, v59 dst_sel:DWORD dst_unused:UNUSED_PAD src0_sel:WORD_1 src1_sel:DWORD
	v_mul_u32_u24_sdwa v13, v8, v59 dst_sel:DWORD dst_unused:UNUSED_PAD src0_sel:WORD_0 src1_sel:DWORD
	s_waitcnt lgkmcnt(3)
	v_pk_fma_f16 v12, v64, v76, v12
	v_pk_fma_f16 v11, v65, v76, v11
	v_mul_u32_u24_sdwa v8, v8, v59 dst_sel:DWORD dst_unused:UNUSED_PAD src0_sel:WORD_1 src1_sel:DWORD
	v_pk_fma_f16 v12, v66, v7, v12
	v_pk_fma_f16 v7, v67, v7, v11
	ds_read2_b64 v[64:67], v35 offset0:192 offset1:224
	s_waitcnt lgkmcnt(3)
	v_pk_fma_f16 v2, v2, v13, v12
	v_pk_fma_f16 v3, v3, v13, v7
	v_mul_u32_u24_sdwa v7, v9, v59 dst_sel:DWORD dst_unused:UNUSED_PAD src0_sel:WORD_0 src1_sel:DWORD
	v_mul_u32_u24_sdwa v9, v9, v59 dst_sel:DWORD dst_unused:UNUSED_PAD src0_sel:WORD_1 src1_sel:DWORD
	v_pk_fma_f16 v11, v4, v8, v2
	v_pk_fma_f16 v8, v5, v8, v3
	ds_read2_b64 v[2:5], v40 offset1:32
	s_waitcnt lgkmcnt(2)
	v_pk_fma_f16 v11, v72, v7, v11
	v_pk_fma_f16 v7, v73, v7, v8
	v_mul_u32_u24_sdwa v8, v10, v59 dst_sel:DWORD dst_unused:UNUSED_PAD src0_sel:WORD_0 src1_sel:DWORD
	v_pk_fma_f16 v11, v74, v9, v11
	v_pk_fma_f16 v7, v75, v9, v7
	ds_read2_b64 v[72:75], v40 offset0:64 offset1:96
	v_mul_u32_u24_sdwa v9, v10, v59 dst_sel:DWORD dst_unused:UNUSED_PAD src0_sel:WORD_1 src1_sel:DWORD
	s_waitcnt lgkmcnt(2)
	v_pk_fma_f16 v10, v64, v8, v11
	v_pk_fma_f16 v7, v65, v8, v7
	v_mul_u32_u24_sdwa v11, v68, v59 dst_sel:DWORD dst_unused:UNUSED_PAD src0_sel:WORD_0 src1_sel:DWORD
	v_mul_u32_u24_sdwa v64, v68, v59 dst_sel:DWORD dst_unused:UNUSED_PAD src0_sel:WORD_1 src1_sel:DWORD
	v_pk_fma_f16 v12, v66, v9, v10
	v_pk_fma_f16 v13, v67, v9, v7
	ds_read2_b64 v[7:10], v40 offset0:128 offset1:160
	s_waitcnt lgkmcnt(2)
	v_pk_fma_f16 v2, v2, v11, v12
	v_pk_fma_f16 v3, v3, v11, v13
	v_mul_u32_u24_sdwa v11, v69, v59 dst_sel:DWORD dst_unused:UNUSED_PAD src0_sel:WORD_0 src1_sel:DWORD
	v_pk_fma_f16 v12, v4, v64, v2
	v_pk_fma_f16 v13, v5, v64, v3
	ds_read2_b64 v[2:5], v40 offset0:192 offset1:224
	v_mul_u32_u24_sdwa v40, v69, v59 dst_sel:DWORD dst_unused:UNUSED_PAD src0_sel:WORD_1 src1_sel:DWORD
	ds_read_b128 v[64:67], v46 offset:96
	s_waitcnt lgkmcnt(3)
	v_pk_fma_f16 v12, v72, v11, v12
	v_pk_fma_f16 v11, v73, v11, v13
	v_mul_u32_u24_sdwa v13, v70, v59 dst_sel:DWORD dst_unused:UNUSED_PAD src0_sel:WORD_0 src1_sel:DWORD
	v_pk_fma_f16 v12, v74, v40, v12
	v_pk_fma_f16 v11, v75, v40, v11
	ds_read2_b64 v[72:75], v37 offset1:32
	v_mul_u32_u24_sdwa v40, v70, v59 dst_sel:DWORD dst_unused:UNUSED_PAD src0_sel:WORD_1 src1_sel:DWORD
	s_waitcnt lgkmcnt(3)
	v_pk_fma_f16 v7, v7, v13, v12
	v_pk_fma_f16 v8, v8, v13, v11
	v_mul_u32_u24_sdwa v11, v71, v59 dst_sel:DWORD dst_unused:UNUSED_PAD src0_sel:WORD_0 src1_sel:DWORD
	v_pk_fma_f16 v12, v9, v40, v7
	v_pk_fma_f16 v13, v10, v40, v8
	ds_read2_b64 v[7:10], v37 offset0:64 offset1:96
	v_mul_u32_u24_sdwa v40, v71, v59 dst_sel:DWORD dst_unused:UNUSED_PAD src0_sel:WORD_1 src1_sel:DWORD
	ds_read_b128 v[68:71], v46 offset:112
	s_waitcnt lgkmcnt(4)
	v_pk_fma_f16 v2, v2, v11, v12
	v_pk_fma_f16 v3, v3, v11, v13
	s_waitcnt lgkmcnt(3)
	v_mul_u32_u24_sdwa v11, v64, v59 dst_sel:DWORD dst_unused:UNUSED_PAD src0_sel:WORD_0 src1_sel:DWORD
	v_pk_fma_f16 v12, v4, v40, v2
	v_pk_fma_f16 v13, v5, v40, v3
	ds_read2_b64 v[2:5], v37 offset0:128 offset1:160
	v_mul_u32_u24_sdwa v40, v64, v59 dst_sel:DWORD dst_unused:UNUSED_PAD src0_sel:WORD_1 src1_sel:DWORD
	s_waitcnt lgkmcnt(3)
	v_pk_fma_f16 v12, v72, v11, v12
	v_pk_fma_f16 v11, v73, v11, v13
	v_mul_u32_u24_sdwa v13, v65, v59 dst_sel:DWORD dst_unused:UNUSED_PAD src0_sel:WORD_0 src1_sel:DWORD
	v_pk_fma_f16 v12, v74, v40, v12
	v_pk_fma_f16 v11, v75, v40, v11
	ds_read2_b64 v[72:75], v37 offset0:192 offset1:224
	v_mul_u32_u24_sdwa v37, v65, v59 dst_sel:DWORD dst_unused:UNUSED_PAD src0_sel:WORD_1 src1_sel:DWORD
	s_waitcnt lgkmcnt(3)
	v_pk_fma_f16 v7, v7, v13, v12
	v_pk_fma_f16 v8, v8, v13, v11
	v_mul_u32_u24_sdwa v11, v66, v59 dst_sel:DWORD dst_unused:UNUSED_PAD src0_sel:WORD_0 src1_sel:DWORD
	v_pk_fma_f16 v12, v9, v37, v7
	v_pk_fma_f16 v13, v10, v37, v8
	ds_read2_b64 v[7:10], v6 offset1:32
	v_mul_u32_u24_sdwa v37, v66, v59 dst_sel:DWORD dst_unused:UNUSED_PAD src0_sel:WORD_1 src1_sel:DWORD
	s_waitcnt lgkmcnt(2)
	v_pk_fma_f16 v2, v2, v11, v12
	v_pk_fma_f16 v3, v3, v11, v13
	v_mul_u32_u24_sdwa v11, v67, v59 dst_sel:DWORD dst_unused:UNUSED_PAD src0_sel:WORD_0 src1_sel:DWORD
	v_pk_fma_f16 v12, v4, v37, v2
	v_pk_fma_f16 v13, v5, v37, v3
	ds_read2_b64 v[2:5], v6 offset0:64 offset1:96
	v_mul_u32_u24_sdwa v37, v67, v59 dst_sel:DWORD dst_unused:UNUSED_PAD src0_sel:WORD_1 src1_sel:DWORD
	ds_read2_b64 v[64:67], v6 offset0:128 offset1:160
	s_waitcnt lgkmcnt(3)
	v_pk_fma_f16 v12, v72, v11, v12
	v_pk_fma_f16 v11, v73, v11, v13
	v_mul_u32_u24_sdwa v13, v68, v59 dst_sel:DWORD dst_unused:UNUSED_PAD src0_sel:WORD_0 src1_sel:DWORD
	v_pk_fma_f16 v12, v74, v37, v12
	v_pk_fma_f16 v11, v75, v37, v11
	v_mul_u32_u24_sdwa v37, v68, v59 dst_sel:DWORD dst_unused:UNUSED_PAD src0_sel:WORD_1 src1_sel:DWORD
	ds_read2_b64 v[72:75], v6 offset0:192 offset1:224
	v_mul_u32_u24_sdwa v6, v69, v59 dst_sel:DWORD dst_unused:UNUSED_PAD src0_sel:WORD_0 src1_sel:DWORD
	s_waitcnt lgkmcnt(3)
	v_pk_fma_f16 v7, v7, v13, v12
	v_pk_fma_f16 v8, v8, v13, v11
	s_waitcnt lgkmcnt(0)
	s_barrier
	buffer_gl0_inv
	v_pk_fma_f16 v7, v9, v37, v7
	v_pk_fma_f16 v8, v10, v37, v8
	v_mul_u32_u24_sdwa v9, v69, v59 dst_sel:DWORD dst_unused:UNUSED_PAD src0_sel:WORD_1 src1_sel:DWORD
	s_load_dword s16, s[6:7], 0x4
	v_add_f32_e32 v13, v61, v62
	v_pk_fma_f16 v2, v2, v6, v7
	v_pk_fma_f16 v3, v3, v6, v8
	v_mul_u32_u24_sdwa v6, v70, v59 dst_sel:DWORD dst_unused:UNUSED_PAD src0_sel:WORD_0 src1_sel:DWORD
	v_fmac_f32_e32 v13, v60, v63
	v_pk_fma_f16 v2, v4, v9, v2
	v_pk_fma_f16 v3, v5, v9, v3
	v_mul_u32_u24_sdwa v4, v70, v59 dst_sel:DWORD dst_unused:UNUSED_PAD src0_sel:WORD_1 src1_sel:DWORD
	v_mul_u32_u24_sdwa v5, v71, v59 dst_sel:DWORD dst_unused:UNUSED_PAD src0_sel:WORD_0 src1_sel:DWORD
	v_pk_fma_f16 v2, v64, v6, v2
	v_pk_fma_f16 v3, v65, v6, v3
	;; [unrolled: 1-line block ×4, first 2 shown]
	v_mul_u32_u24_sdwa v4, v71, v59 dst_sel:DWORD dst_unused:UNUSED_PAD src0_sel:WORD_1 src1_sel:DWORD
	s_waitcnt lgkmcnt(0)
	s_lshl_b32 s16, s16, 6
	v_pk_fma_f16 v2, v72, v5, v2
	v_pk_fma_f16 v3, v73, v5, v3
	s_add_i32 s10, s16, s10
	s_cmp_lt_i32 s10, s12
	v_pk_fma_f16 v37, v74, v4, v2
	v_pk_fma_f16 v40, v75, v4, v3
	s_cbranch_scc0 .LBB90_24
; %bb.21:                               ;   in Loop: Header=BB90_8 Depth=1
	v_mov_b32_e32 v10, v15
	v_mov_b32_e32 v60, v13
	s_branch .LBB90_8
.LBB90_22:                              ;   in Loop: Header=BB90_8 Depth=1
	v_mov_b32_e32 v5, 0
	v_cmp_ngt_f32_e64 s16, 0x3f200000, |v12|
                                        ; implicit-def: $vgpr6
	s_and_saveexec_b32 s17, s16
	s_xor_b32 s16, exec_lo, s17
	s_cbranch_execz .LBB90_15
	s_branch .LBB90_14
.LBB90_23:
	v_mov_b32_e32 v40, 0
	v_mov_b32_e32 v15, 0xfeffffff
	;; [unrolled: 1-line block ×3, first 2 shown]
.LBB90_24:
	s_cmp_gt_i32 s44, s10
	s_cbranch_scc1 .LBB90_27
; %bb.25:
	v_mbcnt_lo_u32_b32 v3, -1, 0
	v_mov_b32_e32 v2, 32
	v_xor_b32_e32 v17, 16, v3
	v_xor_b32_e32 v16, 8, v3
	;; [unrolled: 1-line block ×5, first 2 shown]
	s_cbranch_execz .LBB90_28
; %bb.26:
	v_mov_b32_e32 v34, v3
	s_branch .LBB90_47
.LBB90_27:
                                        ; implicit-def: $vgpr3
                                        ; implicit-def: $vgpr2
                                        ; implicit-def: $vgpr17
                                        ; implicit-def: $vgpr16
                                        ; implicit-def: $vgpr18
                                        ; implicit-def: $vgpr19
                                        ; implicit-def: $vgpr20
.LBB90_28:
	v_lshl_add_u32 v12, v1, 2, v45
	s_mul_hi_i32 s7, s10, s23
	s_mul_i32 s6, s10, s23
	s_mov_b64 s[12:13], src_private_base
	s_lshl_b64 s[6:7], s[6:7], 2
	v_mul_lo_u32 v2, s23, v12
	s_sub_i32 s12, s44, s10
	s_add_u32 s8, s8, s6
	v_lshlrev_b32_e32 v24, 2, v44
	s_addc_u32 s9, s9, s7
	v_cmp_gt_i32_e64 s6, s12, v12
	s_lshl_b32 s15, s23, 4
	v_add_nc_u32_e32 v10, 16, v12
	v_ashrrev_i32_e32 v3, 31, v2
	v_add_nc_u32_e32 v20, 32, v12
	v_lshlrev_b64 v[3:4], 2, v[2:3]
	v_add_co_u32 v3, vcc_lo, s8, v3
	v_add_co_ci_u32_e64 v4, null, s9, v4, vcc_lo
	v_add_co_u32 v8, vcc_lo, v3, v24
	v_add_co_ci_u32_e64 v9, null, 0, v4, vcc_lo
	v_mov_b32_e32 v3, 0
	v_cndmask_b32_e64 v4, 0, v8, s6
	buffer_store_dword v3, off, s[0:3], 0
	buffer_store_dword v3, off, s[0:3], 0 offset:4
	buffer_store_dword v3, off, s[0:3], 0 offset:8
	;; [unrolled: 1-line block ×3, first 2 shown]
	v_cndmask_b32_e64 v5, s13, v9, s6
	flat_load_dwordx4 v[16:19], v[4:5]
	v_add_nc_u32_e32 v4, s15, v2
	buffer_store_dword v3, off, s[0:3], 0
	buffer_store_dword v3, off, s[0:3], 0 offset:4
	buffer_store_dword v3, off, s[0:3], 0 offset:8
	;; [unrolled: 1-line block ×3, first 2 shown]
	v_ashrrev_i32_e32 v5, 31, v4
	v_add_nc_u32_e32 v21, s15, v4
	v_lshlrev_b64 v[5:6], 2, v[4:5]
	v_ashrrev_i32_e32 v22, 31, v21
	v_add_co_u32 v2, vcc_lo, s8, v5
	v_add_co_ci_u32_e64 v5, null, s9, v6, vcc_lo
	v_add_co_u32 v6, vcc_lo, v2, v24
	v_add_co_ci_u32_e64 v7, null, 0, v5, vcc_lo
	v_cmp_gt_i32_e32 vcc_lo, s12, v10
	v_mad_u32_u24 v5, 0x90, v12, v24
	v_cndmask_b32_e32 v11, s13, v7, vcc_lo
	v_cndmask_b32_e32 v10, 0, v6, vcc_lo
	s_waitcnt vmcnt(0) lgkmcnt(0)
	ds_write_b128 v5, v[16:19]
	flat_load_dwordx4 v[16:19], v[10:11]
	v_lshlrev_b64 v[10:11], 2, v[21:22]
	buffer_store_dword v3, off, s[0:3], 0
	buffer_store_dword v3, off, s[0:3], 0 offset:4
	buffer_store_dword v3, off, s[0:3], 0 offset:8
	;; [unrolled: 1-line block ×3, first 2 shown]
	v_add_nc_u32_e32 v21, s15, v21
	v_add_co_u32 v2, s7, s8, v10
	v_add_co_ci_u32_e64 v4, null, s9, v11, s7
	v_add_co_u32 v10, s7, v2, v24
	v_add_co_ci_u32_e64 v11, null, 0, v4, s7
	v_cmp_gt_i32_e64 s7, s12, v20
	v_cndmask_b32_e64 v23, s13, v11, s7
	v_cndmask_b32_e64 v22, 0, v10, s7
	s_waitcnt vmcnt(0) lgkmcnt(0)
	ds_write_b128 v5, v[16:19] offset:2304
	flat_load_dwordx4 v[17:20], v[22:23]
	v_ashrrev_i32_e32 v22, 31, v21
	buffer_store_dword v3, off, s[0:3], 0
	buffer_store_dword v3, off, s[0:3], 0 offset:4
	buffer_store_dword v3, off, s[0:3], 0 offset:8
	;; [unrolled: 1-line block ×3, first 2 shown]
	v_lshlrev_b64 v[21:22], 2, v[21:22]
	v_add_co_u32 v2, s8, s8, v21
	v_add_co_ci_u32_e64 v4, null, s9, v22, s8
	v_add_nc_u32_e32 v21, 48, v12
	v_add_co_u32 v12, s8, v2, v24
	v_add_co_ci_u32_e64 v16, null, 0, v4, s8
	v_cmp_gt_i32_e64 s8, s12, v21
	v_mov_b32_e32 v2, 0
	v_mov_b32_e32 v4, 0
	v_add_co_u32 v8, s9, 0x80, v8
	v_cndmask_b32_e64 v22, s13, v16, s8
	v_cndmask_b32_e64 v21, 0, v12, s8
	v_add_co_ci_u32_e64 v9, null, 0, v9, s9
	v_cndmask_b32_e64 v8, 0, v8, s6
	v_cndmask_b32_e64 v9, s13, v9, s6
	v_add_co_u32 v6, s6, 0x80, v6
	v_add_co_ci_u32_e64 v7, null, 0, v7, s6
	v_cndmask_b32_e32 v6, 0, v6, vcc_lo
	v_cndmask_b32_e32 v7, s13, v7, vcc_lo
	v_add_co_u32 v10, vcc_lo, 0x80, v10
	v_add_co_ci_u32_e64 v11, null, 0, v11, vcc_lo
	v_cndmask_b32_e64 v10, 0, v10, s7
	v_cndmask_b32_e64 v11, s13, v11, s7
	s_waitcnt vmcnt(0) lgkmcnt(0)
	ds_write_b128 v5, v[17:20] offset:4608
	flat_load_dwordx4 v[17:20], v[21:22]
	s_waitcnt vmcnt(0) lgkmcnt(0)
	ds_write_b128 v5, v[17:20] offset:6912
	s_waitcnt lgkmcnt(0)
	s_waitcnt_vscnt null, 0x0
	s_barrier
	buffer_gl0_inv
	ds_read_b128 v[17:20], v43
	ds_read_b128 v[21:24], v42
	ds_read_b128 v[25:28], v43 offset:4608
	s_waitcnt lgkmcnt(1)
	;;#ASMSTART
	v_dot2_f32_f16 v2, v17, v21, v2
	;;#ASMEND
	;;#ASMSTART
	v_dot2_f32_f16 v2, v18, v22, v2
	;;#ASMEND
	;;#ASMSTART
	v_dot2_f32_f16 v2, v19, v23, v2
	;;#ASMEND
	;;#ASMSTART
	v_dot2_f32_f16 v2, v20, v24, v2
	;;#ASMEND
	s_waitcnt lgkmcnt(0)
	;;#ASMSTART
	v_dot2_f32_f16 v4, v25, v21, v4
	;;#ASMEND
	;;#ASMSTART
	v_dot2_f32_f16 v4, v26, v22, v4
	;;#ASMEND
	;;#ASMSTART
	v_dot2_f32_f16 v4, v27, v23, v4
	;;#ASMEND
	;;#ASMSTART
	v_dot2_f32_f16 v4, v28, v24, v4
	;;#ASMEND
	ds_read_b128 v[17:20], v43 offset:16
	ds_read_b128 v[21:24], v42 offset:16
	ds_read_b128 v[25:28], v43 offset:4624
	s_waitcnt lgkmcnt(1)
	;;#ASMSTART
	v_dot2_f32_f16 v2, v17, v21, v2
	;;#ASMEND
	;;#ASMSTART
	v_dot2_f32_f16 v2, v18, v22, v2
	;;#ASMEND
	;;#ASMSTART
	v_dot2_f32_f16 v2, v19, v23, v2
	;;#ASMEND
	;;#ASMSTART
	v_dot2_f32_f16 v2, v20, v24, v2
	;;#ASMEND
	s_waitcnt lgkmcnt(0)
	;;#ASMSTART
	v_dot2_f32_f16 v4, v25, v21, v4
	;;#ASMEND
	;;#ASMSTART
	v_dot2_f32_f16 v4, v26, v22, v4
	;;#ASMEND
	;;#ASMSTART
	v_dot2_f32_f16 v4, v27, v23, v4
	;;#ASMEND
	;;#ASMSTART
	v_dot2_f32_f16 v4, v28, v24, v4
	;;#ASMEND
	ds_read_b128 v[17:20], v43 offset:32
	ds_read_b128 v[21:24], v42 offset:32
	;; [unrolled: 29-line block ×7, first 2 shown]
	ds_read_b128 v[25:28], v43 offset:4720
	s_waitcnt lgkmcnt(1)
	;;#ASMSTART
	v_dot2_f32_f16 v2, v17, v21, v2
	;;#ASMEND
	;;#ASMSTART
	v_dot2_f32_f16 v2, v18, v22, v2
	;;#ASMEND
	;; [unrolled: 3-line block ×4, first 2 shown]
	s_waitcnt lgkmcnt(0)
	;;#ASMSTART
	v_dot2_f32_f16 v4, v25, v21, v4
	;;#ASMEND
	;;#ASMSTART
	v_dot2_f32_f16 v4, v26, v22, v4
	;;#ASMEND
	;; [unrolled: 3-line block ×4, first 2 shown]
	s_barrier
	buffer_gl0_inv
	buffer_store_dword v3, off, s[0:3], 0
	buffer_store_dword v3, off, s[0:3], 0 offset:4
	buffer_store_dword v3, off, s[0:3], 0 offset:8
	;; [unrolled: 1-line block ×3, first 2 shown]
	flat_load_dwordx4 v[17:20], v[8:9]
	buffer_store_dword v3, off, s[0:3], 0
	buffer_store_dword v3, off, s[0:3], 0 offset:4
	buffer_store_dword v3, off, s[0:3], 0 offset:8
	;; [unrolled: 1-line block ×3, first 2 shown]
	s_waitcnt vmcnt(0) lgkmcnt(0)
	ds_write_b128 v5, v[17:20]
	flat_load_dwordx4 v[6:9], v[6:7]
	buffer_store_dword v3, off, s[0:3], 0
	buffer_store_dword v3, off, s[0:3], 0 offset:4
	buffer_store_dword v3, off, s[0:3], 0 offset:8
	;; [unrolled: 1-line block ×3, first 2 shown]
	s_waitcnt vmcnt(0) lgkmcnt(0)
	ds_write_b128 v5, v[6:9] offset:2304
	flat_load_dwordx4 v[6:9], v[10:11]
	v_add_co_u32 v10, vcc_lo, 0x80, v12
	v_add_co_ci_u32_e64 v11, null, 0, v16, vcc_lo
	buffer_store_dword v3, off, s[0:3], 0
	buffer_store_dword v3, off, s[0:3], 0 offset:4
	buffer_store_dword v3, off, s[0:3], 0 offset:8
	;; [unrolled: 1-line block ×3, first 2 shown]
	v_cndmask_b32_e64 v10, 0, v10, s8
                                        ; implicit-def: $vgpr3
	v_cndmask_b32_e64 v11, s13, v11, s8
	s_waitcnt vmcnt(0) lgkmcnt(0)
	ds_write_b128 v5, v[6:9] offset:4608
	flat_load_dwordx4 v[6:9], v[10:11]
	s_waitcnt vmcnt(0) lgkmcnt(0)
	ds_write_b128 v5, v[6:9] offset:6912
	s_waitcnt lgkmcnt(0)
	s_waitcnt_vscnt null, 0x0
	s_barrier
	buffer_gl0_inv
	ds_read_b128 v[5:8], v43
	ds_read_b128 v[9:12], v42 offset:128
	ds_read_b128 v[16:19], v43 offset:4608
	s_waitcnt lgkmcnt(1)
	;;#ASMSTART
	v_dot2_f32_f16 v2, v5, v9, v2
	;;#ASMEND
	;;#ASMSTART
	v_dot2_f32_f16 v2, v6, v10, v2
	;;#ASMEND
	;;#ASMSTART
	v_dot2_f32_f16 v2, v7, v11, v2
	;;#ASMEND
	;;#ASMSTART
	v_dot2_f32_f16 v2, v8, v12, v2
	;;#ASMEND
	s_waitcnt lgkmcnt(0)
	;;#ASMSTART
	v_dot2_f32_f16 v4, v16, v9, v4
	;;#ASMEND
	;;#ASMSTART
	v_dot2_f32_f16 v4, v17, v10, v4
	;;#ASMEND
	;;#ASMSTART
	v_dot2_f32_f16 v4, v18, v11, v4
	;;#ASMEND
	;;#ASMSTART
	v_dot2_f32_f16 v4, v19, v12, v4
	;;#ASMEND
	ds_read_b128 v[5:8], v43 offset:16
	ds_read_b128 v[9:12], v42 offset:144
	ds_read_b128 v[16:19], v43 offset:4624
	s_waitcnt lgkmcnt(1)
	;;#ASMSTART
	v_dot2_f32_f16 v2, v5, v9, v2
	;;#ASMEND
	;;#ASMSTART
	v_dot2_f32_f16 v2, v6, v10, v2
	;;#ASMEND
	;;#ASMSTART
	v_dot2_f32_f16 v2, v7, v11, v2
	;;#ASMEND
	;;#ASMSTART
	v_dot2_f32_f16 v2, v8, v12, v2
	;;#ASMEND
	s_waitcnt lgkmcnt(0)
	;;#ASMSTART
	v_dot2_f32_f16 v4, v16, v9, v4
	;;#ASMEND
	;;#ASMSTART
	v_dot2_f32_f16 v4, v17, v10, v4
	;;#ASMEND
	;;#ASMSTART
	v_dot2_f32_f16 v4, v18, v11, v4
	;;#ASMEND
	;;#ASMSTART
	v_dot2_f32_f16 v4, v19, v12, v4
	;;#ASMEND
	ds_read_b128 v[5:8], v43 offset:32
	;; [unrolled: 29-line block ×7, first 2 shown]
	ds_read_b128 v[9:12], v42 offset:240
	ds_read_b128 v[16:19], v43 offset:4720
	s_waitcnt lgkmcnt(1)
	;;#ASMSTART
	v_dot2_f32_f16 v2, v5, v9, v2
	;;#ASMEND
	;;#ASMSTART
	v_dot2_f32_f16 v2, v6, v10, v2
	;;#ASMEND
	;; [unrolled: 3-line block ×4, first 2 shown]
	v_cmp_ngt_f32_e64 s6, 0x3f200000, |v2|
	s_waitcnt lgkmcnt(0)
	;;#ASMSTART
	v_dot2_f32_f16 v4, v16, v9, v4
	;;#ASMEND
	;;#ASMSTART
	v_dot2_f32_f16 v4, v17, v10, v4
	;;#ASMEND
	;; [unrolled: 3-line block ×4, first 2 shown]
	s_and_saveexec_b32 s7, s6
	s_xor_b32 s6, exec_lo, s7
	s_cbranch_execz .LBB90_30
; %bb.29:
	v_add_f32_e64 v3, |v2|, |v2|
	v_mul_f32_e32 v5, 0x3fb8aa3b, v3
	v_cmp_ngt_f32_e32 vcc_lo, 0xc2ce8ed0, v3
	v_rndne_f32_e32 v6, v5
	v_fma_f32 v7, 0x3fb8aa3b, v3, -v5
	v_sub_f32_e32 v5, v5, v6
	v_fmamk_f32 v7, v3, 0x32a5705f, v7
	v_cvt_i32_f32_e32 v6, v6
	v_add_f32_e32 v5, v5, v7
	v_exp_f32_e32 v5, v5
	v_ldexp_f32 v5, v5, v6
	v_cndmask_b32_e32 v5, 0, v5, vcc_lo
	v_cmp_nlt_f32_e32 vcc_lo, 0x42b17218, v3
	v_cndmask_b32_e32 v3, 0x7f800000, v5, vcc_lo
	v_add_f32_e32 v3, 1.0, v3
	v_rcp_f32_e32 v3, v3
	v_fma_f32 v3, v3, -2.0, 1.0
.LBB90_30:
	s_andn2_saveexec_b32 s6, s6
	s_cbranch_execz .LBB90_32
; %bb.31:
	v_mul_f32_e32 v3, v2, v2
	s_mov_b32 s7, 0xbbbac73d
	v_fmaak_f32 v5, s7, v3, 0x3ca908c9
	v_fmaak_f32 v5, v3, v5, 0xbd5c1c4e
	;; [unrolled: 1-line block ×4, first 2 shown]
	v_mul_f32_e64 v5, |v2|, v5
	v_fma_f32 v3, v3, v5, |v2|
.LBB90_32:
	s_or_b32 exec_lo, exec_lo, s6
	v_bfi_b32 v5, 0x7fffffff, v3, v2
	s_cmp_lg_u64 s[42:43], 0
	v_mad_u64_u32 v[2:3], null, v41, s22, s[10:11]
	s_cselect_b32 s7, -1, 0
	v_mul_f32_e32 v5, s19, v5
	v_cndmask_b32_e64 v7, 0, 1, s7
	v_mov_b32_e32 v6, v15
	s_mov_b32 s6, exec_lo
	v_cmpx_gt_i32_e64 s12, v0
	s_cbranch_execz .LBB90_37
; %bb.33:
	s_andn2_b32 vcc_lo, exec_lo, s7
	s_cbranch_vccnz .LBB90_35
; %bb.34:
	v_add_nc_u32_e32 v8, v2, v0
	v_ashrrev_i32_e32 v9, 31, v8
	v_lshlrev_b64 v[8:9], 1, v[8:9]
	v_add_co_u32 v8, vcc_lo, s42, v8
	v_add_co_ci_u32_e64 v9, null, s43, v9, vcc_lo
	global_load_ushort v3, v[8:9], off
	s_waitcnt vmcnt(0)
	v_cvt_f32_f16_e32 v3, v3
	v_mul_f32_e32 v3, v39, v3
	s_branch .LBB90_36
.LBB90_35:
	v_mov_b32_e32 v3, 0
.LBB90_36:
	v_add_f32_e32 v5, v5, v3
	v_max_f32_e32 v6, v15, v15
	v_add_f32_e32 v3, 0x40051340, v5
	v_max_f32_e32 v6, v6, v3
.LBB90_37:
	s_or_b32 exec_lo, exec_lo, s6
	v_cmp_ngt_f32_e64 s6, 0x3f200000, |v4|
                                        ; implicit-def: $vgpr3
	s_and_saveexec_b32 s7, s6
	s_xor_b32 s6, exec_lo, s7
	s_cbranch_execz .LBB90_39
; %bb.38:
	v_add_f32_e64 v3, |v4|, |v4|
	v_mul_f32_e32 v8, 0x3fb8aa3b, v3
	v_cmp_ngt_f32_e32 vcc_lo, 0xc2ce8ed0, v3
	v_rndne_f32_e32 v9, v8
	v_fma_f32 v10, 0x3fb8aa3b, v3, -v8
	v_sub_f32_e32 v8, v8, v9
	v_fmamk_f32 v10, v3, 0x32a5705f, v10
	v_cvt_i32_f32_e32 v9, v9
	v_add_f32_e32 v8, v8, v10
	v_exp_f32_e32 v8, v8
	v_ldexp_f32 v8, v8, v9
	v_cndmask_b32_e32 v8, 0, v8, vcc_lo
	v_cmp_nlt_f32_e32 vcc_lo, 0x42b17218, v3
	v_cndmask_b32_e32 v3, 0x7f800000, v8, vcc_lo
	v_add_f32_e32 v3, 1.0, v3
	v_rcp_f32_e32 v3, v3
	v_fma_f32 v3, v3, -2.0, 1.0
.LBB90_39:
	s_andn2_saveexec_b32 s6, s6
	s_cbranch_execz .LBB90_41
; %bb.40:
	v_mul_f32_e32 v3, v4, v4
	s_mov_b32 s7, 0xbbbac73d
	v_fmaak_f32 v8, s7, v3, 0x3ca908c9
	v_fmaak_f32 v8, v3, v8, 0xbd5c1c4e
	v_fmaak_f32 v8, v3, v8, 0x3e088382
	v_fmaak_f32 v8, v3, v8, 0xbeaaaa99
	v_mul_f32_e64 v8, |v4|, v8
	v_fma_f32 v3, v3, v8, |v4|
.LBB90_41:
	s_or_b32 exec_lo, exec_lo, s6
	v_bfi_b32 v4, 0x7fffffff, v3, v4
	v_add_nc_u32_e32 v3, 32, v0
	s_mov_b32 s6, exec_lo
	v_mul_f32_e32 v4, s19, v4
	v_cmpx_gt_i32_e64 s12, v3
	s_cbranch_execz .LBB90_46
; %bb.42:
	v_cmp_ne_u32_e32 vcc_lo, 1, v7
	s_cbranch_vccnz .LBB90_44
; %bb.43:
	v_ashrrev_i32_e32 v8, 31, v2
	v_add_co_u32 v7, vcc_lo, v2, v0
	v_add_co_ci_u32_e64 v8, null, 0, v8, vcc_lo
	v_lshlrev_b64 v[7:8], 1, v[7:8]
	v_add_co_u32 v7, vcc_lo, s42, v7
	v_add_co_ci_u32_e64 v8, null, s43, v8, vcc_lo
	global_load_ushort v2, v[7:8], off offset:64
	s_waitcnt vmcnt(0)
	v_cvt_f32_f16_e32 v2, v2
	v_mul_f32_e32 v2, v39, v2
	s_branch .LBB90_45
.LBB90_44:
	v_mov_b32_e32 v2, 0
.LBB90_45:
	v_add_f32_e32 v4, v4, v2
	v_max_f32_e32 v6, v6, v6
	v_add_f32_e32 v2, 0x40051340, v4
	v_max_f32_e32 v6, v6, v2
.LBB90_46:
	s_or_b32 exec_lo, exec_lo, s6
	v_xor_b32_e32 v17, 16, v34
	v_xor_b32_e32 v16, 8, v34
	;; [unrolled: 1-line block ×5, first 2 shown]
	v_cmp_gt_i32_e32 vcc_lo, 32, v17
	v_lshlrev_b32_e32 v22, 7, v1
	v_lshl_add_u32 v27, v1, 1, v36
	s_mul_hi_i32 s9, s10, s18
	s_mul_i32 s8, s10, s18
	v_cndmask_b32_e32 v2, v34, v17, vcc_lo
	v_cmp_gt_i32_e32 vcc_lo, 32, v16
	s_mov_b64 s[6:7], src_private_base
	s_lshl_b64 s[8:9], s[8:9], 2
	s_lshl_b32 s6, s18, 3
	v_lshlrev_b32_e32 v2, 2, v2
	v_cndmask_b32_e32 v7, v34, v16, vcc_lo
	v_cmp_gt_i32_e32 vcc_lo, 32, v18
	s_add_u32 s8, s11, s8
	s_addc_u32 s9, s14, s9
	ds_bpermute_b32 v2, v2, v6
	v_max_f32_e32 v6, v6, v6
	v_lshlrev_b32_e32 v7, 2, v7
	v_lshlrev_b32_e32 v26, 2, v38
	;; [unrolled: 1-line block ×3, first 2 shown]
	v_mov_b32_e32 v25, 0
	s_waitcnt lgkmcnt(0)
	s_barrier
	buffer_gl0_inv
	v_add3_u32 v11, 0x2800, v22, v11
	buffer_store_dword v25, off, s[0:3], 0
	buffer_store_dword v25, off, s[0:3], 0 offset:4
	buffer_store_dword v25, off, s[0:3], 0 offset:8
	;; [unrolled: 1-line block ×3, first 2 shown]
	v_add_nc_u32_e32 v29, 8, v27
	v_lshl_or_b32 v28, v27, 8, v26
	v_add_nc_u32_e32 v31, 16, v27
	v_add_nc_u32_e32 v36, 24, v27
	v_max_f32_e32 v2, v2, v2
	v_max_f32_e32 v2, v6, v2
	ds_bpermute_b32 v6, v7, v2
	v_cndmask_b32_e32 v7, v34, v18, vcc_lo
	v_cmp_gt_i32_e32 vcc_lo, 32, v19
	v_lshlrev_b32_e32 v7, 2, v7
	s_waitcnt lgkmcnt(0)
	v_max_f32_e32 v6, v6, v6
	v_max_f32_e32 v2, v2, v6
	ds_bpermute_b32 v6, v7, v2
	v_cndmask_b32_e32 v7, v34, v19, vcc_lo
	v_cmp_gt_i32_e32 vcc_lo, 32, v20
	v_lshlrev_b32_e32 v7, 2, v7
	s_waitcnt lgkmcnt(0)
	v_max_f32_e32 v6, v6, v6
	v_max_f32_e32 v2, v2, v6
	ds_bpermute_b32 v6, v7, v2
	v_cndmask_b32_e32 v7, v34, v20, vcc_lo
	v_lshlrev_b32_e32 v7, 2, v7
	s_waitcnt lgkmcnt(0)
	v_max_f32_e32 v6, v6, v6
	v_max_f32_e32 v2, v2, v6
	ds_bpermute_b32 v6, v7, v2
	s_waitcnt lgkmcnt(0)
	v_max_f32_e32 v6, v6, v6
	v_max_f32_e32 v21, v2, v6
	v_sub_f32_e32 v2, v5, v21
	v_sub_f32_e32 v4, v4, v21
	v_mul_f32_e32 v5, 0x3fb8aa3b, v2
	v_mul_f32_e32 v6, 0x3fb8aa3b, v4
	v_cmp_ngt_f32_e32 vcc_lo, 0xc2ce8ed0, v2
	v_fma_f32 v7, 0x3fb8aa3b, v2, -v5
	v_rndne_f32_e32 v8, v5
	v_fma_f32 v9, 0x3fb8aa3b, v4, -v6
	v_rndne_f32_e32 v10, v6
	v_fmac_f32_e32 v7, 0x32a5705f, v2
	v_sub_f32_e32 v5, v5, v8
	v_fmac_f32_e32 v9, 0x32a5705f, v4
	v_sub_f32_e32 v6, v6, v10
	v_cvt_i32_f32_e32 v8, v8
	v_add_f32_e32 v1, v5, v7
	v_mul_lo_u32 v5, s18, v27
	v_add_f32_e32 v6, v6, v9
	v_cvt_i32_f32_e32 v9, v10
	v_exp_f32_e32 v1, v1
	v_exp_f32_e32 v7, v6
	v_ashrrev_i32_e32 v6, 31, v5
	v_ldexp_f32 v1, v1, v8
	v_ldexp_f32 v7, v7, v9
	v_lshlrev_b64 v[9:10], 2, v[5:6]
	v_cndmask_b32_e32 v1, 0, v1, vcc_lo
	v_cmp_ngt_f32_e32 vcc_lo, 0xc2ce8ed0, v4
	v_cndmask_b32_e32 v6, 0, v7, vcc_lo
	v_add_co_u32 v7, vcc_lo, s8, v9
	v_add_co_ci_u32_e64 v8, null, s9, v10, vcc_lo
	v_cmp_nlt_f32_e32 vcc_lo, 0x42b17218, v2
	v_cndmask_b32_e32 v1, 0x7f800000, v1, vcc_lo
	v_cmp_nlt_f32_e32 vcc_lo, 0x42b17218, v4
	v_cndmask_b32_e32 v2, 0x7f800000, v6, vcc_lo
	v_add_co_u32 v4, vcc_lo, v7, v26
	v_add_co_ci_u32_e64 v6, null, 0, v8, vcc_lo
	v_cmp_gt_u32_e32 vcc_lo, s12, v0
	v_add_nc_u32_e32 v7, s6, v5
	v_cndmask_b32_e32 v23, 0, v1, vcc_lo
	v_cmp_gt_u32_e32 vcc_lo, s12, v3
	v_ashrrev_i32_e32 v8, 31, v7
	v_cvt_f16_f32_e32 v3, v23
	v_cndmask_b32_e32 v24, 0, v2, vcc_lo
	v_cmp_gt_i32_e32 vcc_lo, s12, v27
	v_cndmask_b32_e32 v1, 0, v4, vcc_lo
	v_cvt_f16_f32_e32 v4, v24
	v_cndmask_b32_e32 v2, s7, v6, vcc_lo
	ds_write_b16 v11, v3
	ds_write_b16 v11, v4 offset:64
	v_lshlrev_b64 v[5:6], 2, v[7:8]
	flat_load_dwordx4 v[1:4], v[1:2]
	buffer_store_dword v25, off, s[0:3], 0
	buffer_store_dword v25, off, s[0:3], 0 offset:4
	buffer_store_dword v25, off, s[0:3], 0 offset:8
	;; [unrolled: 1-line block ×3, first 2 shown]
	v_add_co_u32 v8, vcc_lo, s8, v5
	v_add_co_ci_u32_e64 v11, null, s9, v6, vcc_lo
	v_add_co_u32 v8, vcc_lo, v8, v26
	v_add_co_ci_u32_e64 v12, null, 0, v11, vcc_lo
	v_cmp_gt_i32_e32 vcc_lo, s12, v29
	v_cndmask_b32_e32 v11, 0, v8, vcc_lo
	v_cndmask_b32_e32 v12, s7, v12, vcc_lo
	s_waitcnt vmcnt(0) lgkmcnt(0)
	ds_write_b128 v28, v[1:4]
	flat_load_dwordx4 v[1:4], v[11:12]
	v_add_nc_u32_e32 v11, s6, v7
	buffer_store_dword v25, off, s[0:3], 0
	buffer_store_dword v25, off, s[0:3], 0 offset:4
	buffer_store_dword v25, off, s[0:3], 0 offset:8
	;; [unrolled: 1-line block ×3, first 2 shown]
	v_ashrrev_i32_e32 v12, 31, v11
	v_lshlrev_b64 v[7:8], 2, v[11:12]
	v_add_nc_u32_e32 v11, s6, v11
	s_or_b32 s6, s10, 32
	v_add_co_u32 v12, vcc_lo, s8, v7
	v_add_co_ci_u32_e64 v30, null, s9, v8, vcc_lo
	v_add_co_u32 v12, vcc_lo, v12, v26
	v_add_co_ci_u32_e64 v32, null, 0, v30, vcc_lo
	v_cmp_gt_i32_e32 vcc_lo, s12, v31
	v_lshl_or_b32 v30, v29, 8, v26
	v_cndmask_b32_e32 v38, 0, v12, vcc_lo
	v_cndmask_b32_e32 v39, s7, v32, vcc_lo
	v_ashrrev_i32_e32 v12, 31, v11
	v_lshlrev_b64 v[11:12], 2, v[11:12]
	v_add_co_u32 v32, vcc_lo, s8, v11
	s_mul_i32 s8, s6, s18
	s_waitcnt vmcnt(0) lgkmcnt(0)
	ds_write_b128 v30, v[1:4]
	flat_load_dwordx4 v[1:4], v[38:39]
	v_add_co_ci_u32_e64 v38, null, s9, v12, vcc_lo
	v_add_co_u32 v39, vcc_lo, v32, v26
	v_lshl_or_b32 v32, v31, 8, v26
	v_add_co_ci_u32_e64 v41, null, 0, v38, vcc_lo
	v_cmp_gt_i32_e32 vcc_lo, s12, v36
	buffer_store_dword v25, off, s[0:3], 0
	buffer_store_dword v25, off, s[0:3], 0 offset:4
	buffer_store_dword v25, off, s[0:3], 0 offset:8
	;; [unrolled: 1-line block ×3, first 2 shown]
	s_mul_hi_i32 s9, s6, s18
	s_lshl_b64 s[8:9], s[8:9], 2
	v_cndmask_b32_e32 v38, 0, v39, vcc_lo
	v_cndmask_b32_e32 v39, s7, v41, vcc_lo
	s_add_u32 s6, s11, s8
	s_addc_u32 s8, s14, s9
	v_add_co_u32 v9, vcc_lo, s6, v9
	v_add_co_ci_u32_e64 v10, null, s8, v10, vcc_lo
	s_sub_i32 s9, s12, 32
	s_waitcnt vmcnt(0) lgkmcnt(0)
	ds_write_b128 v32, v[1:4]
	flat_load_dwordx4 v[1:4], v[38:39]
	v_add_co_u32 v39, vcc_lo, v9, v26
	v_add_co_ci_u32_e64 v41, null, 0, v10, vcc_lo
	v_cmp_gt_i32_e32 vcc_lo, s9, v27
	v_lshl_or_b32 v27, v36, 8, v26
	v_add_nc_u32_e32 v38, 0x800, v35
	v_add_nc_u32_e32 v10, 0x1000, v35
	;; [unrolled: 1-line block ×3, first 2 shown]
	v_cndmask_b32_e32 v121, 0, v39, vcc_lo
	v_cndmask_b32_e32 v122, s7, v41, vcc_lo
	v_add_co_u32 v5, vcc_lo, s6, v5
	v_add_co_ci_u32_e64 v6, null, s8, v6, vcc_lo
	v_add_co_u32 v5, vcc_lo, v5, v26
	v_add_co_ci_u32_e64 v6, null, 0, v6, vcc_lo
	v_cmp_gt_i32_e32 vcc_lo, s9, v29
	v_cndmask_b32_e32 v5, 0, v5, vcc_lo
	v_cndmask_b32_e32 v6, s7, v6, vcc_lo
	s_waitcnt vmcnt(0) lgkmcnt(0)
	ds_write_b128 v27, v[1:4]
	s_waitcnt lgkmcnt(0)
	s_waitcnt_vscnt null, 0x0
	s_barrier
	buffer_gl0_inv
	ds_read2_b64 v[41:44], v35 offset1:32
	ds_read2_b64 v[45:48], v35 offset0:64 offset1:96
	ds_read_b128 v[49:52], v22 offset:10240
	ds_read_b128 v[53:56], v22 offset:10256
	;; [unrolled: 1-line block ×4, first 2 shown]
	ds_read2_b64 v[65:68], v35 offset0:128 offset1:160
	ds_read2_b64 v[69:72], v35 offset0:192 offset1:224
	ds_read2_b64 v[73:76], v38 offset1:32
	ds_read2_b64 v[77:80], v38 offset0:64 offset1:96
	ds_read2_b64 v[81:84], v38 offset0:128 offset1:160
	ds_read2_b64 v[85:88], v38 offset0:192 offset1:224
	ds_read2_b64 v[89:92], v10 offset1:32
	ds_read2_b64 v[93:96], v10 offset0:64 offset1:96
	;; [unrolled: 4-line block ×3, first 2 shown]
	ds_read2_b64 v[113:116], v9 offset0:128 offset1:160
	ds_read2_b64 v[117:120], v9 offset0:192 offset1:224
	s_waitcnt lgkmcnt(0)
	s_barrier
	buffer_gl0_inv
	buffer_store_dword v25, off, s[0:3], 0
	buffer_store_dword v25, off, s[0:3], 0 offset:4
	buffer_store_dword v25, off, s[0:3], 0 offset:8
	;; [unrolled: 1-line block ×3, first 2 shown]
	flat_load_dwordx4 v[1:4], v[121:122]
	buffer_store_dword v25, off, s[0:3], 0
	buffer_store_dword v25, off, s[0:3], 0 offset:4
	buffer_store_dword v25, off, s[0:3], 0 offset:8
	;; [unrolled: 1-line block ×3, first 2 shown]
	s_waitcnt vmcnt(0) lgkmcnt(0)
	ds_write_b128 v28, v[1:4]
	flat_load_dwordx4 v[1:4], v[5:6]
	v_add_co_u32 v5, vcc_lo, s6, v7
	v_add_co_ci_u32_e64 v6, null, s8, v8, vcc_lo
	buffer_store_dword v25, off, s[0:3], 0
	buffer_store_dword v25, off, s[0:3], 0 offset:4
	buffer_store_dword v25, off, s[0:3], 0 offset:8
	;; [unrolled: 1-line block ×3, first 2 shown]
	v_add_co_u32 v5, vcc_lo, v5, v26
	v_add_co_ci_u32_e64 v6, null, 0, v6, vcc_lo
	v_cmp_gt_i32_e32 vcc_lo, s9, v31
	v_cndmask_b32_e32 v5, 0, v5, vcc_lo
	v_cndmask_b32_e32 v6, s7, v6, vcc_lo
	s_waitcnt vmcnt(0) lgkmcnt(0)
	ds_write_b128 v30, v[1:4]
	flat_load_dwordx4 v[1:4], v[5:6]
	v_add_co_u32 v5, vcc_lo, s6, v11
	v_add_co_ci_u32_e64 v6, null, s8, v12, vcc_lo
	buffer_store_dword v25, off, s[0:3], 0
	buffer_store_dword v25, off, s[0:3], 0 offset:4
	buffer_store_dword v25, off, s[0:3], 0 offset:8
	;; [unrolled: 1-line block ×3, first 2 shown]
	v_add_co_u32 v5, vcc_lo, v5, v26
	v_add_co_ci_u32_e64 v6, null, 0, v6, vcc_lo
	v_cmp_gt_i32_e32 vcc_lo, s9, v36
	v_cndmask_b32_e32 v5, 0, v5, vcc_lo
	v_cndmask_b32_e32 v6, s7, v6, vcc_lo
	s_waitcnt vmcnt(0) lgkmcnt(0)
	ds_write_b128 v32, v[1:4]
	flat_load_dwordx4 v[3:6], v[5:6]
	v_sub_f32_e32 v1, v15, v21
	v_mul_f32_e32 v2, 0x3fb8aa3b, v1
	v_cmp_ngt_f32_e32 vcc_lo, 0xc2ce8ed0, v1
	v_fma_f32 v7, 0x3fb8aa3b, v1, -v2
	v_rndne_f32_e32 v8, v2
	v_fmac_f32_e32 v7, 0x32a5705f, v1
	v_sub_f32_e32 v2, v2, v8
	v_add_f32_e32 v2, v2, v7
	v_cvt_i32_f32_e32 v7, v8
	v_exp_f32_e32 v2, v2
	v_ldexp_f32 v2, v2, v7
	v_cndmask_b32_e32 v2, 0, v2, vcc_lo
	v_cmp_nlt_f32_e32 vcc_lo, 0x42b17218, v1
	v_cndmask_b32_e32 v1, 0x7f800000, v2, vcc_lo
	v_mov_b32_e32 v2, 0x10001
	v_cvt_f16_f32_e32 v7, v1
	v_mul_u32_u24_sdwa v8, v49, v2 dst_sel:DWORD dst_unused:UNUSED_PAD src0_sel:WORD_0 src1_sel:DWORD
	v_mul_u32_u24_sdwa v12, v49, v2 dst_sel:DWORD dst_unused:UNUSED_PAD src0_sel:WORD_1 src1_sel:DWORD
	v_mul_u32_u24_sdwa v15, v50, v2 dst_sel:DWORD dst_unused:UNUSED_PAD src0_sel:WORD_0 src1_sel:DWORD
	v_mul_u32_u24_sdwa v7, v7, v2 dst_sel:DWORD dst_unused:UNUSED_PAD src0_sel:WORD_0 src1_sel:DWORD
	v_pk_mul_f16 v11, v41, v8
	v_pk_mul_f16 v8, v42, v8
	v_pk_fma_f16 v11, v37, v7, v11
	v_pk_fma_f16 v7, v40, v7, v8
	;; [unrolled: 1-line block ×4, first 2 shown]
	v_mul_u32_u24_sdwa v11, v50, v2 dst_sel:DWORD dst_unused:UNUSED_PAD src0_sel:WORD_1 src1_sel:DWORD
	v_mul_u32_u24_sdwa v12, v51, v2 dst_sel:DWORD dst_unused:UNUSED_PAD src0_sel:WORD_0 src1_sel:DWORD
	v_pk_fma_f16 v8, v45, v15, v8
	v_pk_fma_f16 v7, v46, v15, v7
	v_mul_u32_u24_sdwa v15, v51, v2 dst_sel:DWORD dst_unused:UNUSED_PAD src0_sel:WORD_1 src1_sel:DWORD
	v_pk_fma_f16 v8, v47, v11, v8
	v_pk_fma_f16 v7, v48, v11, v7
	v_mul_u32_u24_sdwa v11, v52, v2 dst_sel:DWORD dst_unused:UNUSED_PAD src0_sel:WORD_0 src1_sel:DWORD
	v_pk_fma_f16 v8, v65, v12, v8
	v_pk_fma_f16 v7, v66, v12, v7
	v_mul_u32_u24_sdwa v12, v52, v2 dst_sel:DWORD dst_unused:UNUSED_PAD src0_sel:WORD_1 src1_sel:DWORD
	v_pk_fma_f16 v8, v67, v15, v8
	v_pk_fma_f16 v7, v68, v15, v7
	;; [unrolled: 6-line block ×12, first 2 shown]
	v_mul_u32_u24_sdwa v12, v63, v2 dst_sel:DWORD dst_unused:UNUSED_PAD src0_sel:WORD_0 src1_sel:DWORD
	v_pk_fma_f16 v8, v109, v15, v8
	v_pk_fma_f16 v7, v110, v15, v7
	v_mov_b32_e32 v15, v21
	v_pk_fma_f16 v8, v111, v11, v8
	v_pk_fma_f16 v7, v112, v11, v7
	v_mul_u32_u24_sdwa v11, v63, v2 dst_sel:DWORD dst_unused:UNUSED_PAD src0_sel:WORD_1 src1_sel:DWORD
	v_pk_fma_f16 v8, v113, v12, v8
	v_pk_fma_f16 v7, v114, v12, v7
	v_mul_u32_u24_sdwa v12, v64, v2 dst_sel:DWORD dst_unused:UNUSED_PAD src0_sel:WORD_0 src1_sel:DWORD
	v_pk_fma_f16 v8, v115, v11, v8
	v_pk_fma_f16 v7, v116, v11, v7
	v_mul_u32_u24_sdwa v11, v64, v2 dst_sel:DWORD dst_unused:UNUSED_PAD src0_sel:WORD_1 src1_sel:DWORD
	v_pk_fma_f16 v8, v117, v12, v8
	v_pk_fma_f16 v7, v118, v12, v7
	;; [unrolled: 1-line block ×4, first 2 shown]
	s_waitcnt vmcnt(0) lgkmcnt(0)
	ds_write_b128 v27, v[3:6]
	s_waitcnt lgkmcnt(0)
	s_waitcnt_vscnt null, 0x0
	s_barrier
	buffer_gl0_inv
	ds_read_b128 v[3:6], v22 offset:10304
	ds_read_b128 v[39:42], v22 offset:10320
	ds_read2_b64 v[25:28], v35 offset1:32
	ds_read2_b64 v[29:32], v35 offset0:64 offset1:96
	ds_read2_b64 v[43:46], v35 offset0:128 offset1:160
	s_waitcnt lgkmcnt(4)
	v_mul_u32_u24_sdwa v12, v3, v2 dst_sel:DWORD dst_unused:UNUSED_PAD src0_sel:WORD_0 src1_sel:DWORD
	v_mul_u32_u24_sdwa v3, v3, v2 dst_sel:DWORD dst_unused:UNUSED_PAD src0_sel:WORD_1 src1_sel:DWORD
	v_mul_u32_u24_sdwa v11, v4, v2 dst_sel:DWORD dst_unused:UNUSED_PAD src0_sel:WORD_0 src1_sel:DWORD
	v_mul_u32_u24_sdwa v4, v4, v2 dst_sel:DWORD dst_unused:UNUSED_PAD src0_sel:WORD_1 src1_sel:DWORD
	s_waitcnt lgkmcnt(2)
	v_pk_fma_f16 v8, v25, v12, v8
	v_pk_fma_f16 v7, v26, v12, v7
	v_mul_u32_u24_sdwa v12, v39, v2 dst_sel:DWORD dst_unused:UNUSED_PAD src0_sel:WORD_1 src1_sel:DWORD
	v_pk_fma_f16 v8, v27, v3, v8
	v_pk_fma_f16 v3, v28, v3, v7
	ds_read2_b64 v[25:28], v35 offset0:192 offset1:224
	s_waitcnt lgkmcnt(2)
	v_pk_fma_f16 v7, v29, v11, v8
	v_pk_fma_f16 v3, v30, v11, v3
	v_mul_u32_u24_sdwa v8, v5, v2 dst_sel:DWORD dst_unused:UNUSED_PAD src0_sel:WORD_0 src1_sel:DWORD
	v_pk_fma_f16 v7, v31, v4, v7
	v_pk_fma_f16 v3, v32, v4, v3
	ds_read2_b64 v[29:32], v38 offset1:32
	v_mul_u32_u24_sdwa v4, v5, v2 dst_sel:DWORD dst_unused:UNUSED_PAD src0_sel:WORD_1 src1_sel:DWORD
	s_waitcnt lgkmcnt(2)
	v_pk_fma_f16 v5, v43, v8, v7
	v_pk_fma_f16 v3, v44, v8, v3
	v_mul_u32_u24_sdwa v7, v6, v2 dst_sel:DWORD dst_unused:UNUSED_PAD src0_sel:WORD_0 src1_sel:DWORD
	v_pk_fma_f16 v5, v45, v4, v5
	v_pk_fma_f16 v3, v46, v4, v3
	ds_read2_b64 v[43:46], v38 offset0:64 offset1:96
	v_mul_u32_u24_sdwa v4, v6, v2 dst_sel:DWORD dst_unused:UNUSED_PAD src0_sel:WORD_1 src1_sel:DWORD
	s_waitcnt lgkmcnt(2)
	v_pk_fma_f16 v5, v25, v7, v5
	v_pk_fma_f16 v3, v26, v7, v3
	v_mul_u32_u24_sdwa v7, v39, v2 dst_sel:DWORD dst_unused:UNUSED_PAD src0_sel:WORD_0 src1_sel:DWORD
	v_pk_fma_f16 v8, v27, v4, v5
	v_pk_fma_f16 v11, v28, v4, v3
	ds_read2_b64 v[3:6], v38 offset0:128 offset1:160
	ds_read2_b64 v[25:28], v38 offset0:192 offset1:224
	ds_read2_b64 v[35:38], v10 offset1:32
	s_waitcnt lgkmcnt(4)
	v_pk_fma_f16 v8, v29, v7, v8
	v_pk_fma_f16 v7, v30, v7, v11
	v_mul_u32_u24_sdwa v11, v40, v2 dst_sel:DWORD dst_unused:UNUSED_PAD src0_sel:WORD_0 src1_sel:DWORD
	v_pk_fma_f16 v8, v31, v12, v8
	v_pk_fma_f16 v7, v32, v12, v7
	v_mul_u32_u24_sdwa v12, v40, v2 dst_sel:DWORD dst_unused:UNUSED_PAD src0_sel:WORD_1 src1_sel:DWORD
	ds_read_b128 v[29:32], v22 offset:10336
	s_waitcnt lgkmcnt(4)
	v_pk_fma_f16 v8, v43, v11, v8
	v_pk_fma_f16 v7, v44, v11, v7
	v_mul_u32_u24_sdwa v11, v41, v2 dst_sel:DWORD dst_unused:UNUSED_PAD src0_sel:WORD_0 src1_sel:DWORD
	v_pk_fma_f16 v8, v45, v12, v8
	v_pk_fma_f16 v7, v46, v12, v7
	v_mul_u32_u24_sdwa v12, v41, v2 dst_sel:DWORD dst_unused:UNUSED_PAD src0_sel:WORD_1 src1_sel:DWORD
	s_waitcnt lgkmcnt(3)
	v_pk_fma_f16 v3, v3, v11, v8
	v_pk_fma_f16 v4, v4, v11, v7
	v_mul_u32_u24_sdwa v7, v42, v2 dst_sel:DWORD dst_unused:UNUSED_PAD src0_sel:WORD_0 src1_sel:DWORD
	v_pk_fma_f16 v8, v5, v12, v3
	v_pk_fma_f16 v11, v6, v12, v4
	ds_read2_b64 v[3:6], v10 offset0:64 offset1:96
	v_mul_u32_u24_sdwa v12, v42, v2 dst_sel:DWORD dst_unused:UNUSED_PAD src0_sel:WORD_1 src1_sel:DWORD
	ds_read_b128 v[39:42], v22 offset:10352
	s_waitcnt lgkmcnt(4)
	v_pk_fma_f16 v8, v25, v7, v8
	v_pk_fma_f16 v7, v26, v7, v11
	s_waitcnt lgkmcnt(2)
	v_mul_u32_u24_sdwa v11, v29, v2 dst_sel:DWORD dst_unused:UNUSED_PAD src0_sel:WORD_0 src1_sel:DWORD
	v_pk_fma_f16 v8, v27, v12, v8
	v_pk_fma_f16 v7, v28, v12, v7
	ds_read2_b64 v[25:28], v10 offset0:128 offset1:160
	v_mul_u32_u24_sdwa v12, v29, v2 dst_sel:DWORD dst_unused:UNUSED_PAD src0_sel:WORD_1 src1_sel:DWORD
	v_pk_fma_f16 v8, v35, v11, v8
	v_pk_fma_f16 v7, v36, v11, v7
	v_mul_u32_u24_sdwa v11, v30, v2 dst_sel:DWORD dst_unused:UNUSED_PAD src0_sel:WORD_0 src1_sel:DWORD
	v_pk_fma_f16 v8, v37, v12, v8
	v_pk_fma_f16 v7, v38, v12, v7
	ds_read2_b64 v[35:38], v10 offset0:192 offset1:224
	v_mul_u32_u24_sdwa v10, v30, v2 dst_sel:DWORD dst_unused:UNUSED_PAD src0_sel:WORD_1 src1_sel:DWORD
	s_waitcnt lgkmcnt(3)
	v_pk_fma_f16 v3, v3, v11, v8
	v_pk_fma_f16 v4, v4, v11, v7
	v_mul_u32_u24_sdwa v7, v31, v2 dst_sel:DWORD dst_unused:UNUSED_PAD src0_sel:WORD_0 src1_sel:DWORD
	v_mul_u32_u24_sdwa v11, v31, v2 dst_sel:DWORD dst_unused:UNUSED_PAD src0_sel:WORD_1 src1_sel:DWORD
	v_pk_fma_f16 v8, v5, v10, v3
	v_pk_fma_f16 v10, v6, v10, v4
	ds_read2_b64 v[3:6], v9 offset1:32
	s_waitcnt lgkmcnt(2)
	v_pk_fma_f16 v8, v25, v7, v8
	v_pk_fma_f16 v7, v26, v7, v10
	v_mul_u32_u24_sdwa v10, v32, v2 dst_sel:DWORD dst_unused:UNUSED_PAD src0_sel:WORD_0 src1_sel:DWORD
	v_pk_fma_f16 v8, v27, v11, v8
	v_pk_fma_f16 v7, v28, v11, v7
	ds_read2_b64 v[25:28], v9 offset0:64 offset1:96
	v_mul_u32_u24_sdwa v11, v32, v2 dst_sel:DWORD dst_unused:UNUSED_PAD src0_sel:WORD_1 src1_sel:DWORD
	ds_read2_b64 v[29:32], v9 offset0:128 offset1:160
	s_waitcnt lgkmcnt(3)
	v_pk_fma_f16 v8, v35, v10, v8
	v_pk_fma_f16 v7, v36, v10, v7
	v_mul_u32_u24_sdwa v10, v39, v2 dst_sel:DWORD dst_unused:UNUSED_PAD src0_sel:WORD_0 src1_sel:DWORD
	v_pk_fma_f16 v8, v37, v11, v8
	v_pk_fma_f16 v7, v38, v11, v7
	v_mul_u32_u24_sdwa v11, v39, v2 dst_sel:DWORD dst_unused:UNUSED_PAD src0_sel:WORD_1 src1_sel:DWORD
	s_waitcnt lgkmcnt(2)
	v_pk_fma_f16 v3, v3, v10, v8
	v_pk_fma_f16 v4, v4, v10, v7
	v_mul_u32_u24_sdwa v7, v40, v2 dst_sel:DWORD dst_unused:UNUSED_PAD src0_sel:WORD_0 src1_sel:DWORD
	v_pk_fma_f16 v8, v5, v11, v3
	v_pk_fma_f16 v10, v6, v11, v4
	ds_read2_b64 v[3:6], v9 offset0:192 offset1:224
	v_mul_u32_u24_sdwa v9, v40, v2 dst_sel:DWORD dst_unused:UNUSED_PAD src0_sel:WORD_1 src1_sel:DWORD
	v_mul_u32_u24_sdwa v11, v42, v2 dst_sel:DWORD dst_unused:UNUSED_PAD src0_sel:WORD_1 src1_sel:DWORD
	s_waitcnt lgkmcnt(2)
	v_pk_fma_f16 v8, v25, v7, v8
	v_pk_fma_f16 v7, v26, v7, v10
	v_mul_u32_u24_sdwa v10, v41, v2 dst_sel:DWORD dst_unused:UNUSED_PAD src0_sel:WORD_0 src1_sel:DWORD
	s_waitcnt lgkmcnt(0)
	s_barrier
	v_pk_fma_f16 v8, v27, v9, v8
	v_pk_fma_f16 v7, v28, v9, v7
	v_mul_u32_u24_sdwa v9, v41, v2 dst_sel:DWORD dst_unused:UNUSED_PAD src0_sel:WORD_1 src1_sel:DWORD
	buffer_gl0_inv
	v_pk_fma_f16 v8, v29, v10, v8
	v_pk_fma_f16 v7, v30, v10, v7
	v_mul_u32_u24_sdwa v10, v42, v2 dst_sel:DWORD dst_unused:UNUSED_PAD src0_sel:WORD_0 src1_sel:DWORD
	v_mov_b32_e32 v2, 32
	v_pk_fma_f16 v8, v31, v9, v8
	v_pk_fma_f16 v7, v32, v9, v7
	v_add_f32_e32 v9, v23, v24
	v_pk_fma_f16 v3, v3, v10, v8
	v_pk_fma_f16 v4, v4, v10, v7
	v_fmac_f32_e32 v9, v13, v1
	v_pk_fma_f16 v37, v5, v11, v3
	v_pk_fma_f16 v40, v6, v11, v4
	v_mov_b32_e32 v13, v9
.LBB90_47:
	v_cmp_lt_i32_e32 vcc_lo, v17, v2
	s_cmp_eq_u64 s[20:21], 0
	s_cselect_b32 s6, -1, 0
	s_cmp_lg_u32 s34, 0
	v_cndmask_b32_e32 v1, v34, v17, vcc_lo
	v_cmp_lt_i32_e32 vcc_lo, v16, v2
	s_cselect_b32 s7, -1, 0
	s_or_b32 s6, s7, s6
	v_lshlrev_b32_e32 v1, 2, v1
	v_cndmask_b32_e32 v3, v34, v16, vcc_lo
	v_cmp_lt_i32_e32 vcc_lo, v18, v2
	ds_bpermute_b32 v1, v1, v13
	v_lshlrev_b32_e32 v3, 2, v3
	v_cndmask_b32_e32 v4, v34, v18, vcc_lo
	v_cmp_lt_i32_e32 vcc_lo, v19, v2
	v_lshlrev_b32_e32 v4, 2, v4
	s_waitcnt lgkmcnt(0)
	v_add_f32_e32 v1, v13, v1
	ds_bpermute_b32 v3, v3, v1
	s_waitcnt lgkmcnt(0)
	v_add_f32_e32 v1, v1, v3
	ds_bpermute_b32 v3, v4, v1
	v_cndmask_b32_e32 v4, v34, v19, vcc_lo
	v_cmp_lt_i32_e32 vcc_lo, v20, v2
	v_lshlrev_b32_e32 v4, 2, v4
	v_cndmask_b32_e32 v2, v34, v20, vcc_lo
	s_and_b32 vcc_lo, exec_lo, s6
	v_lshlrev_b32_e32 v2, 2, v2
	s_waitcnt lgkmcnt(0)
	v_add_f32_e32 v1, v1, v3
	ds_bpermute_b32 v3, v4, v1
	s_waitcnt lgkmcnt(0)
	v_add_f32_e32 v1, v1, v3
	ds_bpermute_b32 v2, v2, v1
	s_waitcnt lgkmcnt(0)
	v_add_f32_e32 v16, v1, v2
	s_cbranch_vccnz .LBB90_49
; %bb.48:
	s_lshl_b64 s[6:7], s[40:41], 2
	v_mov_b32_e32 v1, 0
	s_add_u32 s6, s20, s6
	s_addc_u32 s7, s21, s7
	v_max_f32_e32 v2, v15, v15
	global_load_dword v1, v1, s[6:7]
	s_waitcnt vmcnt(0)
	v_max_f32_e32 v3, v1, v1
	v_max_f32_e32 v2, v2, v3
	v_sub_f32_e32 v3, v15, v2
	v_sub_f32_e32 v1, v1, v2
	v_mov_b32_e32 v15, v2
	v_mul_f32_e32 v4, 0x3fb8aa3b, v3
	v_mul_f32_e32 v5, 0x3fb8aa3b, v1
	v_cmp_ngt_f32_e32 vcc_lo, 0xc2ce8ed0, v3
	v_fma_f32 v6, 0x3fb8aa3b, v3, -v4
	v_rndne_f32_e32 v7, v4
	v_fma_f32 v8, 0x3fb8aa3b, v1, -v5
	v_rndne_f32_e32 v9, v5
	v_fmac_f32_e32 v6, 0x32a5705f, v3
	v_sub_f32_e32 v4, v4, v7
	v_fmac_f32_e32 v8, 0x32a5705f, v1
	v_sub_f32_e32 v5, v5, v9
	v_add_f32_e32 v4, v4, v6
	v_cvt_i32_f32_e32 v6, v7
	v_add_f32_e32 v5, v5, v8
	v_cvt_i32_f32_e32 v7, v9
	v_exp_f32_e32 v4, v4
	v_exp_f32_e32 v5, v5
	v_ldexp_f32 v4, v4, v6
	v_ldexp_f32 v5, v5, v7
	v_cndmask_b32_e32 v4, 0, v4, vcc_lo
	v_cmp_ngt_f32_e32 vcc_lo, 0xc2ce8ed0, v1
	v_cndmask_b32_e32 v5, 0, v5, vcc_lo
	v_cmp_nlt_f32_e32 vcc_lo, 0x42b17218, v3
	v_cndmask_b32_e32 v3, 0x7f800000, v4, vcc_lo
	v_cmp_nlt_f32_e32 vcc_lo, 0x42b17218, v1
	v_mov_b32_e32 v4, 0x10001
	v_cndmask_b32_e32 v1, 0x7f800000, v5, vcc_lo
	v_cvt_f16_f32_e32 v5, v3
	v_fmac_f32_e32 v1, v16, v3
	v_mul_u32_u24_sdwa v3, v5, v4 dst_sel:DWORD dst_unused:UNUSED_PAD src0_sel:WORD_0 src1_sel:DWORD
	v_mov_b32_e32 v16, v1
	v_pk_mul_f16 v37, v37, v3
	v_pk_mul_f16 v40, v40, v3
.LBB90_49:
	s_mov_b32 s6, exec_lo
	v_cmpx_gt_i32_e64 s30, v14
	s_cbranch_execz .LBB90_52
; %bb.50:
	v_div_scale_f32 v3, null, v16, v16, 1.0
	s_load_dword s5, s[4:5], 0xd4
	v_div_scale_f32 v5, vcc_lo, 1.0, v16, 1.0
	v_rcp_f32_e32 v4, v3
	v_cmp_eq_u32_e64 s4, 0, v0
	v_cvt_f32_f16_e32 v8, v40
	v_cvt_f32_f16_sdwa v9, v40 dst_sel:DWORD dst_unused:UNUSED_PAD src0_sel:WORD_1
	v_fma_f32 v1, -v3, v4, 1.0
	v_fmac_f32_e32 v4, v1, v4
	v_mad_u64_u32 v[1:2], null, s33, s30, v[14:15]
	s_waitcnt lgkmcnt(0)
	s_cmp_lg_u32 s5, 1
	v_mul_f32_e32 v6, v5, v4
	v_mad_u64_u32 v[1:2], null, v1, s31, s[40:41]
	v_fma_f32 v7, -v3, v6, v5
	v_fmac_f32_e32 v6, v7, v4
	v_mad_u64_u32 v[1:2], null, s5, v1, s[34:35]
	s_cselect_b32 s5, -1, 0
	v_fma_f32 v2, -v3, v6, v5
	v_mov_b32_e32 v3, 0
	v_cvt_f32_f16_sdwa v5, v37 dst_sel:DWORD dst_unused:UNUSED_PAD src0_sel:WORD_1
	s_and_b32 s4, s4, s5
	v_div_fmas_f32 v0, v2, v4, v6
	v_lshl_add_u32 v2, v1, 7, v33
	v_cvt_f32_f16_e32 v4, v37
	v_div_fixup_f32 v0, v0, v16, 1.0
	v_lshlrev_b64 v[2:3], 2, v[2:3]
	v_cndmask_b32_e64 v0, v0, 1.0, s5
	v_add_co_u32 v6, vcc_lo, s24, v2
	v_add_co_ci_u32_e64 v7, null, s25, v3, vcc_lo
	v_mul_f32_e32 v2, v0, v4
	v_mul_f32_e32 v3, v0, v5
	;; [unrolled: 1-line block ×4, first 2 shown]
	global_store_dwordx4 v[6:7], v[2:5], off
	s_and_b32 exec_lo, exec_lo, s4
	s_cbranch_execz .LBB90_52
; %bb.51:
	v_ashrrev_i32_e32 v2, 31, v1
	v_lshlrev_b64 v[0:1], 3, v[1:2]
	v_add_co_u32 v0, vcc_lo, s26, v0
	v_add_co_ci_u32_e64 v1, null, s27, v1, vcc_lo
	global_store_dwordx2 v[0:1], v[15:16], off
.LBB90_52:
	s_endpgm
	.section	.rodata,"a",@progbits
	.p2align	6, 0x0
	.amdhsa_kernel _ZL15flash_attn_tileILi128ELi128ELi4ELi1ELb1EEvPKcS1_S1_S1_S1_PKiPfP15HIP_vector_typeIfLj2EEffffjfiS5_IjLj3EEiiiiiiiiiiiliiliiiiil
		.amdhsa_group_segment_fixed_size 10752
		.amdhsa_private_segment_fixed_size 32
		.amdhsa_kernarg_size 464
		.amdhsa_user_sgpr_count 8
		.amdhsa_user_sgpr_private_segment_buffer 1
		.amdhsa_user_sgpr_dispatch_ptr 0
		.amdhsa_user_sgpr_queue_ptr 0
		.amdhsa_user_sgpr_kernarg_segment_ptr 1
		.amdhsa_user_sgpr_dispatch_id 0
		.amdhsa_user_sgpr_flat_scratch_init 1
		.amdhsa_user_sgpr_private_segment_size 0
		.amdhsa_wavefront_size32 1
		.amdhsa_uses_dynamic_stack 0
		.amdhsa_system_sgpr_private_segment_wavefront_offset 1
		.amdhsa_system_sgpr_workgroup_id_x 1
		.amdhsa_system_sgpr_workgroup_id_y 1
		.amdhsa_system_sgpr_workgroup_id_z 1
		.amdhsa_system_sgpr_workgroup_info 0
		.amdhsa_system_vgpr_workitem_id 1
		.amdhsa_next_free_vgpr 123
		.amdhsa_next_free_sgpr 52
		.amdhsa_reserve_vcc 1
		.amdhsa_reserve_flat_scratch 1
		.amdhsa_float_round_mode_32 0
		.amdhsa_float_round_mode_16_64 0
		.amdhsa_float_denorm_mode_32 3
		.amdhsa_float_denorm_mode_16_64 3
		.amdhsa_dx10_clamp 1
		.amdhsa_ieee_mode 1
		.amdhsa_fp16_overflow 0
		.amdhsa_workgroup_processor_mode 1
		.amdhsa_memory_ordered 1
		.amdhsa_forward_progress 1
		.amdhsa_shared_vgpr_count 0
		.amdhsa_exception_fp_ieee_invalid_op 0
		.amdhsa_exception_fp_denorm_src 0
		.amdhsa_exception_fp_ieee_div_zero 0
		.amdhsa_exception_fp_ieee_overflow 0
		.amdhsa_exception_fp_ieee_underflow 0
		.amdhsa_exception_fp_ieee_inexact 0
		.amdhsa_exception_int_div_zero 0
	.end_amdhsa_kernel
	.section	.text._ZL15flash_attn_tileILi128ELi128ELi4ELi1ELb1EEvPKcS1_S1_S1_S1_PKiPfP15HIP_vector_typeIfLj2EEffffjfiS5_IjLj3EEiiiiiiiiiiiliiliiiiil,"axG",@progbits,_ZL15flash_attn_tileILi128ELi128ELi4ELi1ELb1EEvPKcS1_S1_S1_S1_PKiPfP15HIP_vector_typeIfLj2EEffffjfiS5_IjLj3EEiiiiiiiiiiiliiliiiiil,comdat
.Lfunc_end90:
	.size	_ZL15flash_attn_tileILi128ELi128ELi4ELi1ELb1EEvPKcS1_S1_S1_S1_PKiPfP15HIP_vector_typeIfLj2EEffffjfiS5_IjLj3EEiiiiiiiiiiiliiliiiiil, .Lfunc_end90-_ZL15flash_attn_tileILi128ELi128ELi4ELi1ELb1EEvPKcS1_S1_S1_S1_PKiPfP15HIP_vector_typeIfLj2EEffffjfiS5_IjLj3EEiiiiiiiiiiiliiliiiiil
                                        ; -- End function
	.set _ZL15flash_attn_tileILi128ELi128ELi4ELi1ELb1EEvPKcS1_S1_S1_S1_PKiPfP15HIP_vector_typeIfLj2EEffffjfiS5_IjLj3EEiiiiiiiiiiiliiliiiiil.num_vgpr, 123
	.set _ZL15flash_attn_tileILi128ELi128ELi4ELi1ELb1EEvPKcS1_S1_S1_S1_PKiPfP15HIP_vector_typeIfLj2EEffffjfiS5_IjLj3EEiiiiiiiiiiiliiliiiiil.num_agpr, 0
	.set _ZL15flash_attn_tileILi128ELi128ELi4ELi1ELb1EEvPKcS1_S1_S1_S1_PKiPfP15HIP_vector_typeIfLj2EEffffjfiS5_IjLj3EEiiiiiiiiiiiliiliiiiil.numbered_sgpr, 52
	.set _ZL15flash_attn_tileILi128ELi128ELi4ELi1ELb1EEvPKcS1_S1_S1_S1_PKiPfP15HIP_vector_typeIfLj2EEffffjfiS5_IjLj3EEiiiiiiiiiiiliiliiiiil.num_named_barrier, 0
	.set _ZL15flash_attn_tileILi128ELi128ELi4ELi1ELb1EEvPKcS1_S1_S1_S1_PKiPfP15HIP_vector_typeIfLj2EEffffjfiS5_IjLj3EEiiiiiiiiiiiliiliiiiil.private_seg_size, 32
	.set _ZL15flash_attn_tileILi128ELi128ELi4ELi1ELb1EEvPKcS1_S1_S1_S1_PKiPfP15HIP_vector_typeIfLj2EEffffjfiS5_IjLj3EEiiiiiiiiiiiliiliiiiil.uses_vcc, 1
	.set _ZL15flash_attn_tileILi128ELi128ELi4ELi1ELb1EEvPKcS1_S1_S1_S1_PKiPfP15HIP_vector_typeIfLj2EEffffjfiS5_IjLj3EEiiiiiiiiiiiliiliiiiil.uses_flat_scratch, 1
	.set _ZL15flash_attn_tileILi128ELi128ELi4ELi1ELb1EEvPKcS1_S1_S1_S1_PKiPfP15HIP_vector_typeIfLj2EEffffjfiS5_IjLj3EEiiiiiiiiiiiliiliiiiil.has_dyn_sized_stack, 0
	.set _ZL15flash_attn_tileILi128ELi128ELi4ELi1ELb1EEvPKcS1_S1_S1_S1_PKiPfP15HIP_vector_typeIfLj2EEffffjfiS5_IjLj3EEiiiiiiiiiiiliiliiiiil.has_recursion, 0
	.set _ZL15flash_attn_tileILi128ELi128ELi4ELi1ELb1EEvPKcS1_S1_S1_S1_PKiPfP15HIP_vector_typeIfLj2EEffffjfiS5_IjLj3EEiiiiiiiiiiiliiliiiiil.has_indirect_call, 0
	.section	.AMDGPU.csdata,"",@progbits
; Kernel info:
; codeLenInByte = 18556
; TotalNumSgprs: 54
; NumVgprs: 123
; ScratchSize: 32
; MemoryBound: 0
; FloatMode: 240
; IeeeMode: 1
; LDSByteSize: 10752 bytes/workgroup (compile time only)
; SGPRBlocks: 0
; VGPRBlocks: 15
; NumSGPRsForWavesPerEU: 54
; NumVGPRsForWavesPerEU: 123
; Occupancy: 8
; WaveLimiterHint : 1
; COMPUTE_PGM_RSRC2:SCRATCH_EN: 1
; COMPUTE_PGM_RSRC2:USER_SGPR: 8
; COMPUTE_PGM_RSRC2:TRAP_HANDLER: 0
; COMPUTE_PGM_RSRC2:TGID_X_EN: 1
; COMPUTE_PGM_RSRC2:TGID_Y_EN: 1
; COMPUTE_PGM_RSRC2:TGID_Z_EN: 1
; COMPUTE_PGM_RSRC2:TIDIG_COMP_CNT: 1
	.section	.text._ZL15flash_attn_tileILi128ELi128ELi2ELi1ELb1EEvPKcS1_S1_S1_S1_PKiPfP15HIP_vector_typeIfLj2EEffffjfiS5_IjLj3EEiiiiiiiiiiiliiliiiiil,"axG",@progbits,_ZL15flash_attn_tileILi128ELi128ELi2ELi1ELb1EEvPKcS1_S1_S1_S1_PKiPfP15HIP_vector_typeIfLj2EEffffjfiS5_IjLj3EEiiiiiiiiiiiliiliiiiil,comdat
	.globl	_ZL15flash_attn_tileILi128ELi128ELi2ELi1ELb1EEvPKcS1_S1_S1_S1_PKiPfP15HIP_vector_typeIfLj2EEffffjfiS5_IjLj3EEiiiiiiiiiiiliiliiiiil ; -- Begin function _ZL15flash_attn_tileILi128ELi128ELi2ELi1ELb1EEvPKcS1_S1_S1_S1_PKiPfP15HIP_vector_typeIfLj2EEffffjfiS5_IjLj3EEiiiiiiiiiiiliiliiiiil
	.p2align	8
	.type	_ZL15flash_attn_tileILi128ELi128ELi2ELi1ELb1EEvPKcS1_S1_S1_S1_PKiPfP15HIP_vector_typeIfLj2EEffffjfiS5_IjLj3EEiiiiiiiiiiiliiliiiiil,@function
_ZL15flash_attn_tileILi128ELi128ELi2ELi1ELb1EEvPKcS1_S1_S1_S1_PKiPfP15HIP_vector_typeIfLj2EEffffjfiS5_IjLj3EEiiiiiiiiiiiliiliiiiil: ; @_ZL15flash_attn_tileILi128ELi128ELi2ELi1ELb1EEvPKcS1_S1_S1_S1_PKiPfP15HIP_vector_typeIfLj2EEffffjfiS5_IjLj3EEiiiiiiiiiiiliiliiiiil
; %bb.0:
	s_add_u32 s6, s6, s11
	s_addc_u32 s7, s7, 0
	s_setreg_b32 hwreg(HW_REG_FLAT_SCR_LO), s6
	s_setreg_b32 hwreg(HW_REG_FLAT_SCR_HI), s7
	s_clause 0x1
	s_load_dwordx4 s[28:31], s[4:5], 0x5c
	s_load_dwordx2 s[44:45], s[4:5], 0x80
	s_add_u32 s0, s0, s11
	s_addc_u32 s1, s1, 0
	s_mov_b32 s34, s9
	s_load_dwordx2 s[46:47], s[4:5], 0xb8
	s_mov_b64 s[42:43], 0
	s_waitcnt lgkmcnt(0)
	v_cvt_f32_u32_e32 v2, s31
	s_sub_i32 s7, 0, s31
	v_rcp_iflag_f32_e32 v2, v2
	v_mul_f32_e32 v2, 0x4f7ffffe, v2
	v_cvt_u32_f32_e32 v2, v2
	v_readfirstlane_b32 s6, v2
	s_mul_i32 s7, s7, s6
	s_mul_hi_u32 s7, s6, s7
	s_add_i32 s6, s6, s7
	s_mul_hi_u32 s6, s10, s6
	s_mul_i32 s7, s6, s31
	s_add_i32 s9, s6, 1
	s_sub_i32 s7, s10, s7
	s_sub_i32 s11, s7, s31
	s_cmp_ge_u32 s7, s31
	s_cselect_b32 s6, s9, s6
	s_cselect_b32 s7, s11, s7
	s_add_i32 s9, s6, 1
	s_cmp_ge_u32 s7, s31
	s_cselect_b32 s33, s9, s6
	s_abs_i32 s6, s45
	s_abs_i32 s12, s31
	v_cvt_f32_u32_e32 v2, s6
	s_sub_i32 s9, 0, s6
	s_mul_i32 s11, s33, s31
	s_sub_i32 s40, s10, s11
	v_rcp_iflag_f32_e32 v2, v2
	v_mul_f32_e32 v2, 0x4f7ffffe, v2
	v_cvt_u32_f32_e32 v2, v2
	v_readfirstlane_b32 s7, v2
	s_mul_i32 s9, s9, s7
	s_mul_hi_u32 s9, s7, s9
	s_add_i32 s7, s7, s9
	s_xor_b32 s9, s31, s45
	s_mul_hi_u32 s7, s12, s7
	s_ashr_i32 s9, s9, 31
	s_mul_i32 s10, s7, s6
	s_add_i32 s11, s7, 1
	s_sub_i32 s10, s12, s10
	s_sub_i32 s12, s10, s6
	s_cmp_ge_u32 s10, s6
	s_cselect_b32 s7, s11, s7
	s_cselect_b32 s10, s12, s10
	s_add_i32 s11, s7, 1
	s_cmp_ge_u32 s10, s6
	s_load_dwordx16 s[12:27], s[4:5], 0x0
	s_cselect_b32 s6, s11, s7
	s_abs_i32 s45, s40
	s_xor_b32 s6, s6, s9
	s_sub_i32 s10, s6, s9
	s_abs_i32 s35, s10
	v_cvt_f32_u32_e32 v2, s35
	s_sub_i32 s7, 0, s35
	v_rcp_iflag_f32_e32 v2, v2
	v_mul_f32_e32 v2, 0x4f7ffffe, v2
	v_cvt_u32_f32_e32 v2, v2
	v_readfirstlane_b32 s6, v2
	s_mul_i32 s7, s7, s6
	s_mul_hi_u32 s7, s6, s7
	s_add_i32 s6, s6, s7
	s_waitcnt lgkmcnt(0)
	s_cmp_eq_u64 s[18:19], 0
	s_cbranch_scc1 .LBB91_2
; %bb.1:
	s_abs_i32 s7, s46
	s_abs_i32 s38, s33
	v_cvt_f32_u32_e32 v2, s7
	s_sub_i32 s11, 0, s7
	s_load_dwordx2 s[36:37], s[4:5], 0xc8
	v_rcp_iflag_f32_e32 v2, v2
	v_mul_f32_e32 v2, 0x4f7ffffe, v2
	v_cvt_u32_f32_e32 v2, v2
	v_readfirstlane_b32 s9, v2
	s_mul_i32 s11, s11, s9
	s_mul_hi_u32 s11, s9, s11
	s_add_i32 s9, s9, s11
	s_ashr_i32 s11, s33, 31
	s_mul_hi_u32 s9, s38, s9
	s_mul_i32 s9, s9, s7
	s_sub_i32 s9, s38, s9
	s_sub_i32 s38, s9, s7
	s_cmp_ge_u32 s9, s7
	s_cselect_b32 s9, s38, s9
	s_sub_i32 s38, s9, s7
	s_cmp_ge_u32 s9, s7
	s_cselect_b32 s7, s38, s9
	s_xor_b32 s7, s7, s11
	s_sub_i32 s7, s7, s11
	s_ashr_i32 s9, s7, 31
	s_waitcnt lgkmcnt(0)
	s_mul_hi_u32 s11, s36, s7
	s_mul_i32 s9, s36, s9
	s_add_i32 s9, s11, s9
	s_mul_i32 s11, s37, s7
	s_mul_i32 s7, s36, s7
	s_add_i32 s9, s9, s11
	s_add_u32 s42, s18, s7
	s_addc_u32 s43, s19, s9
.LBB91_2:
	s_clause 0x1
	s_load_dwordx4 s[36:39], s[4:5], 0x40
	s_load_dwordx2 s[18:19], s[4:5], 0x50
	v_mov_b32_e32 v42, 1.0
	s_waitcnt lgkmcnt(0)
	v_cmp_le_f32_e64 s7, s37, 0
	s_mul_hi_u32 s37, s45, s6
	s_and_b32 vcc_lo, exec_lo, s7
	s_cbranch_vccnz .LBB91_4
; %bb.3:
	v_sub_co_u32 v3, vcc_lo, s40, s18
	v_mov_b32_e32 v2, s38
	s_add_i32 s6, s40, 1
	v_lshlrev_b32_e32 v3, 1, v3
	v_cndmask_b32_e32 v2, s39, v2, vcc_lo
	v_or_b32_e32 v3, 1, v3
	v_cndmask_b32_e64 v3, v3, s6, vcc_lo
	v_cmp_neq_f32_e32 vcc_lo, 1.0, v2
	s_mov_b32 s6, 0x3e76c4e1
	v_cvt_f32_i32_e32 v3, v3
	v_cndmask_b32_e32 v4, 1.0, v3, vcc_lo
	v_cmp_neq_f32_e32 vcc_lo, 0, v4
	v_cndmask_b32_e32 v5, 1.0, v2, vcc_lo
	v_frexp_mant_f32_e64 v2, |v5|
	v_cmp_eq_f32_e64 s9, 0, v5
	v_cmp_gt_f32_e32 vcc_lo, 0x3f2aaaab, v2
	v_cndmask_b32_e64 v3, 1.0, 2.0, vcc_lo
	v_mul_f32_e32 v2, v2, v3
	v_add_f32_e32 v3, 1.0, v2
	v_add_f32_e32 v7, -1.0, v2
	v_rcp_f32_e32 v6, v3
	v_add_f32_e32 v9, -1.0, v3
	v_sub_f32_e32 v2, v2, v9
	v_mul_f32_e32 v8, v7, v6
	v_mul_f32_e32 v10, v3, v8
	v_fma_f32 v3, v8, v3, -v10
	v_fmac_f32_e32 v3, v8, v2
	v_add_f32_e32 v2, v10, v3
	v_sub_f32_e32 v9, v7, v2
	v_sub_f32_e32 v10, v2, v10
	;; [unrolled: 1-line block ×5, first 2 shown]
	v_add_f32_e32 v2, v3, v2
	v_add_f32_e32 v2, v9, v2
	v_mul_f32_e32 v2, v6, v2
	v_add_f32_e32 v6, v8, v2
	v_sub_f32_e32 v3, v6, v8
	v_mul_f32_e32 v7, v6, v6
	v_sub_f32_e32 v8, v2, v3
	v_fma_f32 v2, v6, v6, -v7
	v_add_f32_e32 v3, v8, v8
	v_fmac_f32_e32 v2, v6, v3
	v_add_f32_e32 v9, v7, v2
	v_fmaak_f32 v3, s6, v9, 0x3e91f4c4
	v_sub_f32_e32 v7, v9, v7
	v_mul_f32_e32 v14, v6, v9
	v_fmaak_f32 v3, v9, v3, 0x3ecccdef
	v_sub_f32_e32 v7, v2, v7
	v_fma_f32 v15, v9, v6, -v14
	v_mul_f32_e32 v10, v9, v3
	v_fmac_f32_e32 v15, v9, v8
	v_ldexp_f32 v8, v8, 1
	v_fma_f32 v11, v9, v3, -v10
	v_fmac_f32_e32 v15, v7, v6
	v_fmac_f32_e32 v11, v7, v3
	v_cvt_f64_f32_e64 v[2:3], |v5|
	v_add_f32_e32 v12, v10, v11
	v_sub_f32_e32 v10, v12, v10
	v_add_f32_e32 v13, 0x3f2aaaaa, v12
	v_sub_f32_e32 v10, v11, v10
	v_add_f32_e32 v11, 0xbf2aaaaa, v13
	v_add_f32_e32 v10, 0x31739010, v10
	v_sub_f32_e32 v11, v12, v11
	v_frexp_exp_i32_f64_e32 v2, v[2:3]
	v_add_f32_e32 v9, v10, v11
	v_add_f32_e32 v10, v14, v15
	;; [unrolled: 1-line block ×3, first 2 shown]
	v_sub_f32_e32 v12, v10, v14
	v_sub_f32_e32 v3, v13, v7
	v_mul_f32_e32 v11, v10, v7
	v_sub_f32_e32 v12, v15, v12
	v_add_f32_e32 v3, v9, v3
	v_fma_f32 v9, v10, v7, -v11
	v_subrev_co_ci_u32_e64 v2, null, 0, v2, vcc_lo
	v_fmac_f32_e32 v9, v10, v3
	v_ldexp_f32 v3, v6, 1
	v_cvt_f32_i32_e32 v2, v2
	v_fmac_f32_e32 v9, v12, v7
	v_add_f32_e32 v6, v11, v9
	v_add_f32_e32 v7, v3, v6
	v_sub_f32_e32 v10, v6, v11
	v_mul_f32_e32 v11, 0x3f317218, v2
	v_sub_f32_e32 v3, v7, v3
	v_sub_f32_e32 v9, v9, v10
	v_fma_f32 v10, 0x3f317218, v2, -v11
	v_sub_f32_e32 v3, v6, v3
	v_add_f32_e32 v6, v8, v9
	v_fmamk_f32 v2, v2, 0xb102e308, v10
	v_add_f32_e32 v3, v6, v3
	v_add_f32_e32 v6, v11, v2
	;; [unrolled: 1-line block ×3, first 2 shown]
	v_sub_f32_e32 v11, v6, v11
	v_add_f32_e32 v9, v6, v8
	v_sub_f32_e32 v7, v8, v7
	v_sub_f32_e32 v2, v2, v11
	;; [unrolled: 1-line block ×6, first 2 shown]
	v_add_f32_e32 v8, v2, v3
	v_sub_f32_e32 v6, v6, v12
	v_add_f32_e32 v6, v7, v6
	v_sub_f32_e32 v7, v8, v2
	;; [unrolled: 2-line block ×3, first 2 shown]
	v_sub_f32_e32 v3, v3, v7
	v_add_f32_e32 v10, v9, v6
	v_sub_f32_e32 v2, v2, v8
	v_sub_f32_e32 v7, v10, v9
	v_add_f32_e32 v2, v3, v2
	v_sub_f32_e32 v3, v6, v7
	v_add_f32_e32 v2, v2, v3
	v_add_f32_e32 v3, v10, v2
	v_sub_f32_e32 v6, v3, v10
	v_mul_f32_e32 v7, v4, v3
	v_sub_f32_e32 v2, v2, v6
	v_fma_f32 v3, v4, v3, -v7
	v_cmp_class_f32_e64 vcc_lo, v7, 0x204
	v_fmac_f32_e32 v3, v4, v2
	v_add_f32_e32 v2, v7, v3
	v_cndmask_b32_e32 v6, v2, v7, vcc_lo
	v_sub_f32_e32 v2, v2, v7
	v_cmp_eq_f32_e32 vcc_lo, 0x42b17218, v6
	v_sub_f32_e32 v2, v3, v2
	v_cndmask_b32_e64 v8, 0, 0x37000000, vcc_lo
	v_cmp_neq_f32_e64 vcc_lo, 0x7f800000, |v6|
	v_sub_f32_e32 v9, v6, v8
	v_cndmask_b32_e32 v2, 0, v2, vcc_lo
	v_trunc_f32_e32 v6, v4
	v_mul_f32_e32 v10, 0x3fb8aa3b, v9
	v_cmp_ngt_f32_e32 vcc_lo, 0xc2ce8ed0, v9
	v_add_f32_e32 v2, v8, v2
	v_fma_f32 v11, 0x3fb8aa3b, v9, -v10
	v_rndne_f32_e32 v12, v10
	v_fmamk_f32 v11, v9, 0x32a5705f, v11
	v_sub_f32_e32 v10, v10, v12
	v_cvt_i32_f32_e32 v7, v12
	v_add_f32_e32 v10, v10, v11
	v_exp_f32_e32 v10, v10
	v_ldexp_f32 v3, v10, v7
	v_mul_f32_e32 v7, 0.5, v4
	v_cndmask_b32_e32 v3, 0, v3, vcc_lo
	v_cmp_nlt_f32_e32 vcc_lo, 0x42b17218, v9
	v_trunc_f32_e32 v10, v7
	v_cndmask_b32_e32 v3, 0x7f800000, v3, vcc_lo
	v_cmp_eq_f32_e32 vcc_lo, v6, v4
	v_cmp_neq_f32_e64 s6, v10, v7
	v_fma_f32 v2, v3, v2, v3
	v_cmp_class_f32_e64 s7, v3, 0x204
	s_and_b32 s6, vcc_lo, s6
	v_cndmask_b32_e64 v6, 1.0, v5, s6
	v_cndmask_b32_e64 v2, v2, v3, s7
	v_cmp_gt_f32_e64 s7, 0, v4
	v_bfi_b32 v2, 0x7fffffff, v2, v6
	s_xor_b32 s7, s7, s9
	v_cndmask_b32_e64 v6, 0, v5, s6
	v_cndmask_b32_e64 v3, 0x7f800000, 0, s7
	v_cmp_class_f32_e64 s6, v5, 0x204
	v_cndmask_b32_e32 v4, 0x7fc00000, v2, vcc_lo
	v_cmp_gt_f32_e32 vcc_lo, 0, v5
	v_bfi_b32 v3, 0x7fffffff, v3, v6
	v_cndmask_b32_e32 v2, v2, v4, vcc_lo
	s_or_b32 vcc_lo, s9, s6
	v_cndmask_b32_e32 v2, v2, v3, vcc_lo
	v_cmp_o_f32_e32 vcc_lo, v5, v5
	v_cndmask_b32_e32 v42, 0x7fc00000, v2, vcc_lo
.LBB91_4:
	v_lshl_add_u32 v18, s8, 1, v1
	s_load_dwordx4 s[48:51], s[4:5], 0x70
	s_ashr_i32 s41, s40, 31
	v_lshlrev_b32_e32 v39, 3, v0
	v_lshl_add_u32 v46, v1, 8, 0x1200
	v_mul_hi_u32 v2, s28, v18
	s_ashr_i32 s28, s10, 31
	v_mov_b32_e32 v48, 0
	v_add_nc_u32_e32 v6, v46, v39
	v_add_nc_u32_e32 v2, v18, v2
	v_lshrrev_b32_e32 v2, s29, v2
	s_waitcnt lgkmcnt(0)
	s_mul_i32 s6, s33, s50
	s_mul_i32 s7, s40, s49
	v_mul_lo_u32 v2, v2, s30
	s_ashr_i32 s9, s6, 31
	s_add_u32 s6, s12, s6
	s_addc_u32 s9, s13, s9
	s_ashr_i32 s10, s7, 31
	s_add_u32 s11, s6, s7
	s_addc_u32 s9, s9, s10
	s_ashr_i32 s49, s48, 31
	v_sub_nc_u32_e32 v44, v18, v2
	s_lshr_b64 s[6:7], s[48:49], 2
	s_mov_b32 s7, 0
	v_mad_u64_u32 v[2:3], null, s6, v44, 0
	s_lshr_b32 s6, s49, 2
	s_cmp_eq_u64 s[22:23], 0
	v_mad_u64_u32 v[3:4], null, s6, v44, v[3:4]
	v_lshlrev_b32_e32 v4, 4, v0
	v_lshlrev_b64 v[2:3], 2, v[2:3]
	v_add_co_u32 v2, vcc_lo, s11, v2
	v_add_co_ci_u32_e64 v3, null, s9, v3, vcc_lo
	v_add_co_u32 v2, vcc_lo, v2, v4
	v_add_co_ci_u32_e64 v3, null, 0, v3, vcc_lo
	global_load_dwordx4 v[2:5], v[2:3], off
	s_waitcnt vmcnt(0)
	v_fma_mixlo_f16 v3, s36, v3, 0
	v_fma_mixlo_f16 v2, s36, v2, 0
	;; [unrolled: 1-line block ×4, first 2 shown]
	v_lshlrev_b32_e32 v3, 16, v3
	v_and_b32_e32 v2, 0xffff, v2
	v_and_b32_e32 v4, 0xffff, v4
	v_lshlrev_b32_e32 v5, 16, v5
	v_or_b32_e32 v2, v3, v2
	v_or3_b32 v3, v5, v4, 0
	v_or3_b32 v2, 0, 0, v2
	ds_write_b64 v6, v[2:3]
	s_waitcnt lgkmcnt(0)
	s_barrier
	buffer_gl0_inv
	s_cbranch_scc1 .LBB91_6
; %bb.5:
	s_load_dword s6, s[4:5], 0xd0
	s_waitcnt lgkmcnt(0)
	s_mul_i32 s6, s6, s33
	s_add_i32 s6, s6, s8
	s_lshl_b64 s[6:7], s[6:7], 2
	s_add_u32 s6, s22, s6
	s_addc_u32 s7, s23, s7
	s_load_dword s44, s[6:7], 0x0
.LBB91_6:
	s_clause 0x1
	s_load_dwordx2 s[6:7], s[4:5], 0x8c
	s_load_dwordx4 s[8:11], s[4:5], 0x98
	s_ashr_i32 s13, s33, 31
	s_load_dwordx2 s[38:39], s[4:5], 0xa8
	s_ashr_i32 s18, s47, 1
	s_mul_i32 s23, s37, s35
	v_lshlrev_b32_e32 v37, 2, v0
	v_lshrrev_b32_e32 v50, 3, v0
	v_mul_u32_u24_e32 v47, 0x90, v0
	v_lshrrev_b32_e32 v43, 4, v0
	v_mbcnt_lo_u32_b32 v38, -1, 0
	v_and_b32_e32 v49, 28, v37
	v_and_b32_e32 v45, 60, v37
	s_waitcnt lgkmcnt(0)
	s_ashr_i32 s22, s6, 2
	s_ashr_i32 s12, s10, 2
	s_mul_hi_u32 s6, s8, s33
	s_mul_i32 s10, s8, s13
	s_mul_i32 s9, s9, s33
	s_add_i32 s6, s6, s10
	s_mul_i32 s8, s8, s33
	s_add_i32 s6, s6, s9
	s_add_u32 s8, s14, s8
	s_addc_u32 s6, s15, s6
	s_sub_i32 s10, s45, s23
	s_xor_b32 s9, s41, s28
	s_add_i32 s14, s37, 1
	s_sub_i32 s15, s10, s35
	s_cmp_ge_u32 s10, s35
	s_mul_i32 s13, s38, s13
	s_cselect_b32 s14, s14, s37
	s_cselect_b32 s10, s15, s10
	s_add_i32 s15, s14, 1
	s_cmp_ge_u32 s10, s35
	s_mul_i32 s23, s38, s33
	s_cselect_b32 s10, s15, s14
	s_mul_hi_u32 s14, s38, s33
	s_xor_b32 s10, s10, s9
	s_mul_i32 s15, s39, s33
	s_sub_i32 s10, s10, s9
	s_mul_i32 s7, s10, s7
	s_mul_i32 s10, s10, s11
	s_ashr_i32 s9, s7, 31
	s_add_u32 s8, s8, s7
	s_addc_u32 s9, s6, s9
	s_add_i32 s6, s14, s13
	s_add_i32 s6, s6, s15
	s_add_u32 s7, s16, s23
	s_addc_u32 s6, s17, s6
	s_ashr_i32 s11, s10, 31
	s_add_u32 s13, s7, s10
	s_addc_u32 s14, s6, s11
	s_lshl_b32 s15, s34, 5
	s_sub_i32 s10, s44, 32
	s_cmp_ge_i32 s15, s10
	s_cbranch_scc1 .LBB91_17
; %bb.7:
	v_lshl_add_u32 v3, v1, 2, v50
	v_lshl_add_u32 v7, v1, 1, v43
	s_lshl_b32 s6, s22, 3
	s_cmp_lg_u64 s[42:43], 0
	v_lshlrev_b32_e32 v8, 2, v45
	v_mul_lo_u32 v2, s22, v3
	v_mul_lo_u32 v4, s12, v7
	s_cselect_b32 s11, -1, 0
	s_lshl_b32 s7, s12, 2
	v_lshl_or_b32 v54, v7, 8, v8
	v_lshlrev_b32_e32 v5, 2, v49
	v_lshl_add_u32 v51, v1, 6, 0x1400
	v_mad_u64_u32 v[20:21], null, v44, s18, v[0:1]
	v_add_nc_u32_e32 v6, s6, v2
	v_add_nc_u32_e32 v10, s7, v4
	v_mad_u32_u24 v52, 0x90, v3, v5
	v_ashrrev_i32_e32 v3, 31, v2
	v_ashrrev_i32_e32 v5, 31, v4
	v_add_nc_u32_e32 v8, s6, v6
	v_add_nc_u32_e32 v14, s7, v10
	v_ashrrev_i32_e32 v7, 31, v6
	v_ashrrev_i32_e32 v11, 31, v10
	v_lshlrev_b64 v[21:22], 2, v[2:3]
	v_add_nc_u32_e32 v12, s6, v8
	v_add_nc_u32_e32 v16, s7, v14
	v_ashrrev_i32_e32 v9, 31, v8
	v_ashrrev_i32_e32 v15, 31, v14
	v_lshlrev_b64 v[23:24], 2, v[6:7]
	v_ashrrev_i32_e32 v13, 31, v12
	v_ashrrev_i32_e32 v17, 31, v16
	v_lshlrev_b64 v[25:26], 2, v[8:9]
	v_lshlrev_b64 v[29:30], 2, v[4:5]
	;; [unrolled: 1-line block ×6, first 2 shown]
	v_mov_b32_e32 v40, 0
	v_lshl_add_u32 v53, v0, 1, v51
	v_add_nc_u32_e32 v55, 0x480, v52
	v_add_nc_u32_e32 v56, 0x900, v52
	;; [unrolled: 1-line block ×6, first 2 shown]
	v_mov_b32_e32 v66, 0xfeffffff
	v_lshlrev_b32_e32 v61, 2, v49
	v_lshlrev_b32_e32 v62, 2, v45
	v_mbcnt_lo_u32_b32 v63, -1, 0
	v_mov_b32_e32 v64, 0x10001
	v_mov_b32_e32 v41, 0
	;; [unrolled: 1-line block ×3, first 2 shown]
	s_add_u32 s6, s4, 0xd0
	s_addc_u32 s7, s5, 0
	s_mov_b32 s16, 0xbbbac73d
.LBB91_8:                               ; =>This Inner Loop Header: Depth=1
	s_mul_hi_i32 s29, s15, s22
	s_mul_i32 s28, s15, s22
	v_mov_b32_e32 v19, 0
	s_lshl_b64 s[28:29], s[28:29], 2
	s_add_u32 s17, s8, s28
	s_addc_u32 s23, s9, s29
	v_add_co_u32 v2, vcc_lo, s17, v21
	v_add_co_ci_u32_e64 v3, null, s23, v22, vcc_lo
	v_add_co_u32 v4, vcc_lo, s17, v23
	v_add_co_ci_u32_e64 v5, null, s23, v24, vcc_lo
	v_add_co_u32 v67, vcc_lo, v2, v61
	v_add_co_ci_u32_e64 v68, null, 0, v3, vcc_lo
	v_add_co_u32 v69, vcc_lo, v4, v61
	v_add_co_ci_u32_e64 v70, null, 0, v5, vcc_lo
	v_add_co_u32 v2, vcc_lo, s17, v25
	v_add_co_ci_u32_e64 v3, null, s23, v26, vcc_lo
	v_add_co_u32 v4, vcc_lo, s17, v27
	v_add_co_ci_u32_e64 v5, null, s23, v28, vcc_lo
	v_add_co_u32 v71, vcc_lo, v2, v61
	v_add_co_ci_u32_e64 v72, null, 0, v3, vcc_lo
	v_add_co_u32 v73, vcc_lo, v4, v61
	v_add_co_ci_u32_e64 v74, null, 0, v5, vcc_lo
	s_clause 0x3
	global_load_dwordx4 v[2:5], v[67:68], off
	global_load_dwordx4 v[6:9], v[69:70], off
	;; [unrolled: 1-line block ×4, first 2 shown]
	s_waitcnt vmcnt(3)
	ds_write_b128 v52, v[2:5]
	s_waitcnt vmcnt(2)
	ds_write_b128 v55, v[6:9]
	;; [unrolled: 2-line block ×4, first 2 shown]
	s_waitcnt lgkmcnt(0)
	s_barrier
	buffer_gl0_inv
	ds_read_b128 v[2:5], v47
	ds_read_b128 v[6:9], v46
	s_waitcnt lgkmcnt(0)
	;;#ASMSTART
	v_dot2_f32_f16 v19, v2, v6, v19
	;;#ASMEND
	;;#ASMSTART
	v_dot2_f32_f16 v19, v3, v7, v19
	;;#ASMEND
	;;#ASMSTART
	v_dot2_f32_f16 v19, v4, v8, v19
	;;#ASMEND
	;;#ASMSTART
	v_dot2_f32_f16 v19, v5, v9, v19
	;;#ASMEND
	ds_read_b128 v[2:5], v47 offset:16
	ds_read_b128 v[6:9], v46 offset:16
	s_waitcnt lgkmcnt(0)
	;;#ASMSTART
	v_dot2_f32_f16 v19, v2, v6, v19
	;;#ASMEND
	;;#ASMSTART
	v_dot2_f32_f16 v19, v3, v7, v19
	;;#ASMEND
	;;#ASMSTART
	v_dot2_f32_f16 v19, v4, v8, v19
	;;#ASMEND
	;;#ASMSTART
	v_dot2_f32_f16 v19, v5, v9, v19
	;;#ASMEND
	ds_read_b128 v[2:5], v47 offset:32
	ds_read_b128 v[6:9], v46 offset:32
	;; [unrolled: 15-line block ×7, first 2 shown]
	s_waitcnt lgkmcnt(0)
	;;#ASMSTART
	v_dot2_f32_f16 v19, v2, v6, v19
	;;#ASMEND
	;;#ASMSTART
	v_dot2_f32_f16 v19, v3, v7, v19
	;;#ASMEND
	;; [unrolled: 3-line block ×4, first 2 shown]
	s_barrier
	buffer_gl0_inv
	s_clause 0x3
	global_load_dwordx4 v[2:5], v[67:68], off offset:128
	global_load_dwordx4 v[6:9], v[69:70], off offset:128
	;; [unrolled: 1-line block ×4, first 2 shown]
                                        ; implicit-def: $vgpr67
	s_waitcnt vmcnt(3)
	ds_write_b128 v52, v[2:5]
	s_waitcnt vmcnt(2)
	ds_write_b128 v55, v[6:9]
	s_waitcnt vmcnt(1)
	ds_write_b128 v56, v[10:13]
	s_waitcnt vmcnt(0)
	ds_write_b128 v57, v[14:17]
	s_waitcnt lgkmcnt(0)
	s_barrier
	buffer_gl0_inv
	ds_read_b128 v[2:5], v47
	ds_read_b128 v[6:9], v46 offset:128
	s_waitcnt lgkmcnt(0)
	;;#ASMSTART
	v_dot2_f32_f16 v19, v2, v6, v19
	;;#ASMEND
	;;#ASMSTART
	v_dot2_f32_f16 v19, v3, v7, v19
	;;#ASMEND
	;;#ASMSTART
	v_dot2_f32_f16 v19, v4, v8, v19
	;;#ASMEND
	;;#ASMSTART
	v_dot2_f32_f16 v19, v5, v9, v19
	;;#ASMEND
	ds_read_b128 v[2:5], v47 offset:16
	ds_read_b128 v[6:9], v46 offset:144
	s_waitcnt lgkmcnt(0)
	;;#ASMSTART
	v_dot2_f32_f16 v19, v2, v6, v19
	;;#ASMEND
	;;#ASMSTART
	v_dot2_f32_f16 v19, v3, v7, v19
	;;#ASMEND
	;;#ASMSTART
	v_dot2_f32_f16 v19, v4, v8, v19
	;;#ASMEND
	;;#ASMSTART
	v_dot2_f32_f16 v19, v5, v9, v19
	;;#ASMEND
	ds_read_b128 v[2:5], v47 offset:32
	;; [unrolled: 15-line block ×7, first 2 shown]
	ds_read_b128 v[6:9], v46 offset:240
	s_waitcnt lgkmcnt(0)
	;;#ASMSTART
	v_dot2_f32_f16 v19, v2, v6, v19
	;;#ASMEND
	;;#ASMSTART
	v_dot2_f32_f16 v19, v3, v7, v19
	;;#ASMEND
	;; [unrolled: 3-line block ×4, first 2 shown]
	v_cmp_ngt_f32_e64 s17, 0x3f200000, |v19|
	s_and_saveexec_b32 s23, s17
	s_xor_b32 s17, exec_lo, s23
	s_cbranch_execnz .LBB91_12
; %bb.9:                                ;   in Loop: Header=BB91_8 Depth=1
	s_andn2_saveexec_b32 s17, s17
	s_cbranch_execnz .LBB91_13
.LBB91_10:                              ;   in Loop: Header=BB91_8 Depth=1
	s_or_b32 exec_lo, exec_lo, s17
	s_andn2_b32 vcc_lo, exec_lo, s11
	s_cbranch_vccnz .LBB91_14
.LBB91_11:                              ;   in Loop: Header=BB91_8 Depth=1
	v_add_nc_u32_e32 v2, s15, v20
	v_ashrrev_i32_e32 v3, 31, v2
	v_lshlrev_b64 v[2:3], 1, v[2:3]
	v_add_co_u32 v2, vcc_lo, s42, v2
	v_add_co_ci_u32_e64 v3, null, s43, v3, vcc_lo
	global_load_ushort v2, v[2:3], off
	s_waitcnt vmcnt(0)
	v_cvt_f32_f16_e32 v2, v2
	v_mul_f32_e32 v48, v42, v2
	s_branch .LBB91_15
.LBB91_12:                              ;   in Loop: Header=BB91_8 Depth=1
	v_add_f32_e64 v2, |v19|, |v19|
	v_mul_f32_e32 v3, 0x3fb8aa3b, v2
	v_cmp_ngt_f32_e32 vcc_lo, 0xc2ce8ed0, v2
	v_rndne_f32_e32 v4, v3
	v_fma_f32 v5, 0x3fb8aa3b, v2, -v3
	v_sub_f32_e32 v3, v3, v4
	v_fmac_f32_e32 v5, 0x32a5705f, v2
	v_cvt_i32_f32_e32 v4, v4
	v_add_f32_e32 v3, v3, v5
	v_exp_f32_e32 v3, v3
	v_ldexp_f32 v3, v3, v4
	v_cndmask_b32_e32 v3, 0, v3, vcc_lo
	v_cmp_nlt_f32_e32 vcc_lo, 0x42b17218, v2
	v_cndmask_b32_e32 v2, 0x7f800000, v3, vcc_lo
	v_add_f32_e32 v2, 1.0, v2
	v_rcp_f32_e32 v2, v2
	v_fma_f32 v67, v2, -2.0, 1.0
	s_andn2_saveexec_b32 s17, s17
	s_cbranch_execz .LBB91_10
.LBB91_13:                              ;   in Loop: Header=BB91_8 Depth=1
	v_mul_f32_e32 v2, v19, v19
	v_fmaak_f32 v3, s16, v2, 0x3ca908c9
	v_fmaak_f32 v3, v2, v3, 0xbd5c1c4e
	;; [unrolled: 1-line block ×4, first 2 shown]
	v_mul_f32_e64 v3, |v19|, v3
	v_fma_f32 v67, v2, v3, |v19|
	s_or_b32 exec_lo, exec_lo, s17
	s_andn2_b32 vcc_lo, exec_lo, s11
	s_cbranch_vccz .LBB91_11
.LBB91_14:                              ;   in Loop: Header=BB91_8 Depth=1
	v_mov_b32_e32 v48, 0
.LBB91_15:                              ;   in Loop: Header=BB91_8 Depth=1
	s_mul_hi_i32 s29, s15, s12
	s_mul_i32 s28, s15, s12
	s_lshl_b64 s[28:29], s[28:29], 2
	s_barrier
	s_add_u32 s17, s13, s28
	s_addc_u32 s23, s14, s29
	v_add_co_u32 v2, vcc_lo, s17, v29
	v_add_co_ci_u32_e64 v3, null, s23, v30, vcc_lo
	v_add_co_u32 v4, vcc_lo, s17, v31
	v_add_co_ci_u32_e64 v5, null, s23, v32, vcc_lo
	;; [unrolled: 2-line block ×8, first 2 shown]
	buffer_gl0_inv
	s_clause 0x3
	global_load_dwordx4 v[2:5], v[2:3], off
	global_load_dwordx4 v[6:9], v[6:7], off
	;; [unrolled: 1-line block ×4, first 2 shown]
	v_bfi_b32 v19, 0x7fffffff, v67, v19
	v_xor_b32_e32 v67, 16, v63
	s_or_b32 s17, s15, 16
	s_mul_hi_i32 s29, s17, s12
	v_fmac_f32_e32 v48, s19, v19
	v_cmp_gt_i32_e32 vcc_lo, 32, v67
	v_max_f32_e32 v19, v66, v66
	s_mul_i32 s28, s17, s12
	v_add_f32_e32 v68, 0x40051340, v48
	v_cndmask_b32_e32 v67, v63, v67, vcc_lo
	s_lshl_b64 s[28:29], s[28:29], 2
	s_add_u32 s17, s13, s28
	v_max_f32_e32 v19, v19, v68
	v_lshlrev_b32_e32 v67, 2, v67
	v_xor_b32_e32 v68, 8, v63
	s_addc_u32 s23, s14, s29
	ds_bpermute_b32 v67, v67, v19
	v_cmp_gt_i32_e32 vcc_lo, 32, v68
	v_cndmask_b32_e32 v68, v63, v68, vcc_lo
	v_lshlrev_b32_e32 v68, 2, v68
	s_waitcnt lgkmcnt(0)
	v_max_f32_e32 v67, v67, v67
	v_max_f32_e32 v19, v19, v67
	ds_bpermute_b32 v67, v68, v19
	v_xor_b32_e32 v68, 4, v63
	v_cmp_gt_i32_e32 vcc_lo, 32, v68
	v_cndmask_b32_e32 v68, v63, v68, vcc_lo
	v_lshlrev_b32_e32 v68, 2, v68
	s_waitcnt lgkmcnt(0)
	v_max_f32_e32 v67, v67, v67
	v_max_f32_e32 v19, v19, v67
	ds_bpermute_b32 v67, v68, v19
	v_xor_b32_e32 v68, 2, v63
	;; [unrolled: 8-line block ×3, first 2 shown]
	v_cmp_gt_i32_e32 vcc_lo, 32, v68
	v_cndmask_b32_e32 v68, v63, v68, vcc_lo
	v_add_co_u32 v71, vcc_lo, s17, v29
	v_add_co_ci_u32_e64 v72, null, s23, v30, vcc_lo
	v_lshlrev_b32_e32 v68, 2, v68
	s_waitcnt lgkmcnt(0)
	v_max_f32_e32 v67, v67, v67
	v_max_f32_e32 v19, v19, v67
	ds_bpermute_b32 v67, v68, v19
	s_waitcnt lgkmcnt(0)
	v_max_f32_e32 v67, v67, v67
	v_max_f32_e32 v19, v19, v67
	v_add_nc_u32_e32 v67, 0x800, v39
	v_sub_f32_e32 v48, v48, v19
	v_sub_f32_e32 v66, v66, v19
	v_mul_f32_e32 v68, 0x3fb8aa3b, v48
	v_mul_f32_e32 v108, 0x3fb8aa3b, v66
	v_fma_f32 v69, 0x3fb8aa3b, v48, -v68
	v_rndne_f32_e32 v70, v68
	v_fma_f32 v109, 0x3fb8aa3b, v66, -v108
	v_rndne_f32_e32 v110, v108
	v_fmac_f32_e32 v69, 0x32a5705f, v48
	v_sub_f32_e32 v68, v68, v70
	v_cvt_i32_f32_e32 v70, v70
	v_fmac_f32_e32 v109, 0x32a5705f, v66
	v_sub_f32_e32 v108, v108, v110
	v_add_f32_e32 v68, v68, v69
	v_add_co_u32 v69, vcc_lo, s17, v31
	v_add_co_ci_u32_e64 v73, null, s23, v32, vcc_lo
	v_exp_f32_e32 v68, v68
	v_add_co_u32 v74, vcc_lo, s17, v33
	v_add_co_ci_u32_e64 v75, null, s23, v34, vcc_lo
	v_add_co_u32 v76, vcc_lo, s17, v35
	v_add_co_ci_u32_e64 v77, null, s23, v36, vcc_lo
	v_add_co_u32 v92, vcc_lo, v71, v62
	v_ldexp_f32 v68, v68, v70
	v_add_co_ci_u32_e64 v93, null, 0, v72, vcc_lo
	v_cmp_ngt_f32_e32 vcc_lo, 0xc2ce8ed0, v48
	v_add_f32_e32 v108, v108, v109
	v_cvt_i32_f32_e32 v109, v110
	v_cndmask_b32_e32 v68, 0, v68, vcc_lo
	v_add_co_u32 v96, vcc_lo, v69, v62
	v_add_co_ci_u32_e64 v97, null, 0, v73, vcc_lo
	v_cmp_nlt_f32_e32 vcc_lo, 0x42b17218, v48
	v_exp_f32_e32 v108, v108
	v_cndmask_b32_e32 v48, 0x7f800000, v68, vcc_lo
	v_add_co_u32 v100, vcc_lo, v74, v62
	v_add_co_ci_u32_e64 v101, null, 0, v75, vcc_lo
	v_cvt_f16_f32_e32 v68, v48
	v_add_co_u32 v104, vcc_lo, v76, v62
	v_add_co_ci_u32_e64 v105, null, 0, v77, vcc_lo
	v_ldexp_f32 v108, v108, v109
	v_cmp_ngt_f32_e32 vcc_lo, 0xc2ce8ed0, v66
	ds_write_b16 v53, v68
	s_waitcnt vmcnt(3)
	ds_write_b128 v54, v[2:5]
	s_waitcnt vmcnt(2)
	ds_write_b128 v58, v[6:9]
	;; [unrolled: 2-line block ×4, first 2 shown]
	s_waitcnt lgkmcnt(0)
	s_barrier
	buffer_gl0_inv
	ds_read2_b64 v[2:5], v39 offset1:32
	ds_read_b128 v[6:9], v51
	ds_read_b128 v[10:13], v51 offset:16
	ds_read2_b64 v[14:17], v39 offset0:64 offset1:96
	ds_read2_b64 v[68:71], v39 offset0:128 offset1:160
	;; [unrolled: 1-line block ×3, first 2 shown]
	ds_read2_b64 v[76:79], v67 offset1:32
	ds_read2_b64 v[80:83], v67 offset0:64 offset1:96
	ds_read2_b64 v[84:87], v67 offset0:128 offset1:160
	;; [unrolled: 1-line block ×3, first 2 shown]
	s_waitcnt lgkmcnt(0)
	s_barrier
	buffer_gl0_inv
	s_clause 0x3
	global_load_dwordx4 v[92:95], v[92:93], off
	global_load_dwordx4 v[96:99], v[96:97], off
	;; [unrolled: 1-line block ×4, first 2 shown]
	v_cndmask_b32_e32 v108, 0, v108, vcc_lo
	v_cmp_nlt_f32_e32 vcc_lo, 0x42b17218, v66
	s_waitcnt vmcnt(3)
	ds_write_b128 v54, v[92:95]
	s_waitcnt vmcnt(2)
	ds_write_b128 v58, v[96:99]
	;; [unrolled: 2-line block ×4, first 2 shown]
	v_cndmask_b32_e32 v66, 0x7f800000, v108, vcc_lo
	v_mul_u32_u24_sdwa v109, v6, v64 dst_sel:DWORD dst_unused:UNUSED_PAD src0_sel:WORD_0 src1_sel:DWORD
	v_mul_u32_u24_sdwa v6, v6, v64 dst_sel:DWORD dst_unused:UNUSED_PAD src0_sel:WORD_1 src1_sel:DWORD
	s_waitcnt lgkmcnt(0)
	s_barrier
	v_cvt_f16_f32_e32 v108, v66
	v_pk_mul_f16 v2, v2, v109
	v_pk_mul_f16 v3, v3, v109
	buffer_gl0_inv
	v_fmac_f32_e32 v48, v65, v66
	v_mul_u32_u24_sdwa v108, v108, v64 dst_sel:DWORD dst_unused:UNUSED_PAD src0_sel:WORD_0 src1_sel:DWORD
	v_pk_fma_f16 v2, v40, v108, v2
	v_pk_fma_f16 v3, v41, v108, v3
	v_mul_u32_u24_sdwa v40, v7, v64 dst_sel:DWORD dst_unused:UNUSED_PAD src0_sel:WORD_0 src1_sel:DWORD
	v_pk_fma_f16 v2, v4, v6, v2
	v_pk_fma_f16 v3, v5, v6, v3
	v_mul_u32_u24_sdwa v4, v7, v64 dst_sel:DWORD dst_unused:UNUSED_PAD src0_sel:WORD_1 src1_sel:DWORD
	v_mul_u32_u24_sdwa v5, v8, v64 dst_sel:DWORD dst_unused:UNUSED_PAD src0_sel:WORD_0 src1_sel:DWORD
	v_mul_u32_u24_sdwa v6, v8, v64 dst_sel:DWORD dst_unused:UNUSED_PAD src0_sel:WORD_1 src1_sel:DWORD
	v_pk_fma_f16 v2, v14, v40, v2
	v_pk_fma_f16 v3, v15, v40, v3
	v_mul_u32_u24_sdwa v15, v13, v64 dst_sel:DWORD dst_unused:UNUSED_PAD src0_sel:WORD_0 src1_sel:DWORD
	v_mul_u32_u24_sdwa v40, v13, v64 dst_sel:DWORD dst_unused:UNUSED_PAD src0_sel:WORD_1 src1_sel:DWORD
	v_pk_fma_f16 v2, v16, v4, v2
	v_pk_fma_f16 v3, v17, v4, v3
	v_mul_u32_u24_sdwa v4, v9, v64 dst_sel:DWORD dst_unused:UNUSED_PAD src0_sel:WORD_0 src1_sel:DWORD
	v_pk_fma_f16 v2, v68, v5, v2
	v_pk_fma_f16 v3, v69, v5, v3
	v_mul_u32_u24_sdwa v5, v9, v64 dst_sel:DWORD dst_unused:UNUSED_PAD src0_sel:WORD_1 src1_sel:DWORD
	v_pk_fma_f16 v2, v70, v6, v2
	v_pk_fma_f16 v3, v71, v6, v3
	v_mul_u32_u24_sdwa v6, v10, v64 dst_sel:DWORD dst_unused:UNUSED_PAD src0_sel:WORD_0 src1_sel:DWORD
	ds_read2_b64 v[68:71], v39 offset0:128 offset1:160
	v_pk_fma_f16 v2, v72, v4, v2
	v_pk_fma_f16 v3, v73, v4, v3
	v_mul_u32_u24_sdwa v4, v10, v64 dst_sel:DWORD dst_unused:UNUSED_PAD src0_sel:WORD_1 src1_sel:DWORD
	v_mul_u32_u24_sdwa v10, v12, v64 dst_sel:DWORD dst_unused:UNUSED_PAD src0_sel:WORD_0 src1_sel:DWORD
	v_mul_u32_u24_sdwa v12, v12, v64 dst_sel:DWORD dst_unused:UNUSED_PAD src0_sel:WORD_1 src1_sel:DWORD
	v_pk_fma_f16 v2, v74, v5, v2
	v_pk_fma_f16 v3, v75, v5, v3
	v_mul_u32_u24_sdwa v5, v11, v64 dst_sel:DWORD dst_unused:UNUSED_PAD src0_sel:WORD_0 src1_sel:DWORD
	v_pk_fma_f16 v2, v76, v6, v2
	v_pk_fma_f16 v3, v77, v6, v3
	v_mul_u32_u24_sdwa v6, v11, v64 dst_sel:DWORD dst_unused:UNUSED_PAD src0_sel:WORD_1 src1_sel:DWORD
	v_pk_fma_f16 v2, v78, v4, v2
	v_pk_fma_f16 v3, v79, v4, v3
	;; [unrolled: 1-line block ×5, first 2 shown]
	ds_read_b128 v[2:5], v51 offset:32
	v_pk_fma_f16 v11, v83, v6, v7
	v_pk_fma_f16 v14, v84, v10, v8
	ds_read2_b64 v[6:9], v39 offset1:32
	v_pk_fma_f16 v10, v85, v10, v11
	v_pk_fma_f16 v11, v86, v12, v14
	;; [unrolled: 1-line block ×4, first 2 shown]
	ds_read2_b64 v[10:13], v39 offset0:64 offset1:96
	v_pk_fma_f16 v41, v89, v15, v14
	v_pk_fma_f16 v72, v90, v40, v16
	ds_read_b128 v[14:17], v51 offset:48
	s_waitcnt lgkmcnt(3)
	v_mul_u32_u24_sdwa v73, v2, v64 dst_sel:DWORD dst_unused:UNUSED_PAD src0_sel:WORD_0 src1_sel:DWORD
	v_pk_fma_f16 v40, v91, v40, v41
	v_mul_u32_u24_sdwa v2, v2, v64 dst_sel:DWORD dst_unused:UNUSED_PAD src0_sel:WORD_1 src1_sel:DWORD
	s_waitcnt lgkmcnt(2)
	v_pk_fma_f16 v6, v6, v73, v72
	v_pk_fma_f16 v7, v7, v73, v40
	v_mul_u32_u24_sdwa v40, v3, v64 dst_sel:DWORD dst_unused:UNUSED_PAD src0_sel:WORD_0 src1_sel:DWORD
	v_mul_u32_u24_sdwa v3, v3, v64 dst_sel:DWORD dst_unused:UNUSED_PAD src0_sel:WORD_1 src1_sel:DWORD
	v_pk_fma_f16 v41, v8, v2, v6
	v_pk_fma_f16 v2, v9, v2, v7
	ds_read2_b64 v[6:9], v39 offset0:192 offset1:224
	s_waitcnt lgkmcnt(2)
	v_pk_fma_f16 v10, v10, v40, v41
	v_pk_fma_f16 v2, v11, v40, v2
	v_mul_u32_u24_sdwa v40, v4, v64 dst_sel:DWORD dst_unused:UNUSED_PAD src0_sel:WORD_0 src1_sel:DWORD
	v_pk_fma_f16 v41, v12, v3, v10
	v_pk_fma_f16 v2, v13, v3, v2
	ds_read2_b64 v[10:13], v67 offset1:32
	v_mul_u32_u24_sdwa v3, v4, v64 dst_sel:DWORD dst_unused:UNUSED_PAD src0_sel:WORD_1 src1_sel:DWORD
	v_pk_fma_f16 v4, v68, v40, v41
	v_pk_fma_f16 v2, v69, v40, v2
	v_mul_u32_u24_sdwa v40, v5, v64 dst_sel:DWORD dst_unused:UNUSED_PAD src0_sel:WORD_0 src1_sel:DWORD
	v_pk_fma_f16 v4, v70, v3, v4
	v_pk_fma_f16 v2, v71, v3, v2
	ds_read2_b64 v[68:71], v67 offset0:64 offset1:96
	v_mul_u32_u24_sdwa v3, v5, v64 dst_sel:DWORD dst_unused:UNUSED_PAD src0_sel:WORD_1 src1_sel:DWORD
	s_waitcnt lgkmcnt(2)
	v_pk_fma_f16 v4, v6, v40, v4
	v_pk_fma_f16 v2, v7, v40, v2
	v_mul_u32_u24_sdwa v6, v14, v64 dst_sel:DWORD dst_unused:UNUSED_PAD src0_sel:WORD_0 src1_sel:DWORD
	v_mul_u32_u24_sdwa v14, v14, v64 dst_sel:DWORD dst_unused:UNUSED_PAD src0_sel:WORD_1 src1_sel:DWORD
	v_mul_u32_u24_sdwa v40, v15, v64 dst_sel:DWORD dst_unused:UNUSED_PAD src0_sel:WORD_0 src1_sel:DWORD
	v_pk_fma_f16 v7, v8, v3, v4
	v_pk_fma_f16 v8, v9, v3, v2
	ds_read2_b64 v[2:5], v67 offset0:128 offset1:160
	s_waitcnt lgkmcnt(2)
	v_pk_fma_f16 v10, v10, v6, v7
	v_pk_fma_f16 v11, v11, v6, v8
	ds_read2_b64 v[6:9], v67 offset0:192 offset1:224
	s_waitcnt lgkmcnt(0)
	s_barrier
	v_pk_fma_f16 v10, v12, v14, v10
	v_pk_fma_f16 v11, v13, v14, v11
	v_mul_u32_u24_sdwa v12, v15, v64 dst_sel:DWORD dst_unused:UNUSED_PAD src0_sel:WORD_1 src1_sel:DWORD
	buffer_gl0_inv
	s_load_dword s17, s[6:7], 0x4
	v_pk_fma_f16 v10, v68, v40, v10
	v_pk_fma_f16 v11, v69, v40, v11
	v_mul_u32_u24_sdwa v13, v16, v64 dst_sel:DWORD dst_unused:UNUSED_PAD src0_sel:WORD_0 src1_sel:DWORD
	v_pk_fma_f16 v10, v70, v12, v10
	v_pk_fma_f16 v11, v71, v12, v11
	v_mul_u32_u24_sdwa v12, v16, v64 dst_sel:DWORD dst_unused:UNUSED_PAD src0_sel:WORD_1 src1_sel:DWORD
	v_pk_fma_f16 v2, v2, v13, v10
	v_pk_fma_f16 v3, v3, v13, v11
	v_mul_u32_u24_sdwa v10, v17, v64 dst_sel:DWORD dst_unused:UNUSED_PAD src0_sel:WORD_0 src1_sel:DWORD
	v_pk_fma_f16 v2, v4, v12, v2
	v_pk_fma_f16 v3, v5, v12, v3
	v_mul_u32_u24_sdwa v4, v17, v64 dst_sel:DWORD dst_unused:UNUSED_PAD src0_sel:WORD_1 src1_sel:DWORD
	s_waitcnt lgkmcnt(0)
	s_lshl_b32 s17, s17, 5
	v_pk_fma_f16 v2, v6, v10, v2
	v_pk_fma_f16 v3, v7, v10, v3
	s_add_i32 s15, s17, s15
	s_cmp_lt_i32 s15, s10
	v_pk_fma_f16 v40, v8, v4, v2
	v_pk_fma_f16 v41, v9, v4, v3
	s_cbranch_scc0 .LBB91_18
; %bb.16:                               ;   in Loop: Header=BB91_8 Depth=1
	v_mov_b32_e32 v66, v19
	v_mov_b32_e32 v65, v48
	s_branch .LBB91_8
.LBB91_17:
	v_mov_b32_e32 v41, 0
	v_mov_b32_e32 v19, 0xfeffffff
	;; [unrolled: 1-line block ×3, first 2 shown]
.LBB91_18:
	s_cmp_gt_i32 s44, s15
	s_cbranch_scc1 .LBB91_21
; %bb.19:
	v_mbcnt_lo_u32_b32 v7, -1, 0
	v_mov_b32_e32 v8, 32
	v_xor_b32_e32 v4, 16, v7
	v_xor_b32_e32 v2, 8, v7
	;; [unrolled: 1-line block ×5, first 2 shown]
	s_cbranch_execz .LBB91_22
; %bb.20:
	v_mov_b32_e32 v38, v7
	s_branch .LBB91_32
.LBB91_21:
                                        ; implicit-def: $vgpr7
                                        ; implicit-def: $vgpr8
                                        ; implicit-def: $vgpr4
                                        ; implicit-def: $vgpr2
                                        ; implicit-def: $vgpr3
                                        ; implicit-def: $vgpr5
                                        ; implicit-def: $vgpr6
.LBB91_22:
	v_lshl_add_u32 v12, v1, 2, v50
	s_mul_hi_i32 s7, s15, s22
	s_mul_i32 s6, s15, s22
	s_mov_b64 s[10:11], src_private_base
	s_lshl_b64 s[6:7], s[6:7], 2
	v_mul_lo_u32 v2, s22, v12
	s_sub_i32 s10, s44, s15
	s_add_u32 s8, s8, s6
	v_lshlrev_b32_e32 v13, 2, v49
	s_addc_u32 s9, s9, s7
	s_lshl_b32 s16, s22, 3
	v_ashrrev_i32_e32 v3, 31, v2
	v_add_nc_u32_e32 v9, s16, v2
	v_lshlrev_b64 v[3:4], 2, v[2:3]
	v_ashrrev_i32_e32 v10, 31, v9
	v_lshlrev_b64 v[10:11], 2, v[9:10]
	v_add_co_u32 v3, vcc_lo, s8, v3
	v_add_co_ci_u32_e64 v4, null, s9, v4, vcc_lo
	v_add_nc_u32_e32 v9, s16, v9
	v_add_co_u32 v14, vcc_lo, v3, v13
	v_add_co_ci_u32_e64 v15, null, 0, v4, vcc_lo
	v_cmp_gt_i32_e32 vcc_lo, s10, v12
	v_mov_b32_e32 v3, 0
	buffer_store_dword v3, off, s[0:3], 0
	buffer_store_dword v3, off, s[0:3], 0 offset:4
	buffer_store_dword v3, off, s[0:3], 0 offset:8
	buffer_store_dword v3, off, s[0:3], 0 offset:12
	v_cndmask_b32_e32 v5, s11, v15, vcc_lo
	v_cndmask_b32_e32 v4, 0, v14, vcc_lo
	v_add_co_u32 v2, s6, s8, v10
	v_add_nc_u32_e32 v10, 8, v12
	flat_load_dwordx4 v[5:8], v[4:5]
	v_add_co_ci_u32_e64 v4, null, s9, v11, s6
	v_add_co_u32 v16, s6, v2, v13
	buffer_store_dword v3, off, s[0:3], 0
	v_add_co_ci_u32_e64 v17, null, 0, v4, s6
	v_cmp_gt_i32_e64 s6, s10, v10
	v_mad_u32_u24 v4, 0x90, v12, v13
	buffer_store_dword v3, off, s[0:3], 0 offset:4
	buffer_store_dword v3, off, s[0:3], 0 offset:8
	buffer_store_dword v3, off, s[0:3], 0 offset:12
	v_cndmask_b32_e64 v11, s11, v17, s6
	v_cndmask_b32_e64 v10, 0, v16, s6
	s_waitcnt vmcnt(0) lgkmcnt(0)
	ds_write_b128 v4, v[5:8]
	flat_load_dwordx4 v[5:8], v[10:11]
	v_ashrrev_i32_e32 v10, 31, v9
	buffer_store_dword v3, off, s[0:3], 0
	buffer_store_dword v3, off, s[0:3], 0 offset:4
	buffer_store_dword v3, off, s[0:3], 0 offset:8
	;; [unrolled: 1-line block ×3, first 2 shown]
	v_lshlrev_b64 v[10:11], 2, v[9:10]
	v_add_nc_u32_e32 v9, s16, v9
	v_add_co_u32 v2, s7, s8, v10
	v_add_co_ci_u32_e64 v10, null, s9, v11, s7
	v_add_nc_u32_e32 v11, 16, v12
	v_add_co_u32 v20, s7, v2, v13
	v_add_co_ci_u32_e64 v21, null, 0, v10, s7
	v_cmp_gt_i32_e64 s7, s10, v11
	v_cndmask_b32_e64 v11, s11, v21, s7
	v_cndmask_b32_e64 v10, 0, v20, s7
	s_waitcnt vmcnt(0) lgkmcnt(0)
	ds_write_b128 v4, v[5:8] offset:1152
	flat_load_dwordx4 v[5:8], v[10:11]
	v_ashrrev_i32_e32 v10, 31, v9
	buffer_store_dword v3, off, s[0:3], 0
	buffer_store_dword v3, off, s[0:3], 0 offset:4
	buffer_store_dword v3, off, s[0:3], 0 offset:8
	;; [unrolled: 1-line block ×3, first 2 shown]
	v_lshlrev_b64 v[9:10], 2, v[9:10]
	v_add_co_u32 v2, s8, s8, v9
	v_add_co_ci_u32_e64 v9, null, s9, v10, s8
	v_add_nc_u32_e32 v10, 24, v12
	v_add_co_u32 v22, s8, v2, v13
	v_add_co_ci_u32_e64 v23, null, 0, v9, s8
	v_cmp_gt_i32_e64 s8, s10, v10
	v_mov_b32_e32 v2, 0
	v_add_co_u32 v13, s9, 0x80, v14
	v_add_co_ci_u32_e64 v14, null, 0, v15, s9
	v_cndmask_b32_e64 v10, s11, v23, s8
	v_cndmask_b32_e64 v9, 0, v22, s8
	v_cndmask_b32_e32 v13, 0, v13, vcc_lo
	v_cndmask_b32_e32 v14, s11, v14, vcc_lo
	s_waitcnt vmcnt(0) lgkmcnt(0)
	ds_write_b128 v4, v[5:8] offset:2304
	flat_load_dwordx4 v[5:8], v[9:10]
	s_waitcnt vmcnt(0) lgkmcnt(0)
	ds_write_b128 v4, v[5:8] offset:3456
	s_waitcnt lgkmcnt(0)
	s_waitcnt_vscnt null, 0x0
	s_barrier
	buffer_gl0_inv
	ds_read_b128 v[5:8], v47
	ds_read_b128 v[9:12], v46
	s_waitcnt lgkmcnt(0)
	;;#ASMSTART
	v_dot2_f32_f16 v2, v5, v9, v2
	;;#ASMEND
	;;#ASMSTART
	v_dot2_f32_f16 v2, v6, v10, v2
	;;#ASMEND
	;;#ASMSTART
	v_dot2_f32_f16 v2, v7, v11, v2
	;;#ASMEND
	;;#ASMSTART
	v_dot2_f32_f16 v2, v8, v12, v2
	;;#ASMEND
	ds_read_b128 v[5:8], v47 offset:16
	ds_read_b128 v[9:12], v46 offset:16
	s_waitcnt lgkmcnt(0)
	;;#ASMSTART
	v_dot2_f32_f16 v2, v5, v9, v2
	;;#ASMEND
	;;#ASMSTART
	v_dot2_f32_f16 v2, v6, v10, v2
	;;#ASMEND
	;;#ASMSTART
	v_dot2_f32_f16 v2, v7, v11, v2
	;;#ASMEND
	;;#ASMSTART
	v_dot2_f32_f16 v2, v8, v12, v2
	;;#ASMEND
	ds_read_b128 v[5:8], v47 offset:32
	ds_read_b128 v[9:12], v46 offset:32
	;; [unrolled: 15-line block ×7, first 2 shown]
	s_waitcnt lgkmcnt(0)
	;;#ASMSTART
	v_dot2_f32_f16 v2, v5, v9, v2
	;;#ASMEND
	;;#ASMSTART
	v_dot2_f32_f16 v2, v6, v10, v2
	;;#ASMEND
	;; [unrolled: 3-line block ×4, first 2 shown]
	s_barrier
	buffer_gl0_inv
	buffer_store_dword v3, off, s[0:3], 0
	buffer_store_dword v3, off, s[0:3], 0 offset:4
	buffer_store_dword v3, off, s[0:3], 0 offset:8
	;; [unrolled: 1-line block ×3, first 2 shown]
	flat_load_dwordx4 v[5:8], v[13:14]
	v_add_co_u32 v9, vcc_lo, 0x80, v16
	v_add_co_ci_u32_e64 v10, null, 0, v17, vcc_lo
	buffer_store_dword v3, off, s[0:3], 0
	buffer_store_dword v3, off, s[0:3], 0 offset:4
	buffer_store_dword v3, off, s[0:3], 0 offset:8
	;; [unrolled: 1-line block ×3, first 2 shown]
	v_cndmask_b32_e64 v9, 0, v9, s6
	v_cndmask_b32_e64 v10, s11, v10, s6
	s_waitcnt vmcnt(0) lgkmcnt(0)
	ds_write_b128 v4, v[5:8]
	flat_load_dwordx4 v[5:8], v[9:10]
	v_add_co_u32 v9, vcc_lo, 0x80, v20
	v_add_co_ci_u32_e64 v10, null, 0, v21, vcc_lo
	buffer_store_dword v3, off, s[0:3], 0
	buffer_store_dword v3, off, s[0:3], 0 offset:4
	buffer_store_dword v3, off, s[0:3], 0 offset:8
	;; [unrolled: 1-line block ×3, first 2 shown]
	v_cndmask_b32_e64 v9, 0, v9, s7
	v_cndmask_b32_e64 v10, s11, v10, s7
	s_waitcnt vmcnt(0) lgkmcnt(0)
	ds_write_b128 v4, v[5:8] offset:1152
	flat_load_dwordx4 v[5:8], v[9:10]
	v_add_co_u32 v9, vcc_lo, 0x80, v22
	v_add_co_ci_u32_e64 v10, null, 0, v23, vcc_lo
	buffer_store_dword v3, off, s[0:3], 0
	buffer_store_dword v3, off, s[0:3], 0 offset:4
	buffer_store_dword v3, off, s[0:3], 0 offset:8
	;; [unrolled: 1-line block ×3, first 2 shown]
	v_cndmask_b32_e64 v9, 0, v9, s8
	v_cndmask_b32_e64 v10, s11, v10, s8
	s_waitcnt vmcnt(0) lgkmcnt(0)
	ds_write_b128 v4, v[5:8] offset:2304
	flat_load_dwordx4 v[5:8], v[9:10]
	s_waitcnt vmcnt(0) lgkmcnt(0)
	ds_write_b128 v4, v[5:8] offset:3456
	s_waitcnt lgkmcnt(0)
	s_waitcnt_vscnt null, 0x0
	s_barrier
	buffer_gl0_inv
	ds_read_b128 v[3:6], v47
	ds_read_b128 v[7:10], v46 offset:128
	s_waitcnt lgkmcnt(0)
	;;#ASMSTART
	v_dot2_f32_f16 v2, v3, v7, v2
	;;#ASMEND
	;;#ASMSTART
	v_dot2_f32_f16 v2, v4, v8, v2
	;;#ASMEND
	;;#ASMSTART
	v_dot2_f32_f16 v2, v5, v9, v2
	;;#ASMEND
	;;#ASMSTART
	v_dot2_f32_f16 v2, v6, v10, v2
	;;#ASMEND
	ds_read_b128 v[3:6], v47 offset:16
	ds_read_b128 v[7:10], v46 offset:144
	s_waitcnt lgkmcnt(0)
	;;#ASMSTART
	v_dot2_f32_f16 v2, v3, v7, v2
	;;#ASMEND
	;;#ASMSTART
	v_dot2_f32_f16 v2, v4, v8, v2
	;;#ASMEND
	;;#ASMSTART
	v_dot2_f32_f16 v2, v5, v9, v2
	;;#ASMEND
	;;#ASMSTART
	v_dot2_f32_f16 v2, v6, v10, v2
	;;#ASMEND
	ds_read_b128 v[3:6], v47 offset:32
	;; [unrolled: 15-line block ×7, first 2 shown]
	ds_read_b128 v[7:10], v46 offset:240
	s_waitcnt lgkmcnt(0)
	;;#ASMSTART
	v_dot2_f32_f16 v2, v3, v7, v2
	;;#ASMEND
	;;#ASMSTART
	v_dot2_f32_f16 v2, v4, v8, v2
	;;#ASMEND
	;; [unrolled: 3-line block ×4, first 2 shown]
	v_cmp_ngt_f32_e64 s6, 0x3f200000, |v2|
                                        ; implicit-def: $vgpr3
	s_and_saveexec_b32 s7, s6
	s_xor_b32 s6, exec_lo, s7
	s_cbranch_execz .LBB91_24
; %bb.23:
	v_add_f32_e64 v3, |v2|, |v2|
	v_mul_f32_e32 v4, 0x3fb8aa3b, v3
	v_cmp_ngt_f32_e32 vcc_lo, 0xc2ce8ed0, v3
	v_rndne_f32_e32 v5, v4
	v_fma_f32 v6, 0x3fb8aa3b, v3, -v4
	v_sub_f32_e32 v4, v4, v5
	v_fmamk_f32 v6, v3, 0x32a5705f, v6
	v_cvt_i32_f32_e32 v5, v5
	v_add_f32_e32 v4, v4, v6
	v_exp_f32_e32 v4, v4
	v_ldexp_f32 v4, v4, v5
	v_cndmask_b32_e32 v4, 0, v4, vcc_lo
	v_cmp_nlt_f32_e32 vcc_lo, 0x42b17218, v3
	v_cndmask_b32_e32 v3, 0x7f800000, v4, vcc_lo
	v_add_f32_e32 v3, 1.0, v3
	v_rcp_f32_e32 v3, v3
	v_fma_f32 v3, v3, -2.0, 1.0
.LBB91_24:
	s_andn2_saveexec_b32 s6, s6
	s_cbranch_execz .LBB91_26
; %bb.25:
	v_mul_f32_e32 v3, v2, v2
	s_mov_b32 s7, 0xbbbac73d
	v_fmaak_f32 v4, s7, v3, 0x3ca908c9
	v_fmaak_f32 v4, v3, v4, 0xbd5c1c4e
	;; [unrolled: 1-line block ×4, first 2 shown]
	v_mul_f32_e64 v4, |v2|, v4
	v_fma_f32 v3, v3, v4, |v2|
.LBB91_26:
	s_or_b32 exec_lo, exec_lo, s6
	v_bfi_b32 v2, 0x7fffffff, v3, v2
	v_mov_b32_e32 v3, v19
	s_mov_b32 s6, exec_lo
	v_mul_f32_e32 v8, s19, v2
	v_cmpx_gt_i32_e64 s10, v0
	s_cbranch_execz .LBB91_31
; %bb.27:
	s_cmp_eq_u64 s[42:43], 0
	s_cbranch_scc1 .LBB91_29
; %bb.28:
	v_mul_lo_u32 v2, v44, s18
	v_add3_u32 v2, v2, v0, s15
	v_ashrrev_i32_e32 v3, 31, v2
	v_lshlrev_b64 v[2:3], 1, v[2:3]
	v_add_co_u32 v2, vcc_lo, s42, v2
	v_add_co_ci_u32_e64 v3, null, s43, v3, vcc_lo
	global_load_ushort v2, v[2:3], off
	s_waitcnt vmcnt(0)
	v_cvt_f32_f16_e32 v2, v2
	v_mul_f32_e32 v2, v42, v2
	s_branch .LBB91_30
.LBB91_29:
	v_mov_b32_e32 v2, 0
.LBB91_30:
	v_add_f32_e32 v8, v8, v2
	v_max_f32_e32 v3, v19, v19
	v_add_f32_e32 v2, 0x40051340, v8
	v_max_f32_e32 v3, v3, v2
.LBB91_31:
	s_or_b32 exec_lo, exec_lo, s6
	v_xor_b32_e32 v4, 16, v38
	v_lshl_add_u32 v11, v1, 1, v43
	s_mul_hi_i32 s9, s15, s12
	s_mul_i32 s8, s15, s12
	s_mov_b64 s[6:7], src_private_base
	v_cmp_gt_i32_e32 vcc_lo, 32, v4
	v_mul_lo_u32 v16, s12, v11
	s_lshl_b64 s[8:9], s[8:9], 2
	s_lshl_b32 s6, s12, 2
	s_add_u32 s8, s13, s8
	v_cndmask_b32_e32 v2, v38, v4, vcc_lo
	s_addc_u32 s9, s14, s9
	v_lshlrev_b32_e32 v15, 1, v0
	v_ashrrev_i32_e32 v17, 31, v16
	v_lshlrev_b32_e32 v2, 2, v2
	s_barrier
	buffer_gl0_inv
	v_add_nc_u32_e32 v36, 4, v11
	v_lshlrev_b64 v[20:21], 2, v[16:17]
	ds_bpermute_b32 v5, v2, v3
	v_xor_b32_e32 v2, 8, v38
	v_max_f32_e32 v3, v3, v3
	v_add_nc_u32_e32 v16, s6, v16
	v_add_nc_u32_e32 v72, 8, v11
	;; [unrolled: 1-line block ×3, first 2 shown]
	v_cmp_gt_i32_e32 vcc_lo, 32, v2
	v_ashrrev_i32_e32 v17, 31, v16
	v_cndmask_b32_e32 v6, v38, v2, vcc_lo
	v_lshlrev_b64 v[46:47], 2, v[16:17]
	v_add_nc_u32_e32 v16, s6, v16
	v_lshlrev_b32_e32 v6, 2, v6
	s_waitcnt lgkmcnt(0)
	v_max_f32_e32 v5, v5, v5
	v_max_f32_e32 v5, v3, v5
	v_xor_b32_e32 v3, 4, v38
	ds_bpermute_b32 v6, v6, v5
	v_cmp_gt_i32_e32 vcc_lo, 32, v3
	v_cndmask_b32_e32 v7, v38, v3, vcc_lo
	v_lshlrev_b32_e32 v7, 2, v7
	s_waitcnt lgkmcnt(0)
	v_max_f32_e32 v6, v6, v6
	v_max_f32_e32 v6, v5, v6
	v_xor_b32_e32 v5, 2, v38
	ds_bpermute_b32 v7, v7, v6
	v_cmp_gt_i32_e32 vcc_lo, 32, v5
	v_cndmask_b32_e32 v9, v38, v5, vcc_lo
	v_lshlrev_b32_e32 v9, 2, v9
	s_waitcnt lgkmcnt(0)
	v_max_f32_e32 v7, v7, v7
	v_max_f32_e32 v7, v6, v7
	v_xor_b32_e32 v6, 1, v38
	ds_bpermute_b32 v9, v9, v7
	v_cmp_gt_i32_e32 vcc_lo, 32, v6
	v_cndmask_b32_e32 v10, v38, v6, vcc_lo
	v_lshlrev_b32_e32 v10, 2, v10
	s_waitcnt lgkmcnt(0)
	v_max_f32_e32 v9, v9, v9
	v_max_f32_e32 v7, v7, v9
	ds_bpermute_b32 v9, v10, v7
	s_waitcnt lgkmcnt(0)
	v_max_f32_e32 v9, v9, v9
	v_max_f32_e32 v7, v7, v9
	v_mov_b32_e32 v9, 0
	v_sub_f32_e32 v12, v8, v7
	buffer_store_dword v9, off, s[0:3], 0
	buffer_store_dword v9, off, s[0:3], 0 offset:4
	buffer_store_dword v9, off, s[0:3], 0 offset:8
	buffer_store_dword v9, off, s[0:3], 0 offset:12
	v_mul_f32_e32 v8, 0x3fb8aa3b, v12
	v_cmp_ngt_f32_e32 vcc_lo, 0xc2ce8ed0, v12
	v_fma_f32 v10, 0x3fb8aa3b, v12, -v8
	v_rndne_f32_e32 v13, v8
	v_fmac_f32_e32 v10, 0x32a5705f, v12
	v_sub_f32_e32 v8, v8, v13
	v_add_f32_e32 v8, v8, v10
	v_lshlrev_b32_e32 v10, 2, v45
	v_exp_f32_e32 v14, v8
	v_lshlrev_b32_e32 v8, 6, v1
	v_cvt_i32_f32_e32 v1, v13
	v_lshl_or_b32 v71, v11, 8, v10
	v_lshl_or_b32 v73, v36, 8, v10
	;; [unrolled: 1-line block ×4, first 2 shown]
	v_ldexp_f32 v1, v14, v1
	v_cndmask_b32_e32 v1, 0, v1, vcc_lo
	v_add_co_u32 v13, vcc_lo, s8, v20
	v_add_co_ci_u32_e64 v14, null, s9, v21, vcc_lo
	v_cmp_nlt_f32_e32 vcc_lo, 0x42b17218, v12
	v_cndmask_b32_e32 v1, 0x7f800000, v1, vcc_lo
	v_add_co_u32 v12, vcc_lo, v13, v10
	v_add_co_ci_u32_e64 v13, null, 0, v14, vcc_lo
	v_cmp_gt_u32_e32 vcc_lo, s10, v0
	v_add3_u32 v14, 0x1400, v8, v15
	v_cndmask_b32_e32 v1, 0, v1, vcc_lo
	v_cmp_gt_i32_e32 vcc_lo, s10, v11
	v_cvt_f16_f32_e32 v15, v1
	v_cndmask_b32_e32 v13, s7, v13, vcc_lo
	v_cndmask_b32_e32 v12, 0, v12, vcc_lo
	v_add_co_u32 v17, vcc_lo, s8, v46
	ds_write_b16 v14, v15
	v_add_co_ci_u32_e64 v22, null, s9, v47, vcc_lo
	flat_load_dwordx4 v[12:15], v[12:13]
	v_add_co_u32 v17, vcc_lo, v17, v10
	v_add_co_ci_u32_e64 v22, null, 0, v22, vcc_lo
	v_cmp_gt_i32_e32 vcc_lo, s10, v36
	buffer_store_dword v9, off, s[0:3], 0
	buffer_store_dword v9, off, s[0:3], 0 offset:4
	buffer_store_dword v9, off, s[0:3], 0 offset:8
	;; [unrolled: 1-line block ×3, first 2 shown]
	v_cndmask_b32_e32 v23, s7, v22, vcc_lo
	v_cndmask_b32_e32 v22, 0, v17, vcc_lo
	v_ashrrev_i32_e32 v17, 31, v16
	v_lshlrev_b64 v[69:70], 2, v[16:17]
	v_add_nc_u32_e32 v16, s6, v16
	s_or_b32 s6, s15, 16
	v_add_co_u32 v17, vcc_lo, s8, v69
	s_waitcnt vmcnt(0) lgkmcnt(0)
	ds_write_b128 v71, v[12:15]
	flat_load_dwordx4 v[12:15], v[22:23]
	v_add_co_ci_u32_e64 v22, null, s9, v70, vcc_lo
	v_add_co_u32 v17, vcc_lo, v17, v10
	buffer_store_dword v9, off, s[0:3], 0
	buffer_store_dword v9, off, s[0:3], 0 offset:4
	buffer_store_dword v9, off, s[0:3], 0 offset:8
	;; [unrolled: 1-line block ×3, first 2 shown]
	v_add_co_ci_u32_e64 v22, null, 0, v22, vcc_lo
	v_cmp_gt_i32_e32 vcc_lo, s10, v72
	v_cndmask_b32_e32 v23, s7, v22, vcc_lo
	v_cndmask_b32_e32 v22, 0, v17, vcc_lo
	v_ashrrev_i32_e32 v17, 31, v16
	v_lshlrev_b64 v[16:17], 2, v[16:17]
	s_waitcnt vmcnt(0) lgkmcnt(0)
	ds_write_b128 v73, v[12:15]
	flat_load_dwordx4 v[12:15], v[22:23]
	v_add_co_u32 v22, vcc_lo, s8, v16
	v_add_co_ci_u32_e64 v23, null, s9, v17, vcc_lo
	buffer_store_dword v9, off, s[0:3], 0
	buffer_store_dword v9, off, s[0:3], 0 offset:4
	buffer_store_dword v9, off, s[0:3], 0 offset:8
	;; [unrolled: 1-line block ×3, first 2 shown]
	v_add_co_u32 v22, vcc_lo, v22, v10
	v_add_co_ci_u32_e64 v23, null, 0, v23, vcc_lo
	v_cmp_gt_i32_e32 vcc_lo, s10, v74
	s_mul_hi_i32 s9, s6, s12
	s_mul_i32 s8, s6, s12
	s_lshl_b64 s[8:9], s[8:9], 2
	v_cndmask_b32_e32 v23, s7, v23, vcc_lo
	v_cndmask_b32_e32 v22, 0, v22, vcc_lo
	s_add_u32 s6, s13, s8
	s_addc_u32 s8, s14, s9
	v_add_co_u32 v20, vcc_lo, s6, v20
	v_add_co_ci_u32_e64 v21, null, s8, v21, vcc_lo
	s_add_i32 s10, s10, -16
	v_add_co_u32 v20, vcc_lo, v20, v10
	v_add_co_ci_u32_e64 v21, null, 0, v21, vcc_lo
	v_cmp_gt_i32_e32 vcc_lo, s10, v11
	v_add_nc_u32_e32 v11, 0x800, v39
	v_cndmask_b32_e32 v66, s7, v21, vcc_lo
	v_cndmask_b32_e32 v65, 0, v20, vcc_lo
	v_add_co_u32 v46, vcc_lo, s6, v46
	v_add_co_ci_u32_e64 v47, null, s8, v47, vcc_lo
	v_add_co_u32 v46, vcc_lo, v46, v10
	v_add_co_ci_u32_e64 v47, null, 0, v47, vcc_lo
	v_cmp_gt_i32_e32 vcc_lo, s10, v36
	v_cndmask_b32_e32 v47, s7, v47, vcc_lo
	v_cndmask_b32_e32 v46, 0, v46, vcc_lo
	v_add_co_u32 v36, vcc_lo, s6, v69
	s_waitcnt vmcnt(0) lgkmcnt(0)
	ds_write_b128 v75, v[12:15]
	flat_load_dwordx4 v[12:15], v[22:23]
	s_waitcnt vmcnt(0) lgkmcnt(0)
	ds_write_b128 v76, v[12:15]
	s_waitcnt lgkmcnt(0)
	s_waitcnt_vscnt null, 0x0
	s_barrier
	buffer_gl0_inv
	ds_read2_b64 v[12:15], v39 offset1:32
	ds_read_b128 v[20:23], v8 offset:5120
	ds_read_b128 v[24:27], v8 offset:5136
	ds_read2_b64 v[28:31], v39 offset0:64 offset1:96
	ds_read2_b64 v[32:35], v39 offset0:128 offset1:160
	;; [unrolled: 1-line block ×3, first 2 shown]
	ds_read2_b64 v[49:52], v11 offset1:32
	ds_read2_b64 v[53:56], v11 offset0:64 offset1:96
	ds_read2_b64 v[57:60], v11 offset0:128 offset1:160
	;; [unrolled: 1-line block ×3, first 2 shown]
	s_waitcnt lgkmcnt(0)
	s_barrier
	buffer_gl0_inv
	buffer_store_dword v9, off, s[0:3], 0
	buffer_store_dword v9, off, s[0:3], 0 offset:4
	buffer_store_dword v9, off, s[0:3], 0 offset:8
	;; [unrolled: 1-line block ×3, first 2 shown]
	flat_load_dwordx4 v[65:68], v[65:66]
	buffer_store_dword v9, off, s[0:3], 0
	buffer_store_dword v9, off, s[0:3], 0 offset:4
	buffer_store_dword v9, off, s[0:3], 0 offset:8
	;; [unrolled: 1-line block ×3, first 2 shown]
	s_waitcnt vmcnt(0) lgkmcnt(0)
	ds_write_b128 v71, v[65:68]
	flat_load_dwordx4 v[65:68], v[46:47]
	v_add_co_ci_u32_e64 v46, null, s8, v70, vcc_lo
	v_add_co_u32 v36, vcc_lo, v36, v10
	buffer_store_dword v9, off, s[0:3], 0
	buffer_store_dword v9, off, s[0:3], 0 offset:4
	buffer_store_dword v9, off, s[0:3], 0 offset:8
	buffer_store_dword v9, off, s[0:3], 0 offset:12
	v_add_co_ci_u32_e64 v46, null, 0, v46, vcc_lo
	v_cmp_gt_i32_e32 vcc_lo, s10, v72
	v_cndmask_b32_e32 v47, s7, v46, vcc_lo
	v_cndmask_b32_e32 v46, 0, v36, vcc_lo
	v_add_co_u32 v16, vcc_lo, s6, v16
	v_add_co_ci_u32_e64 v17, null, s8, v17, vcc_lo
	v_add_co_u32 v10, vcc_lo, v16, v10
	v_add_co_ci_u32_e64 v16, null, 0, v17, vcc_lo
	v_cmp_gt_i32_e32 vcc_lo, s10, v74
	v_cndmask_b32_e32 v17, s7, v16, vcc_lo
	v_cndmask_b32_e32 v16, 0, v10, vcc_lo
	s_waitcnt vmcnt(0) lgkmcnt(0)
	ds_write_b128 v73, v[65:68]
	flat_load_dwordx4 v[65:68], v[46:47]
	buffer_store_dword v9, off, s[0:3], 0
	buffer_store_dword v9, off, s[0:3], 0 offset:4
	buffer_store_dword v9, off, s[0:3], 0 offset:8
	;; [unrolled: 1-line block ×3, first 2 shown]
	v_sub_f32_e32 v9, v19, v7
	v_mul_f32_e32 v10, 0x3fb8aa3b, v9
	v_cmp_ngt_f32_e32 vcc_lo, 0xc2ce8ed0, v9
	s_waitcnt vmcnt(0) lgkmcnt(0)
	ds_write_b128 v75, v[65:68]
	flat_load_dwordx4 v[65:68], v[16:17]
	v_fma_f32 v16, 0x3fb8aa3b, v9, -v10
	v_rndne_f32_e32 v17, v10
	v_fmac_f32_e32 v16, 0x32a5705f, v9
	v_sub_f32_e32 v10, v10, v17
	v_add_f32_e32 v10, v10, v16
	v_cvt_i32_f32_e32 v16, v17
	v_mov_b32_e32 v17, 0x10001
	v_exp_f32_e32 v10, v10
	v_mul_u32_u24_sdwa v19, v20, v17 dst_sel:DWORD dst_unused:UNUSED_PAD src0_sel:WORD_1 src1_sel:DWORD
	v_ldexp_f32 v10, v10, v16
	v_cndmask_b32_e32 v10, 0, v10, vcc_lo
	v_cmp_nlt_f32_e32 vcc_lo, 0x42b17218, v9
	v_cndmask_b32_e32 v16, 0x7f800000, v10, vcc_lo
	v_mul_u32_u24_sdwa v10, v20, v17 dst_sel:DWORD dst_unused:UNUSED_PAD src0_sel:WORD_0 src1_sel:DWORD
	v_cvt_f16_f32_e32 v9, v16
	v_pk_mul_f16 v12, v12, v10
	v_pk_mul_f16 v10, v13, v10
	v_mul_u32_u24_sdwa v13, v21, v17 dst_sel:DWORD dst_unused:UNUSED_PAD src0_sel:WORD_0 src1_sel:DWORD
	v_fmac_f32_e32 v1, v48, v16
	v_mul_u32_u24_sdwa v9, v9, v17 dst_sel:DWORD dst_unused:UNUSED_PAD src0_sel:WORD_0 src1_sel:DWORD
	v_mov_b32_e32 v48, v1
	v_pk_fma_f16 v12, v40, v9, v12
	v_pk_fma_f16 v9, v41, v9, v10
	;; [unrolled: 1-line block ×4, first 2 shown]
	v_mul_u32_u24_sdwa v12, v21, v17 dst_sel:DWORD dst_unused:UNUSED_PAD src0_sel:WORD_1 src1_sel:DWORD
	v_mul_u32_u24_sdwa v14, v22, v17 dst_sel:DWORD dst_unused:UNUSED_PAD src0_sel:WORD_0 src1_sel:DWORD
	v_mul_u32_u24_sdwa v19, v25, v17 dst_sel:DWORD dst_unused:UNUSED_PAD src0_sel:WORD_1 src1_sel:DWORD
	v_pk_fma_f16 v10, v28, v13, v10
	v_pk_fma_f16 v9, v29, v13, v9
	v_mul_u32_u24_sdwa v13, v22, v17 dst_sel:DWORD dst_unused:UNUSED_PAD src0_sel:WORD_1 src1_sel:DWORD
	v_mul_u32_u24_sdwa v28, v27, v17 dst_sel:DWORD dst_unused:UNUSED_PAD src0_sel:WORD_0 src1_sel:DWORD
	v_pk_fma_f16 v10, v30, v12, v10
	v_pk_fma_f16 v9, v31, v12, v9
	v_mul_u32_u24_sdwa v12, v23, v17 dst_sel:DWORD dst_unused:UNUSED_PAD src0_sel:WORD_0 src1_sel:DWORD
	v_mul_u32_u24_sdwa v31, v27, v17 dst_sel:DWORD dst_unused:UNUSED_PAD src0_sel:WORD_1 src1_sel:DWORD
	v_pk_fma_f16 v10, v32, v14, v10
	v_pk_fma_f16 v9, v33, v14, v9
	v_mul_u32_u24_sdwa v14, v23, v17 dst_sel:DWORD dst_unused:UNUSED_PAD src0_sel:WORD_1 src1_sel:DWORD
	v_mul_u32_u24_sdwa v23, v26, v17 dst_sel:DWORD dst_unused:UNUSED_PAD src0_sel:WORD_0 src1_sel:DWORD
	v_pk_fma_f16 v10, v34, v13, v10
	v_pk_fma_f16 v9, v35, v13, v9
	v_mul_u32_u24_sdwa v13, v24, v17 dst_sel:DWORD dst_unused:UNUSED_PAD src0_sel:WORD_0 src1_sel:DWORD
	v_pk_fma_f16 v10, v42, v12, v10
	v_pk_fma_f16 v9, v43, v12, v9
	v_mul_u32_u24_sdwa v12, v24, v17 dst_sel:DWORD dst_unused:UNUSED_PAD src0_sel:WORD_1 src1_sel:DWORD
	v_mul_u32_u24_sdwa v24, v26, v17 dst_sel:DWORD dst_unused:UNUSED_PAD src0_sel:WORD_1 src1_sel:DWORD
	v_pk_fma_f16 v10, v44, v14, v10
	v_pk_fma_f16 v9, v45, v14, v9
	v_mul_u32_u24_sdwa v14, v25, v17 dst_sel:DWORD dst_unused:UNUSED_PAD src0_sel:WORD_0 src1_sel:DWORD
	v_pk_fma_f16 v10, v49, v13, v10
	v_pk_fma_f16 v9, v50, v13, v9
	;; [unrolled: 1-line block ×16, first 2 shown]
	s_waitcnt vmcnt(0) lgkmcnt(0)
	ds_write_b128 v76, v[65:68]
	s_waitcnt lgkmcnt(0)
	s_waitcnt_vscnt null, 0x0
	s_barrier
	buffer_gl0_inv
	ds_read_b128 v[12:15], v8 offset:5152
	ds_read_b128 v[27:30], v8 offset:5168
	ds_read2_b64 v[19:22], v39 offset1:32
	ds_read2_b64 v[23:26], v39 offset0:64 offset1:96
	ds_read2_b64 v[31:34], v39 offset0:128 offset1:160
	s_waitcnt lgkmcnt(4)
	v_mul_u32_u24_sdwa v8, v12, v17 dst_sel:DWORD dst_unused:UNUSED_PAD src0_sel:WORD_0 src1_sel:DWORD
	v_mul_u32_u24_sdwa v12, v12, v17 dst_sel:DWORD dst_unused:UNUSED_PAD src0_sel:WORD_1 src1_sel:DWORD
	s_waitcnt lgkmcnt(2)
	v_pk_fma_f16 v10, v19, v8, v10
	v_pk_fma_f16 v8, v20, v8, v9
	v_mul_u32_u24_sdwa v9, v13, v17 dst_sel:DWORD dst_unused:UNUSED_PAD src0_sel:WORD_0 src1_sel:DWORD
	v_pk_fma_f16 v10, v21, v12, v10
	v_pk_fma_f16 v8, v22, v12, v8
	ds_read2_b64 v[19:22], v39 offset0:192 offset1:224
	v_mul_u32_u24_sdwa v12, v13, v17 dst_sel:DWORD dst_unused:UNUSED_PAD src0_sel:WORD_1 src1_sel:DWORD
	s_waitcnt lgkmcnt(2)
	v_pk_fma_f16 v10, v23, v9, v10
	v_pk_fma_f16 v8, v24, v9, v8
	v_mul_u32_u24_sdwa v9, v14, v17 dst_sel:DWORD dst_unused:UNUSED_PAD src0_sel:WORD_0 src1_sel:DWORD
	v_pk_fma_f16 v10, v25, v12, v10
	v_pk_fma_f16 v8, v26, v12, v8
	ds_read2_b64 v[23:26], v11 offset1:32
	v_mul_u32_u24_sdwa v12, v14, v17 dst_sel:DWORD dst_unused:UNUSED_PAD src0_sel:WORD_1 src1_sel:DWORD
	s_waitcnt lgkmcnt(2)
	v_pk_fma_f16 v10, v31, v9, v10
	v_pk_fma_f16 v8, v32, v9, v8
	v_mul_u32_u24_sdwa v9, v15, v17 dst_sel:DWORD dst_unused:UNUSED_PAD src0_sel:WORD_0 src1_sel:DWORD
	v_pk_fma_f16 v10, v33, v12, v10
	v_pk_fma_f16 v8, v34, v12, v8
	ds_read2_b64 v[31:34], v11 offset0:64 offset1:96
	v_mul_u32_u24_sdwa v12, v15, v17 dst_sel:DWORD dst_unused:UNUSED_PAD src0_sel:WORD_1 src1_sel:DWORD
	s_waitcnt lgkmcnt(2)
	v_pk_fma_f16 v10, v19, v9, v10
	v_pk_fma_f16 v8, v20, v9, v8
	v_mul_u32_u24_sdwa v9, v27, v17 dst_sel:DWORD dst_unused:UNUSED_PAD src0_sel:WORD_0 src1_sel:DWORD
	v_mul_u32_u24_sdwa v19, v27, v17 dst_sel:DWORD dst_unused:UNUSED_PAD src0_sel:WORD_1 src1_sel:DWORD
	v_mul_u32_u24_sdwa v20, v28, v17 dst_sel:DWORD dst_unused:UNUSED_PAD src0_sel:WORD_0 src1_sel:DWORD
	v_pk_fma_f16 v10, v21, v12, v10
	v_pk_fma_f16 v8, v22, v12, v8
	ds_read2_b64 v[12:15], v11 offset0:128 offset1:160
	v_mul_u32_u24_sdwa v22, v28, v17 dst_sel:DWORD dst_unused:UNUSED_PAD src0_sel:WORD_1 src1_sel:DWORD
	s_waitcnt lgkmcnt(2)
	v_pk_fma_f16 v10, v23, v9, v10
	v_pk_fma_f16 v8, v24, v9, v8
	;; [unrolled: 1-line block ×4, first 2 shown]
	ds_read2_b64 v[8:11], v11 offset0:192 offset1:224
	s_waitcnt lgkmcnt(0)
	s_barrier
	v_pk_fma_f16 v21, v31, v20, v21
	v_pk_fma_f16 v19, v32, v20, v19
	v_mul_u32_u24_sdwa v20, v29, v17 dst_sel:DWORD dst_unused:UNUSED_PAD src0_sel:WORD_0 src1_sel:DWORD
	buffer_gl0_inv
	v_pk_fma_f16 v21, v33, v22, v21
	v_pk_fma_f16 v19, v34, v22, v19
	v_mul_u32_u24_sdwa v22, v29, v17 dst_sel:DWORD dst_unused:UNUSED_PAD src0_sel:WORD_1 src1_sel:DWORD
	v_pk_fma_f16 v12, v12, v20, v21
	v_pk_fma_f16 v13, v13, v20, v19
	v_mul_u32_u24_sdwa v19, v30, v17 dst_sel:DWORD dst_unused:UNUSED_PAD src0_sel:WORD_0 src1_sel:DWORD
	v_pk_fma_f16 v12, v14, v22, v12
	v_pk_fma_f16 v13, v15, v22, v13
	v_mul_u32_u24_sdwa v14, v30, v17 dst_sel:DWORD dst_unused:UNUSED_PAD src0_sel:WORD_1 src1_sel:DWORD
	v_pk_fma_f16 v12, v8, v19, v12
	v_pk_fma_f16 v9, v9, v19, v13
	v_mov_b32_e32 v8, 32
	v_mov_b32_e32 v19, v7
	v_pk_fma_f16 v40, v10, v14, v12
	v_pk_fma_f16 v41, v11, v14, v9
.LBB91_32:
	v_cmp_lt_i32_e32 vcc_lo, v4, v8
	s_cmp_eq_u64 s[20:21], 0
	s_cselect_b32 s6, -1, 0
	s_cmp_lg_u32 s34, 0
	v_cndmask_b32_e32 v1, v38, v4, vcc_lo
	v_cmp_lt_i32_e32 vcc_lo, v2, v8
	s_cselect_b32 s7, -1, 0
	s_or_b32 s6, s7, s6
	v_lshlrev_b32_e32 v1, 2, v1
	v_cndmask_b32_e32 v2, v38, v2, vcc_lo
	v_cmp_lt_i32_e32 vcc_lo, v3, v8
	ds_bpermute_b32 v1, v1, v48
	v_lshlrev_b32_e32 v2, 2, v2
	v_cndmask_b32_e32 v3, v38, v3, vcc_lo
	v_cmp_lt_i32_e32 vcc_lo, v5, v8
	v_lshlrev_b32_e32 v3, 2, v3
	s_waitcnt lgkmcnt(0)
	v_add_f32_e32 v1, v48, v1
	ds_bpermute_b32 v2, v2, v1
	s_waitcnt lgkmcnt(0)
	v_add_f32_e32 v1, v1, v2
	ds_bpermute_b32 v2, v3, v1
	v_cndmask_b32_e32 v3, v38, v5, vcc_lo
	v_cmp_lt_i32_e32 vcc_lo, v6, v8
	v_lshlrev_b32_e32 v3, 2, v3
	s_waitcnt lgkmcnt(0)
	v_add_f32_e32 v1, v1, v2
	ds_bpermute_b32 v2, v3, v1
	v_cndmask_b32_e32 v3, v38, v6, vcc_lo
	s_and_b32 vcc_lo, exec_lo, s6
	v_lshlrev_b32_e32 v3, 2, v3
	s_waitcnt lgkmcnt(0)
	v_add_f32_e32 v1, v1, v2
	ds_bpermute_b32 v2, v3, v1
	s_waitcnt lgkmcnt(0)
	v_add_f32_e32 v20, v1, v2
	s_cbranch_vccnz .LBB91_34
; %bb.33:
	s_lshl_b64 s[6:7], s[40:41], 2
	v_mov_b32_e32 v1, 0
	s_add_u32 s6, s20, s6
	s_addc_u32 s7, s21, s7
	v_max_f32_e32 v2, v19, v19
	global_load_dword v1, v1, s[6:7]
	s_waitcnt vmcnt(0)
	v_max_f32_e32 v3, v1, v1
	v_max_f32_e32 v2, v2, v3
	v_sub_f32_e32 v3, v19, v2
	v_sub_f32_e32 v1, v1, v2
	v_mov_b32_e32 v19, v2
	v_mul_f32_e32 v4, 0x3fb8aa3b, v3
	v_mul_f32_e32 v5, 0x3fb8aa3b, v1
	v_cmp_ngt_f32_e32 vcc_lo, 0xc2ce8ed0, v3
	v_fma_f32 v6, 0x3fb8aa3b, v3, -v4
	v_rndne_f32_e32 v7, v4
	v_fma_f32 v8, 0x3fb8aa3b, v1, -v5
	v_rndne_f32_e32 v9, v5
	v_fmac_f32_e32 v6, 0x32a5705f, v3
	v_sub_f32_e32 v4, v4, v7
	v_fmac_f32_e32 v8, 0x32a5705f, v1
	v_sub_f32_e32 v5, v5, v9
	v_add_f32_e32 v4, v4, v6
	v_cvt_i32_f32_e32 v6, v7
	v_add_f32_e32 v5, v5, v8
	v_cvt_i32_f32_e32 v7, v9
	v_exp_f32_e32 v4, v4
	v_exp_f32_e32 v5, v5
	v_ldexp_f32 v4, v4, v6
	v_ldexp_f32 v5, v5, v7
	v_cndmask_b32_e32 v4, 0, v4, vcc_lo
	v_cmp_ngt_f32_e32 vcc_lo, 0xc2ce8ed0, v1
	v_cndmask_b32_e32 v5, 0, v5, vcc_lo
	v_cmp_nlt_f32_e32 vcc_lo, 0x42b17218, v3
	v_cndmask_b32_e32 v3, 0x7f800000, v4, vcc_lo
	v_cmp_nlt_f32_e32 vcc_lo, 0x42b17218, v1
	v_mov_b32_e32 v4, 0x10001
	v_cndmask_b32_e32 v1, 0x7f800000, v5, vcc_lo
	v_cvt_f16_f32_e32 v5, v3
	v_fmac_f32_e32 v1, v20, v3
	v_mul_u32_u24_sdwa v3, v5, v4 dst_sel:DWORD dst_unused:UNUSED_PAD src0_sel:WORD_0 src1_sel:DWORD
	v_mov_b32_e32 v20, v1
	v_pk_mul_f16 v40, v40, v3
	v_pk_mul_f16 v41, v41, v3
.LBB91_34:
	s_mov_b32 s6, exec_lo
	v_cmpx_gt_i32_e64 s30, v18
	s_cbranch_execz .LBB91_37
; %bb.35:
	v_div_scale_f32 v3, null, v20, v20, 1.0
	s_load_dword s5, s[4:5], 0xd4
	v_div_scale_f32 v5, vcc_lo, 1.0, v20, 1.0
	v_rcp_f32_e32 v4, v3
	v_cmp_eq_u32_e64 s4, 0, v0
	v_cvt_f32_f16_e32 v8, v41
	v_cvt_f32_f16_sdwa v9, v41 dst_sel:DWORD dst_unused:UNUSED_PAD src0_sel:WORD_1
	v_fma_f32 v1, -v3, v4, 1.0
	v_fmac_f32_e32 v4, v1, v4
	v_mad_u64_u32 v[1:2], null, s33, s30, v[18:19]
	s_waitcnt lgkmcnt(0)
	s_cmp_lg_u32 s5, 1
	v_mul_f32_e32 v6, v5, v4
	v_mad_u64_u32 v[1:2], null, v1, s31, s[40:41]
	v_fma_f32 v7, -v3, v6, v5
	v_fmac_f32_e32 v6, v7, v4
	v_mad_u64_u32 v[1:2], null, s5, v1, s[34:35]
	s_cselect_b32 s5, -1, 0
	v_fma_f32 v2, -v3, v6, v5
	v_mov_b32_e32 v3, 0
	v_cvt_f32_f16_sdwa v5, v40 dst_sel:DWORD dst_unused:UNUSED_PAD src0_sel:WORD_1
	s_and_b32 s4, s4, s5
	v_div_fmas_f32 v0, v2, v4, v6
	v_lshl_add_u32 v2, v1, 7, v37
	v_cvt_f32_f16_e32 v4, v40
	v_div_fixup_f32 v0, v0, v20, 1.0
	v_lshlrev_b64 v[2:3], 2, v[2:3]
	v_cndmask_b32_e64 v0, v0, 1.0, s5
	v_add_co_u32 v6, vcc_lo, s24, v2
	v_add_co_ci_u32_e64 v7, null, s25, v3, vcc_lo
	v_mul_f32_e32 v2, v0, v4
	v_mul_f32_e32 v3, v0, v5
	;; [unrolled: 1-line block ×4, first 2 shown]
	global_store_dwordx4 v[6:7], v[2:5], off
	s_and_b32 exec_lo, exec_lo, s4
	s_cbranch_execz .LBB91_37
; %bb.36:
	v_ashrrev_i32_e32 v2, 31, v1
	v_lshlrev_b64 v[0:1], 3, v[1:2]
	v_add_co_u32 v0, vcc_lo, s26, v0
	v_add_co_ci_u32_e64 v1, null, s27, v1, vcc_lo
	global_store_dwordx2 v[0:1], v[19:20], off
.LBB91_37:
	s_endpgm
	.section	.rodata,"a",@progbits
	.p2align	6, 0x0
	.amdhsa_kernel _ZL15flash_attn_tileILi128ELi128ELi2ELi1ELb1EEvPKcS1_S1_S1_S1_PKiPfP15HIP_vector_typeIfLj2EEffffjfiS5_IjLj3EEiiiiiiiiiiiliiliiiiil
		.amdhsa_group_segment_fixed_size 5248
		.amdhsa_private_segment_fixed_size 32
		.amdhsa_kernarg_size 464
		.amdhsa_user_sgpr_count 8
		.amdhsa_user_sgpr_private_segment_buffer 1
		.amdhsa_user_sgpr_dispatch_ptr 0
		.amdhsa_user_sgpr_queue_ptr 0
		.amdhsa_user_sgpr_kernarg_segment_ptr 1
		.amdhsa_user_sgpr_dispatch_id 0
		.amdhsa_user_sgpr_flat_scratch_init 1
		.amdhsa_user_sgpr_private_segment_size 0
		.amdhsa_wavefront_size32 1
		.amdhsa_uses_dynamic_stack 0
		.amdhsa_system_sgpr_private_segment_wavefront_offset 1
		.amdhsa_system_sgpr_workgroup_id_x 1
		.amdhsa_system_sgpr_workgroup_id_y 1
		.amdhsa_system_sgpr_workgroup_id_z 1
		.amdhsa_system_sgpr_workgroup_info 0
		.amdhsa_system_vgpr_workitem_id 1
		.amdhsa_next_free_vgpr 111
		.amdhsa_next_free_sgpr 52
		.amdhsa_reserve_vcc 1
		.amdhsa_reserve_flat_scratch 1
		.amdhsa_float_round_mode_32 0
		.amdhsa_float_round_mode_16_64 0
		.amdhsa_float_denorm_mode_32 3
		.amdhsa_float_denorm_mode_16_64 3
		.amdhsa_dx10_clamp 1
		.amdhsa_ieee_mode 1
		.amdhsa_fp16_overflow 0
		.amdhsa_workgroup_processor_mode 1
		.amdhsa_memory_ordered 1
		.amdhsa_forward_progress 1
		.amdhsa_shared_vgpr_count 0
		.amdhsa_exception_fp_ieee_invalid_op 0
		.amdhsa_exception_fp_denorm_src 0
		.amdhsa_exception_fp_ieee_div_zero 0
		.amdhsa_exception_fp_ieee_overflow 0
		.amdhsa_exception_fp_ieee_underflow 0
		.amdhsa_exception_fp_ieee_inexact 0
		.amdhsa_exception_int_div_zero 0
	.end_amdhsa_kernel
	.section	.text._ZL15flash_attn_tileILi128ELi128ELi2ELi1ELb1EEvPKcS1_S1_S1_S1_PKiPfP15HIP_vector_typeIfLj2EEffffjfiS5_IjLj3EEiiiiiiiiiiiliiliiiiil,"axG",@progbits,_ZL15flash_attn_tileILi128ELi128ELi2ELi1ELb1EEvPKcS1_S1_S1_S1_PKiPfP15HIP_vector_typeIfLj2EEffffjfiS5_IjLj3EEiiiiiiiiiiiliiliiiiil,comdat
.Lfunc_end91:
	.size	_ZL15flash_attn_tileILi128ELi128ELi2ELi1ELb1EEvPKcS1_S1_S1_S1_PKiPfP15HIP_vector_typeIfLj2EEffffjfiS5_IjLj3EEiiiiiiiiiiiliiliiiiil, .Lfunc_end91-_ZL15flash_attn_tileILi128ELi128ELi2ELi1ELb1EEvPKcS1_S1_S1_S1_PKiPfP15HIP_vector_typeIfLj2EEffffjfiS5_IjLj3EEiiiiiiiiiiiliiliiiiil
                                        ; -- End function
	.set _ZL15flash_attn_tileILi128ELi128ELi2ELi1ELb1EEvPKcS1_S1_S1_S1_PKiPfP15HIP_vector_typeIfLj2EEffffjfiS5_IjLj3EEiiiiiiiiiiiliiliiiiil.num_vgpr, 111
	.set _ZL15flash_attn_tileILi128ELi128ELi2ELi1ELb1EEvPKcS1_S1_S1_S1_PKiPfP15HIP_vector_typeIfLj2EEffffjfiS5_IjLj3EEiiiiiiiiiiiliiliiiiil.num_agpr, 0
	.set _ZL15flash_attn_tileILi128ELi128ELi2ELi1ELb1EEvPKcS1_S1_S1_S1_PKiPfP15HIP_vector_typeIfLj2EEffffjfiS5_IjLj3EEiiiiiiiiiiiliiliiiiil.numbered_sgpr, 52
	.set _ZL15flash_attn_tileILi128ELi128ELi2ELi1ELb1EEvPKcS1_S1_S1_S1_PKiPfP15HIP_vector_typeIfLj2EEffffjfiS5_IjLj3EEiiiiiiiiiiiliiliiiiil.num_named_barrier, 0
	.set _ZL15flash_attn_tileILi128ELi128ELi2ELi1ELb1EEvPKcS1_S1_S1_S1_PKiPfP15HIP_vector_typeIfLj2EEffffjfiS5_IjLj3EEiiiiiiiiiiiliiliiiiil.private_seg_size, 32
	.set _ZL15flash_attn_tileILi128ELi128ELi2ELi1ELb1EEvPKcS1_S1_S1_S1_PKiPfP15HIP_vector_typeIfLj2EEffffjfiS5_IjLj3EEiiiiiiiiiiiliiliiiiil.uses_vcc, 1
	.set _ZL15flash_attn_tileILi128ELi128ELi2ELi1ELb1EEvPKcS1_S1_S1_S1_PKiPfP15HIP_vector_typeIfLj2EEffffjfiS5_IjLj3EEiiiiiiiiiiiliiliiiiil.uses_flat_scratch, 1
	.set _ZL15flash_attn_tileILi128ELi128ELi2ELi1ELb1EEvPKcS1_S1_S1_S1_PKiPfP15HIP_vector_typeIfLj2EEffffjfiS5_IjLj3EEiiiiiiiiiiiliiliiiiil.has_dyn_sized_stack, 0
	.set _ZL15flash_attn_tileILi128ELi128ELi2ELi1ELb1EEvPKcS1_S1_S1_S1_PKiPfP15HIP_vector_typeIfLj2EEffffjfiS5_IjLj3EEiiiiiiiiiiiliiliiiiil.has_recursion, 0
	.set _ZL15flash_attn_tileILi128ELi128ELi2ELi1ELb1EEvPKcS1_S1_S1_S1_PKiPfP15HIP_vector_typeIfLj2EEffffjfiS5_IjLj3EEiiiiiiiiiiiliiliiiiil.has_indirect_call, 0
	.section	.AMDGPU.csdata,"",@progbits
; Kernel info:
; codeLenInByte = 12716
; TotalNumSgprs: 54
; NumVgprs: 111
; ScratchSize: 32
; MemoryBound: 0
; FloatMode: 240
; IeeeMode: 1
; LDSByteSize: 5248 bytes/workgroup (compile time only)
; SGPRBlocks: 0
; VGPRBlocks: 13
; NumSGPRsForWavesPerEU: 54
; NumVGPRsForWavesPerEU: 111
; Occupancy: 9
; WaveLimiterHint : 1
; COMPUTE_PGM_RSRC2:SCRATCH_EN: 1
; COMPUTE_PGM_RSRC2:USER_SGPR: 8
; COMPUTE_PGM_RSRC2:TRAP_HANDLER: 0
; COMPUTE_PGM_RSRC2:TGID_X_EN: 1
; COMPUTE_PGM_RSRC2:TGID_Y_EN: 1
; COMPUTE_PGM_RSRC2:TGID_Z_EN: 1
; COMPUTE_PGM_RSRC2:TIDIG_COMP_CNT: 1
	.section	.AMDGPU.gpr_maximums,"",@progbits
	.set amdgpu.max_num_vgpr, 0
	.set amdgpu.max_num_agpr, 0
	.set amdgpu.max_num_sgpr, 0
	.section	.AMDGPU.csdata,"",@progbits
	.type	__hip_cuid_6445ea8ae16a1cda,@object ; @__hip_cuid_6445ea8ae16a1cda
	.section	.bss,"aw",@nobits
	.globl	__hip_cuid_6445ea8ae16a1cda
__hip_cuid_6445ea8ae16a1cda:
	.byte	0                               ; 0x0
	.size	__hip_cuid_6445ea8ae16a1cda, 1

	.ident	"AMD clang version 22.0.0git (https://github.com/RadeonOpenCompute/llvm-project roc-7.2.4 26084 f58b06dce1f9c15707c5f808fd002e18c2accf7e)"
	.section	".note.GNU-stack","",@progbits
	.addrsig
	.addrsig_sym __hip_cuid_6445ea8ae16a1cda
	.amdgpu_metadata
---
amdhsa.kernels:
  - .args:
      - .address_space:  global
        .offset:         0
        .size:           8
        .value_kind:     global_buffer
      - .address_space:  global
        .offset:         8
        .size:           8
        .value_kind:     global_buffer
      - .address_space:  global
        .offset:         16
        .size:           8
        .value_kind:     global_buffer
      - .address_space:  global
        .offset:         24
        .size:           8
        .value_kind:     global_buffer
      - .address_space:  global
        .offset:         32
        .size:           8
        .value_kind:     global_buffer
      - .address_space:  global
        .offset:         40
        .size:           8
        .value_kind:     global_buffer
      - .address_space:  global
        .offset:         48
        .size:           8
        .value_kind:     global_buffer
      - .address_space:  global
        .offset:         56
        .size:           8
        .value_kind:     global_buffer
      - .offset:         64
        .size:           4
        .value_kind:     by_value
      - .offset:         68
        .size:           4
        .value_kind:     by_value
      - .offset:         72
        .size:           4
        .value_kind:     by_value
      - .offset:         76
        .size:           4
        .value_kind:     by_value
      - .offset:         80
        .size:           4
        .value_kind:     by_value
      - .offset:         84
        .size:           4
        .value_kind:     by_value
      - .offset:         88
        .size:           4
        .value_kind:     by_value
      - .offset:         92
        .size:           12
        .value_kind:     by_value
      - .offset:         104
        .size:           4
        .value_kind:     by_value
      - .offset:         108
        .size:           4
        .value_kind:     by_value
      - .offset:         112
        .size:           4
        .value_kind:     by_value
      - .offset:         116
        .size:           4
        .value_kind:     by_value
      - .offset:         120
        .size:           4
        .value_kind:     by_value
      - .offset:         124
        .size:           4
        .value_kind:     by_value
      - .offset:         128
        .size:           4
        .value_kind:     by_value
      - .offset:         132
        .size:           4
        .value_kind:     by_value
      - .offset:         136
        .size:           4
        .value_kind:     by_value
      - .offset:         140
        .size:           4
        .value_kind:     by_value
      - .offset:         144
        .size:           4
        .value_kind:     by_value
      - .offset:         152
        .size:           8
        .value_kind:     by_value
      - .offset:         160
        .size:           4
        .value_kind:     by_value
      - .offset:         164
        .size:           4
        .value_kind:     by_value
      - .offset:         168
        .size:           8
        .value_kind:     by_value
      - .offset:         176
        .size:           4
        .value_kind:     by_value
      - .offset:         180
        .size:           4
        .value_kind:     by_value
      - .offset:         184
        .size:           4
        .value_kind:     by_value
      - .offset:         188
        .size:           4
        .value_kind:     by_value
      - .offset:         192
        .size:           4
        .value_kind:     by_value
      - .offset:         200
        .size:           8
        .value_kind:     by_value
      - .offset:         208
        .size:           4
        .value_kind:     hidden_block_count_x
      - .offset:         212
        .size:           4
        .value_kind:     hidden_block_count_y
      - .offset:         216
        .size:           4
        .value_kind:     hidden_block_count_z
      - .offset:         220
        .size:           2
        .value_kind:     hidden_group_size_x
      - .offset:         222
        .size:           2
        .value_kind:     hidden_group_size_y
      - .offset:         224
        .size:           2
        .value_kind:     hidden_group_size_z
      - .offset:         226
        .size:           2
        .value_kind:     hidden_remainder_x
      - .offset:         228
        .size:           2
        .value_kind:     hidden_remainder_y
      - .offset:         230
        .size:           2
        .value_kind:     hidden_remainder_z
      - .offset:         248
        .size:           8
        .value_kind:     hidden_global_offset_x
      - .offset:         256
        .size:           8
        .value_kind:     hidden_global_offset_y
      - .offset:         264
        .size:           8
        .value_kind:     hidden_global_offset_z
      - .offset:         272
        .size:           2
        .value_kind:     hidden_grid_dims
    .group_segment_fixed_size: 33792
    .kernarg_segment_align: 8
    .kernarg_segment_size: 464
    .language:       OpenCL C
    .language_version:
      - 2
      - 0
    .max_flat_workgroup_size: 256
    .name:           _ZL15flash_attn_tileILi128ELi128ELi8ELi8ELb0EEvPKcS1_S1_S1_S1_PKiPfP15HIP_vector_typeIfLj2EEffffjfiS5_IjLj3EEiiiiiiiiiiiliiliiiiil
    .private_segment_fixed_size: 0
    .sgpr_count:     44
    .sgpr_spill_count: 0
    .symbol:         _ZL15flash_attn_tileILi128ELi128ELi8ELi8ELb0EEvPKcS1_S1_S1_S1_PKiPfP15HIP_vector_typeIfLj2EEffffjfiS5_IjLj3EEiiiiiiiiiiiliiliiiiil.kd
    .uniform_work_group_size: 1
    .uses_dynamic_stack: false
    .vgpr_count:     228
    .vgpr_spill_count: 0
    .wavefront_size: 32
    .workgroup_processor_mode: 1
  - .args:
      - .actual_access:  read_only
        .address_space:  global
        .offset:         0
        .size:           8
        .value_kind:     global_buffer
      - .actual_access:  write_only
        .address_space:  global
        .offset:         8
        .size:           8
        .value_kind:     global_buffer
      - .offset:         16
        .size:           4
        .value_kind:     by_value
      - .offset:         20
        .size:           4
        .value_kind:     by_value
      - .offset:         24
        .size:           4
        .value_kind:     by_value
      - .offset:         32
        .size:           4
        .value_kind:     hidden_block_count_x
      - .offset:         36
        .size:           4
        .value_kind:     hidden_block_count_y
      - .offset:         40
        .size:           4
        .value_kind:     hidden_block_count_z
      - .offset:         44
        .size:           2
        .value_kind:     hidden_group_size_x
      - .offset:         46
        .size:           2
        .value_kind:     hidden_group_size_y
      - .offset:         48
        .size:           2
        .value_kind:     hidden_group_size_z
      - .offset:         50
        .size:           2
        .value_kind:     hidden_remainder_x
      - .offset:         52
        .size:           2
        .value_kind:     hidden_remainder_y
      - .offset:         54
        .size:           2
        .value_kind:     hidden_remainder_z
      - .offset:         72
        .size:           8
        .value_kind:     hidden_global_offset_x
      - .offset:         80
        .size:           8
        .value_kind:     hidden_global_offset_y
      - .offset:         88
        .size:           8
        .value_kind:     hidden_global_offset_z
      - .offset:         96
        .size:           2
        .value_kind:     hidden_grid_dims
    .group_segment_fixed_size: 128
    .kernarg_segment_align: 8
    .kernarg_segment_size: 288
    .language:       OpenCL C
    .language_version:
      - 2
      - 0
    .max_flat_workgroup_size: 128
    .name:           _ZL25flash_attn_mask_to_KV_maxILi8EEvPK7__half2Piiii
    .private_segment_fixed_size: 0
    .sgpr_count:     29
    .sgpr_spill_count: 0
    .symbol:         _ZL25flash_attn_mask_to_KV_maxILi8EEvPK7__half2Piiii.kd
    .uniform_work_group_size: 1
    .uses_dynamic_stack: false
    .vgpr_count:     10
    .vgpr_spill_count: 0
    .wavefront_size: 32
    .workgroup_processor_mode: 1
  - .args:
      - .address_space:  global
        .offset:         0
        .size:           8
        .value_kind:     global_buffer
      - .address_space:  global
        .offset:         8
        .size:           8
        .value_kind:     global_buffer
      - .offset:         16
        .size:           4
        .value_kind:     by_value
      - .offset:         20
        .size:           4
        .value_kind:     by_value
      - .offset:         24
        .size:           4
        .value_kind:     by_value
      - .offset:         28
        .size:           4
        .value_kind:     by_value
      - .offset:         32
        .size:           4
        .value_kind:     by_value
      - .offset:         36
        .size:           4
        .value_kind:     by_value
      - .offset:         40
        .size:           12
        .value_kind:     by_value
      - .offset:         52
        .size:           12
        .value_kind:     by_value
      - .offset:         64
        .size:           12
        .value_kind:     by_value
    .group_segment_fixed_size: 0
    .kernarg_segment_align: 8
    .kernarg_segment_size: 76
    .language:       OpenCL C
    .language_version:
      - 2
      - 0
    .max_flat_workgroup_size: 128
    .name:           _ZL33flash_attn_stream_k_fixup_uniformILi128ELi8ELi8EEvPfPK15HIP_vector_typeIfLj2EEiiiiiiS1_IjLj3EES5_S5_
    .private_segment_fixed_size: 0
    .sgpr_count:     26
    .sgpr_spill_count: 0
    .symbol:         _ZL33flash_attn_stream_k_fixup_uniformILi128ELi8ELi8EEvPfPK15HIP_vector_typeIfLj2EEiiiiiiS1_IjLj3EES5_S5_.kd
    .uniform_work_group_size: 1
    .uses_dynamic_stack: false
    .vgpr_count:     15
    .vgpr_spill_count: 0
    .wavefront_size: 32
    .workgroup_processor_mode: 1
  - .args:
      - .address_space:  global
        .offset:         0
        .size:           8
        .value_kind:     global_buffer
      - .address_space:  global
        .offset:         8
        .size:           8
        .value_kind:     global_buffer
      - .offset:         16
        .size:           4
        .value_kind:     by_value
      - .offset:         20
        .size:           4
        .value_kind:     by_value
      - .offset:         24
        .size:           4
        .value_kind:     by_value
      - .offset:         28
        .size:           4
        .value_kind:     by_value
      - .offset:         32
        .size:           12
        .value_kind:     by_value
      - .offset:         44
        .size:           12
        .value_kind:     by_value
      - .offset:         56
        .size:           12
        .value_kind:     by_value
      - .offset:         68
        .size:           12
        .value_kind:     by_value
      - .offset:         80
        .size:           4
        .value_kind:     hidden_block_count_x
      - .offset:         84
        .size:           4
        .value_kind:     hidden_block_count_y
      - .offset:         88
        .size:           4
        .value_kind:     hidden_block_count_z
      - .offset:         92
        .size:           2
        .value_kind:     hidden_group_size_x
      - .offset:         94
        .size:           2
        .value_kind:     hidden_group_size_y
      - .offset:         96
        .size:           2
        .value_kind:     hidden_group_size_z
      - .offset:         98
        .size:           2
        .value_kind:     hidden_remainder_x
      - .offset:         100
        .size:           2
        .value_kind:     hidden_remainder_y
      - .offset:         102
        .size:           2
        .value_kind:     hidden_remainder_z
      - .offset:         120
        .size:           8
        .value_kind:     hidden_global_offset_x
      - .offset:         128
        .size:           8
        .value_kind:     hidden_global_offset_y
      - .offset:         136
        .size:           8
        .value_kind:     hidden_global_offset_z
      - .offset:         144
        .size:           2
        .value_kind:     hidden_grid_dims
    .group_segment_fixed_size: 0
    .kernarg_segment_align: 8
    .kernarg_segment_size: 336
    .language:       OpenCL C
    .language_version:
      - 2
      - 0
    .max_flat_workgroup_size: 128
    .name:           _ZL33flash_attn_stream_k_fixup_generalILi128ELi8ELi8EEvPfPK15HIP_vector_typeIfLj2EEiiiiS1_IjLj3EES5_S5_S5_
    .private_segment_fixed_size: 0
    .sgpr_count:     33
    .sgpr_spill_count: 0
    .symbol:         _ZL33flash_attn_stream_k_fixup_generalILi128ELi8ELi8EEvPfPK15HIP_vector_typeIfLj2EEiiiiS1_IjLj3EES5_S5_S5_.kd
    .uniform_work_group_size: 1
    .uses_dynamic_stack: false
    .vgpr_count:     17
    .vgpr_spill_count: 0
    .wavefront_size: 32
    .workgroup_processor_mode: 1
  - .args:
      - .address_space:  global
        .offset:         0
        .size:           8
        .value_kind:     global_buffer
      - .address_space:  global
        .offset:         8
        .size:           8
        .value_kind:     global_buffer
      - .address_space:  global
        .offset:         16
        .size:           8
        .value_kind:     global_buffer
      - .offset:         24
        .size:           4
        .value_kind:     by_value
      - .offset:         32
        .size:           4
        .value_kind:     hidden_block_count_x
      - .offset:         36
        .size:           4
        .value_kind:     hidden_block_count_y
      - .offset:         40
        .size:           4
        .value_kind:     hidden_block_count_z
      - .offset:         44
        .size:           2
        .value_kind:     hidden_group_size_x
      - .offset:         46
        .size:           2
        .value_kind:     hidden_group_size_y
      - .offset:         48
        .size:           2
        .value_kind:     hidden_group_size_z
      - .offset:         50
        .size:           2
        .value_kind:     hidden_remainder_x
      - .offset:         52
        .size:           2
        .value_kind:     hidden_remainder_y
      - .offset:         54
        .size:           2
        .value_kind:     hidden_remainder_z
      - .offset:         72
        .size:           8
        .value_kind:     hidden_global_offset_x
      - .offset:         80
        .size:           8
        .value_kind:     hidden_global_offset_y
      - .offset:         88
        .size:           8
        .value_kind:     hidden_global_offset_z
      - .offset:         96
        .size:           2
        .value_kind:     hidden_grid_dims
      - .offset:         152
        .size:           4
        .value_kind:     hidden_dynamic_lds_size
    .group_segment_fixed_size: 0
    .kernarg_segment_align: 8
    .kernarg_segment_size: 288
    .language:       OpenCL C
    .language_version:
      - 2
      - 0
    .max_flat_workgroup_size: 128
    .name:           _ZL26flash_attn_combine_resultsILi128EEvPKfPK15HIP_vector_typeIfLj2EEPfi
    .private_segment_fixed_size: 0
    .sgpr_count:     20
    .sgpr_spill_count: 0
    .symbol:         _ZL26flash_attn_combine_resultsILi128EEvPKfPK15HIP_vector_typeIfLj2EEPfi.kd
    .uniform_work_group_size: 1
    .uses_dynamic_stack: false
    .vgpr_count:     52
    .vgpr_spill_count: 0
    .wavefront_size: 32
    .workgroup_processor_mode: 1
  - .args:
      - .address_space:  global
        .offset:         0
        .size:           8
        .value_kind:     global_buffer
      - .address_space:  global
        .offset:         8
        .size:           8
        .value_kind:     global_buffer
      - .address_space:  global
        .offset:         16
        .size:           8
        .value_kind:     global_buffer
      - .address_space:  global
        .offset:         24
        .size:           8
        .value_kind:     global_buffer
      - .address_space:  global
        .offset:         32
        .size:           8
        .value_kind:     global_buffer
      - .address_space:  global
        .offset:         40
        .size:           8
        .value_kind:     global_buffer
      - .address_space:  global
        .offset:         48
        .size:           8
        .value_kind:     global_buffer
      - .address_space:  global
        .offset:         56
        .size:           8
        .value_kind:     global_buffer
      - .offset:         64
        .size:           4
        .value_kind:     by_value
      - .offset:         68
        .size:           4
        .value_kind:     by_value
      - .offset:         72
        .size:           4
        .value_kind:     by_value
      - .offset:         76
        .size:           4
        .value_kind:     by_value
      - .offset:         80
        .size:           4
        .value_kind:     by_value
      - .offset:         84
        .size:           4
        .value_kind:     by_value
      - .offset:         88
        .size:           4
        .value_kind:     by_value
      - .offset:         92
        .size:           12
        .value_kind:     by_value
      - .offset:         104
        .size:           4
        .value_kind:     by_value
      - .offset:         108
        .size:           4
        .value_kind:     by_value
      - .offset:         112
        .size:           4
        .value_kind:     by_value
      - .offset:         116
        .size:           4
        .value_kind:     by_value
      - .offset:         120
        .size:           4
        .value_kind:     by_value
      - .offset:         124
        .size:           4
        .value_kind:     by_value
      - .offset:         128
        .size:           4
        .value_kind:     by_value
      - .offset:         132
        .size:           4
        .value_kind:     by_value
      - .offset:         136
        .size:           4
        .value_kind:     by_value
      - .offset:         140
        .size:           4
        .value_kind:     by_value
      - .offset:         144
        .size:           4
        .value_kind:     by_value
      - .offset:         152
        .size:           8
        .value_kind:     by_value
      - .offset:         160
        .size:           4
        .value_kind:     by_value
      - .offset:         164
        .size:           4
        .value_kind:     by_value
      - .offset:         168
        .size:           8
        .value_kind:     by_value
      - .offset:         176
        .size:           4
        .value_kind:     by_value
      - .offset:         180
        .size:           4
        .value_kind:     by_value
      - .offset:         184
        .size:           4
        .value_kind:     by_value
      - .offset:         188
        .size:           4
        .value_kind:     by_value
      - .offset:         192
        .size:           4
        .value_kind:     by_value
      - .offset:         200
        .size:           8
        .value_kind:     by_value
      - .offset:         208
        .size:           4
        .value_kind:     hidden_block_count_x
      - .offset:         212
        .size:           4
        .value_kind:     hidden_block_count_y
      - .offset:         216
        .size:           4
        .value_kind:     hidden_block_count_z
      - .offset:         220
        .size:           2
        .value_kind:     hidden_group_size_x
      - .offset:         222
        .size:           2
        .value_kind:     hidden_group_size_y
      - .offset:         224
        .size:           2
        .value_kind:     hidden_group_size_z
      - .offset:         226
        .size:           2
        .value_kind:     hidden_remainder_x
      - .offset:         228
        .size:           2
        .value_kind:     hidden_remainder_y
      - .offset:         230
        .size:           2
        .value_kind:     hidden_remainder_z
      - .offset:         248
        .size:           8
        .value_kind:     hidden_global_offset_x
      - .offset:         256
        .size:           8
        .value_kind:     hidden_global_offset_y
      - .offset:         264
        .size:           8
        .value_kind:     hidden_global_offset_z
      - .offset:         272
        .size:           2
        .value_kind:     hidden_grid_dims
    .group_segment_fixed_size: 34816
    .kernarg_segment_align: 8
    .kernarg_segment_size: 464
    .language:       OpenCL C
    .language_version:
      - 2
      - 0
    .max_flat_workgroup_size: 256
    .name:           _ZL15flash_attn_tileILi128ELi128ELi4ELi8ELb0EEvPKcS1_S1_S1_S1_PKiPfP15HIP_vector_typeIfLj2EEffffjfiS5_IjLj3EEiiiiiiiiiiiliiliiiiil
    .private_segment_fixed_size: 0
    .sgpr_count:     50
    .sgpr_spill_count: 0
    .symbol:         _ZL15flash_attn_tileILi128ELi128ELi4ELi8ELb0EEvPKcS1_S1_S1_S1_PKiPfP15HIP_vector_typeIfLj2EEffffjfiS5_IjLj3EEiiiiiiiiiiiliiliiiiil.kd
    .uniform_work_group_size: 1
    .uses_dynamic_stack: false
    .vgpr_count:     222
    .vgpr_spill_count: 0
    .wavefront_size: 32
    .workgroup_processor_mode: 1
  - .args:
      - .actual_access:  read_only
        .address_space:  global
        .offset:         0
        .size:           8
        .value_kind:     global_buffer
      - .actual_access:  write_only
        .address_space:  global
        .offset:         8
        .size:           8
        .value_kind:     global_buffer
      - .offset:         16
        .size:           4
        .value_kind:     by_value
      - .offset:         20
        .size:           4
        .value_kind:     by_value
      - .offset:         24
        .size:           4
        .value_kind:     by_value
      - .offset:         32
        .size:           4
        .value_kind:     hidden_block_count_x
      - .offset:         36
        .size:           4
        .value_kind:     hidden_block_count_y
      - .offset:         40
        .size:           4
        .value_kind:     hidden_block_count_z
      - .offset:         44
        .size:           2
        .value_kind:     hidden_group_size_x
      - .offset:         46
        .size:           2
        .value_kind:     hidden_group_size_y
      - .offset:         48
        .size:           2
        .value_kind:     hidden_group_size_z
      - .offset:         50
        .size:           2
        .value_kind:     hidden_remainder_x
      - .offset:         52
        .size:           2
        .value_kind:     hidden_remainder_y
      - .offset:         54
        .size:           2
        .value_kind:     hidden_remainder_z
      - .offset:         72
        .size:           8
        .value_kind:     hidden_global_offset_x
      - .offset:         80
        .size:           8
        .value_kind:     hidden_global_offset_y
      - .offset:         88
        .size:           8
        .value_kind:     hidden_global_offset_z
      - .offset:         96
        .size:           2
        .value_kind:     hidden_grid_dims
    .group_segment_fixed_size: 128
    .kernarg_segment_align: 8
    .kernarg_segment_size: 288
    .language:       OpenCL C
    .language_version:
      - 2
      - 0
    .max_flat_workgroup_size: 128
    .name:           _ZL25flash_attn_mask_to_KV_maxILi4EEvPK7__half2Piiii
    .private_segment_fixed_size: 0
    .sgpr_count:     21
    .sgpr_spill_count: 0
    .symbol:         _ZL25flash_attn_mask_to_KV_maxILi4EEvPK7__half2Piiii.kd
    .uniform_work_group_size: 1
    .uses_dynamic_stack: false
    .vgpr_count:     10
    .vgpr_spill_count: 0
    .wavefront_size: 32
    .workgroup_processor_mode: 1
  - .args:
      - .address_space:  global
        .offset:         0
        .size:           8
        .value_kind:     global_buffer
      - .address_space:  global
        .offset:         8
        .size:           8
        .value_kind:     global_buffer
      - .offset:         16
        .size:           4
        .value_kind:     by_value
      - .offset:         20
        .size:           4
        .value_kind:     by_value
      - .offset:         24
        .size:           4
        .value_kind:     by_value
      - .offset:         28
        .size:           4
        .value_kind:     by_value
      - .offset:         32
        .size:           4
        .value_kind:     by_value
      - .offset:         36
        .size:           4
        .value_kind:     by_value
      - .offset:         40
        .size:           12
        .value_kind:     by_value
      - .offset:         52
        .size:           12
        .value_kind:     by_value
      - .offset:         64
        .size:           12
        .value_kind:     by_value
    .group_segment_fixed_size: 0
    .kernarg_segment_align: 8
    .kernarg_segment_size: 76
    .language:       OpenCL C
    .language_version:
      - 2
      - 0
    .max_flat_workgroup_size: 128
    .name:           _ZL33flash_attn_stream_k_fixup_uniformILi128ELi4ELi8EEvPfPK15HIP_vector_typeIfLj2EEiiiiiiS1_IjLj3EES5_S5_
    .private_segment_fixed_size: 0
    .sgpr_count:     26
    .sgpr_spill_count: 0
    .symbol:         _ZL33flash_attn_stream_k_fixup_uniformILi128ELi4ELi8EEvPfPK15HIP_vector_typeIfLj2EEiiiiiiS1_IjLj3EES5_S5_.kd
    .uniform_work_group_size: 1
    .uses_dynamic_stack: false
    .vgpr_count:     15
    .vgpr_spill_count: 0
    .wavefront_size: 32
    .workgroup_processor_mode: 1
  - .args:
      - .address_space:  global
        .offset:         0
        .size:           8
        .value_kind:     global_buffer
      - .address_space:  global
        .offset:         8
        .size:           8
        .value_kind:     global_buffer
      - .offset:         16
        .size:           4
        .value_kind:     by_value
      - .offset:         20
        .size:           4
        .value_kind:     by_value
      - .offset:         24
        .size:           4
        .value_kind:     by_value
      - .offset:         28
        .size:           4
        .value_kind:     by_value
      - .offset:         32
        .size:           12
        .value_kind:     by_value
      - .offset:         44
        .size:           12
        .value_kind:     by_value
      - .offset:         56
        .size:           12
        .value_kind:     by_value
      - .offset:         68
        .size:           12
        .value_kind:     by_value
      - .offset:         80
        .size:           4
        .value_kind:     hidden_block_count_x
      - .offset:         84
        .size:           4
        .value_kind:     hidden_block_count_y
      - .offset:         88
        .size:           4
        .value_kind:     hidden_block_count_z
      - .offset:         92
        .size:           2
        .value_kind:     hidden_group_size_x
      - .offset:         94
        .size:           2
        .value_kind:     hidden_group_size_y
      - .offset:         96
        .size:           2
        .value_kind:     hidden_group_size_z
      - .offset:         98
        .size:           2
        .value_kind:     hidden_remainder_x
      - .offset:         100
        .size:           2
        .value_kind:     hidden_remainder_y
      - .offset:         102
        .size:           2
        .value_kind:     hidden_remainder_z
      - .offset:         120
        .size:           8
        .value_kind:     hidden_global_offset_x
      - .offset:         128
        .size:           8
        .value_kind:     hidden_global_offset_y
      - .offset:         136
        .size:           8
        .value_kind:     hidden_global_offset_z
      - .offset:         144
        .size:           2
        .value_kind:     hidden_grid_dims
    .group_segment_fixed_size: 0
    .kernarg_segment_align: 8
    .kernarg_segment_size: 336
    .language:       OpenCL C
    .language_version:
      - 2
      - 0
    .max_flat_workgroup_size: 128
    .name:           _ZL33flash_attn_stream_k_fixup_generalILi128ELi4ELi8EEvPfPK15HIP_vector_typeIfLj2EEiiiiS1_IjLj3EES5_S5_S5_
    .private_segment_fixed_size: 0
    .sgpr_count:     33
    .sgpr_spill_count: 0
    .symbol:         _ZL33flash_attn_stream_k_fixup_generalILi128ELi4ELi8EEvPfPK15HIP_vector_typeIfLj2EEiiiiS1_IjLj3EES5_S5_S5_.kd
    .uniform_work_group_size: 1
    .uses_dynamic_stack: false
    .vgpr_count:     17
    .vgpr_spill_count: 0
    .wavefront_size: 32
    .workgroup_processor_mode: 1
  - .args:
      - .address_space:  global
        .offset:         0
        .size:           8
        .value_kind:     global_buffer
      - .address_space:  global
        .offset:         8
        .size:           8
        .value_kind:     global_buffer
      - .address_space:  global
        .offset:         16
        .size:           8
        .value_kind:     global_buffer
      - .address_space:  global
        .offset:         24
        .size:           8
        .value_kind:     global_buffer
      - .address_space:  global
        .offset:         32
        .size:           8
        .value_kind:     global_buffer
      - .address_space:  global
        .offset:         40
        .size:           8
        .value_kind:     global_buffer
      - .address_space:  global
        .offset:         48
        .size:           8
        .value_kind:     global_buffer
      - .address_space:  global
        .offset:         56
        .size:           8
        .value_kind:     global_buffer
      - .offset:         64
        .size:           4
        .value_kind:     by_value
      - .offset:         68
        .size:           4
        .value_kind:     by_value
      - .offset:         72
        .size:           4
        .value_kind:     by_value
      - .offset:         76
        .size:           4
        .value_kind:     by_value
      - .offset:         80
        .size:           4
        .value_kind:     by_value
      - .offset:         84
        .size:           4
        .value_kind:     by_value
      - .offset:         88
        .size:           4
        .value_kind:     by_value
      - .offset:         92
        .size:           12
        .value_kind:     by_value
      - .offset:         104
        .size:           4
        .value_kind:     by_value
      - .offset:         108
        .size:           4
        .value_kind:     by_value
      - .offset:         112
        .size:           4
        .value_kind:     by_value
      - .offset:         116
        .size:           4
        .value_kind:     by_value
      - .offset:         120
        .size:           4
        .value_kind:     by_value
      - .offset:         124
        .size:           4
        .value_kind:     by_value
      - .offset:         128
        .size:           4
        .value_kind:     by_value
      - .offset:         132
        .size:           4
        .value_kind:     by_value
      - .offset:         136
        .size:           4
        .value_kind:     by_value
      - .offset:         140
        .size:           4
        .value_kind:     by_value
      - .offset:         144
        .size:           4
        .value_kind:     by_value
      - .offset:         152
        .size:           8
        .value_kind:     by_value
      - .offset:         160
        .size:           4
        .value_kind:     by_value
      - .offset:         164
        .size:           4
        .value_kind:     by_value
      - .offset:         168
        .size:           8
        .value_kind:     by_value
      - .offset:         176
        .size:           4
        .value_kind:     by_value
      - .offset:         180
        .size:           4
        .value_kind:     by_value
      - .offset:         184
        .size:           4
        .value_kind:     by_value
      - .offset:         188
        .size:           4
        .value_kind:     by_value
      - .offset:         192
        .size:           4
        .value_kind:     by_value
      - .offset:         200
        .size:           8
        .value_kind:     by_value
      - .offset:         208
        .size:           4
        .value_kind:     hidden_block_count_x
      - .offset:         212
        .size:           4
        .value_kind:     hidden_block_count_y
      - .offset:         216
        .size:           4
        .value_kind:     hidden_block_count_z
      - .offset:         220
        .size:           2
        .value_kind:     hidden_group_size_x
      - .offset:         222
        .size:           2
        .value_kind:     hidden_group_size_y
      - .offset:         224
        .size:           2
        .value_kind:     hidden_group_size_z
      - .offset:         226
        .size:           2
        .value_kind:     hidden_remainder_x
      - .offset:         228
        .size:           2
        .value_kind:     hidden_remainder_y
      - .offset:         230
        .size:           2
        .value_kind:     hidden_remainder_z
      - .offset:         248
        .size:           8
        .value_kind:     hidden_global_offset_x
      - .offset:         256
        .size:           8
        .value_kind:     hidden_global_offset_y
      - .offset:         264
        .size:           8
        .value_kind:     hidden_global_offset_z
      - .offset:         272
        .size:           2
        .value_kind:     hidden_grid_dims
    .group_segment_fixed_size: 43008
    .kernarg_segment_align: 8
    .kernarg_segment_size: 464
    .language:       OpenCL C
    .language_version:
      - 2
      - 0
    .max_flat_workgroup_size: 256
    .name:           _ZL15flash_attn_tileILi128ELi128ELi2ELi8ELb0EEvPKcS1_S1_S1_S1_PKiPfP15HIP_vector_typeIfLj2EEffffjfiS5_IjLj3EEiiiiiiiiiiiliiliiiiil
    .private_segment_fixed_size: 0
    .sgpr_count:     47
    .sgpr_spill_count: 0
    .symbol:         _ZL15flash_attn_tileILi128ELi128ELi2ELi8ELb0EEvPKcS1_S1_S1_S1_PKiPfP15HIP_vector_typeIfLj2EEffffjfiS5_IjLj3EEiiiiiiiiiiiliiliiiiil.kd
    .uniform_work_group_size: 1
    .uses_dynamic_stack: false
    .vgpr_count:     181
    .vgpr_spill_count: 0
    .wavefront_size: 32
    .workgroup_processor_mode: 1
  - .args:
      - .actual_access:  read_only
        .address_space:  global
        .offset:         0
        .size:           8
        .value_kind:     global_buffer
      - .actual_access:  write_only
        .address_space:  global
        .offset:         8
        .size:           8
        .value_kind:     global_buffer
      - .offset:         16
        .size:           4
        .value_kind:     by_value
      - .offset:         20
        .size:           4
        .value_kind:     by_value
      - .offset:         24
        .size:           4
        .value_kind:     by_value
      - .offset:         32
        .size:           4
        .value_kind:     hidden_block_count_x
      - .offset:         36
        .size:           4
        .value_kind:     hidden_block_count_y
      - .offset:         40
        .size:           4
        .value_kind:     hidden_block_count_z
      - .offset:         44
        .size:           2
        .value_kind:     hidden_group_size_x
      - .offset:         46
        .size:           2
        .value_kind:     hidden_group_size_y
      - .offset:         48
        .size:           2
        .value_kind:     hidden_group_size_z
      - .offset:         50
        .size:           2
        .value_kind:     hidden_remainder_x
      - .offset:         52
        .size:           2
        .value_kind:     hidden_remainder_y
      - .offset:         54
        .size:           2
        .value_kind:     hidden_remainder_z
      - .offset:         72
        .size:           8
        .value_kind:     hidden_global_offset_x
      - .offset:         80
        .size:           8
        .value_kind:     hidden_global_offset_y
      - .offset:         88
        .size:           8
        .value_kind:     hidden_global_offset_z
      - .offset:         96
        .size:           2
        .value_kind:     hidden_grid_dims
    .group_segment_fixed_size: 128
    .kernarg_segment_align: 8
    .kernarg_segment_size: 288
    .language:       OpenCL C
    .language_version:
      - 2
      - 0
    .max_flat_workgroup_size: 128
    .name:           _ZL25flash_attn_mask_to_KV_maxILi2EEvPK7__half2Piiii
    .private_segment_fixed_size: 0
    .sgpr_count:     18
    .sgpr_spill_count: 0
    .symbol:         _ZL25flash_attn_mask_to_KV_maxILi2EEvPK7__half2Piiii.kd
    .uniform_work_group_size: 1
    .uses_dynamic_stack: false
    .vgpr_count:     8
    .vgpr_spill_count: 0
    .wavefront_size: 32
    .workgroup_processor_mode: 1
  - .args:
      - .address_space:  global
        .offset:         0
        .size:           8
        .value_kind:     global_buffer
      - .address_space:  global
        .offset:         8
        .size:           8
        .value_kind:     global_buffer
      - .offset:         16
        .size:           4
        .value_kind:     by_value
      - .offset:         20
        .size:           4
        .value_kind:     by_value
      - .offset:         24
        .size:           4
        .value_kind:     by_value
      - .offset:         28
        .size:           4
        .value_kind:     by_value
      - .offset:         32
        .size:           4
        .value_kind:     by_value
      - .offset:         36
        .size:           4
        .value_kind:     by_value
      - .offset:         40
        .size:           12
        .value_kind:     by_value
      - .offset:         52
        .size:           12
        .value_kind:     by_value
      - .offset:         64
        .size:           12
        .value_kind:     by_value
    .group_segment_fixed_size: 0
    .kernarg_segment_align: 8
    .kernarg_segment_size: 76
    .language:       OpenCL C
    .language_version:
      - 2
      - 0
    .max_flat_workgroup_size: 128
    .name:           _ZL33flash_attn_stream_k_fixup_uniformILi128ELi2ELi8EEvPfPK15HIP_vector_typeIfLj2EEiiiiiiS1_IjLj3EES5_S5_
    .private_segment_fixed_size: 0
    .sgpr_count:     26
    .sgpr_spill_count: 0
    .symbol:         _ZL33flash_attn_stream_k_fixup_uniformILi128ELi2ELi8EEvPfPK15HIP_vector_typeIfLj2EEiiiiiiS1_IjLj3EES5_S5_.kd
    .uniform_work_group_size: 1
    .uses_dynamic_stack: false
    .vgpr_count:     15
    .vgpr_spill_count: 0
    .wavefront_size: 32
    .workgroup_processor_mode: 1
  - .args:
      - .address_space:  global
        .offset:         0
        .size:           8
        .value_kind:     global_buffer
      - .address_space:  global
        .offset:         8
        .size:           8
        .value_kind:     global_buffer
      - .offset:         16
        .size:           4
        .value_kind:     by_value
      - .offset:         20
        .size:           4
        .value_kind:     by_value
      - .offset:         24
        .size:           4
        .value_kind:     by_value
      - .offset:         28
        .size:           4
        .value_kind:     by_value
      - .offset:         32
        .size:           12
        .value_kind:     by_value
      - .offset:         44
        .size:           12
        .value_kind:     by_value
      - .offset:         56
        .size:           12
        .value_kind:     by_value
      - .offset:         68
        .size:           12
        .value_kind:     by_value
      - .offset:         80
        .size:           4
        .value_kind:     hidden_block_count_x
      - .offset:         84
        .size:           4
        .value_kind:     hidden_block_count_y
      - .offset:         88
        .size:           4
        .value_kind:     hidden_block_count_z
      - .offset:         92
        .size:           2
        .value_kind:     hidden_group_size_x
      - .offset:         94
        .size:           2
        .value_kind:     hidden_group_size_y
      - .offset:         96
        .size:           2
        .value_kind:     hidden_group_size_z
      - .offset:         98
        .size:           2
        .value_kind:     hidden_remainder_x
      - .offset:         100
        .size:           2
        .value_kind:     hidden_remainder_y
      - .offset:         102
        .size:           2
        .value_kind:     hidden_remainder_z
      - .offset:         120
        .size:           8
        .value_kind:     hidden_global_offset_x
      - .offset:         128
        .size:           8
        .value_kind:     hidden_global_offset_y
      - .offset:         136
        .size:           8
        .value_kind:     hidden_global_offset_z
      - .offset:         144
        .size:           2
        .value_kind:     hidden_grid_dims
    .group_segment_fixed_size: 0
    .kernarg_segment_align: 8
    .kernarg_segment_size: 336
    .language:       OpenCL C
    .language_version:
      - 2
      - 0
    .max_flat_workgroup_size: 128
    .name:           _ZL33flash_attn_stream_k_fixup_generalILi128ELi2ELi8EEvPfPK15HIP_vector_typeIfLj2EEiiiiS1_IjLj3EES5_S5_S5_
    .private_segment_fixed_size: 0
    .sgpr_count:     33
    .sgpr_spill_count: 0
    .symbol:         _ZL33flash_attn_stream_k_fixup_generalILi128ELi2ELi8EEvPfPK15HIP_vector_typeIfLj2EEiiiiS1_IjLj3EES5_S5_S5_.kd
    .uniform_work_group_size: 1
    .uses_dynamic_stack: false
    .vgpr_count:     17
    .vgpr_spill_count: 0
    .wavefront_size: 32
    .workgroup_processor_mode: 1
  - .args:
      - .address_space:  global
        .offset:         0
        .size:           8
        .value_kind:     global_buffer
      - .address_space:  global
        .offset:         8
        .size:           8
        .value_kind:     global_buffer
      - .address_space:  global
        .offset:         16
        .size:           8
        .value_kind:     global_buffer
      - .address_space:  global
        .offset:         24
        .size:           8
        .value_kind:     global_buffer
      - .address_space:  global
        .offset:         32
        .size:           8
        .value_kind:     global_buffer
      - .address_space:  global
        .offset:         40
        .size:           8
        .value_kind:     global_buffer
      - .address_space:  global
        .offset:         48
        .size:           8
        .value_kind:     global_buffer
      - .address_space:  global
        .offset:         56
        .size:           8
        .value_kind:     global_buffer
      - .offset:         64
        .size:           4
        .value_kind:     by_value
      - .offset:         68
        .size:           4
        .value_kind:     by_value
      - .offset:         72
        .size:           4
        .value_kind:     by_value
      - .offset:         76
        .size:           4
        .value_kind:     by_value
      - .offset:         80
        .size:           4
        .value_kind:     by_value
      - .offset:         84
        .size:           4
        .value_kind:     by_value
      - .offset:         88
        .size:           4
        .value_kind:     by_value
      - .offset:         92
        .size:           12
        .value_kind:     by_value
      - .offset:         104
        .size:           4
        .value_kind:     by_value
      - .offset:         108
        .size:           4
        .value_kind:     by_value
      - .offset:         112
        .size:           4
        .value_kind:     by_value
      - .offset:         116
        .size:           4
        .value_kind:     by_value
      - .offset:         120
        .size:           4
        .value_kind:     by_value
      - .offset:         124
        .size:           4
        .value_kind:     by_value
      - .offset:         128
        .size:           4
        .value_kind:     by_value
      - .offset:         132
        .size:           4
        .value_kind:     by_value
      - .offset:         136
        .size:           4
        .value_kind:     by_value
      - .offset:         140
        .size:           4
        .value_kind:     by_value
      - .offset:         144
        .size:           4
        .value_kind:     by_value
      - .offset:         152
        .size:           8
        .value_kind:     by_value
      - .offset:         160
        .size:           4
        .value_kind:     by_value
      - .offset:         164
        .size:           4
        .value_kind:     by_value
      - .offset:         168
        .size:           8
        .value_kind:     by_value
      - .offset:         176
        .size:           4
        .value_kind:     by_value
      - .offset:         180
        .size:           4
        .value_kind:     by_value
      - .offset:         184
        .size:           4
        .value_kind:     by_value
      - .offset:         188
        .size:           4
        .value_kind:     by_value
      - .offset:         192
        .size:           4
        .value_kind:     by_value
      - .offset:         200
        .size:           8
        .value_kind:     by_value
      - .offset:         208
        .size:           4
        .value_kind:     hidden_block_count_x
      - .offset:         212
        .size:           4
        .value_kind:     hidden_block_count_y
      - .offset:         216
        .size:           4
        .value_kind:     hidden_block_count_z
      - .offset:         220
        .size:           2
        .value_kind:     hidden_group_size_x
      - .offset:         222
        .size:           2
        .value_kind:     hidden_group_size_y
      - .offset:         224
        .size:           2
        .value_kind:     hidden_group_size_z
      - .offset:         226
        .size:           2
        .value_kind:     hidden_remainder_x
      - .offset:         228
        .size:           2
        .value_kind:     hidden_remainder_y
      - .offset:         230
        .size:           2
        .value_kind:     hidden_remainder_z
      - .offset:         248
        .size:           8
        .value_kind:     hidden_global_offset_x
      - .offset:         256
        .size:           8
        .value_kind:     hidden_global_offset_y
      - .offset:         264
        .size:           8
        .value_kind:     hidden_global_offset_z
      - .offset:         272
        .size:           2
        .value_kind:     hidden_grid_dims
    .group_segment_fixed_size: 12288
    .kernarg_segment_align: 8
    .kernarg_segment_size: 464
    .language:       OpenCL C
    .language_version:
      - 2
      - 0
    .max_flat_workgroup_size: 128
    .name:           _ZL15flash_attn_tileILi128ELi128ELi1ELi8ELb0EEvPKcS1_S1_S1_S1_PKiPfP15HIP_vector_typeIfLj2EEffffjfiS5_IjLj3EEiiiiiiiiiiiliiliiiiil
    .private_segment_fixed_size: 0
    .sgpr_count:     42
    .sgpr_spill_count: 0
    .symbol:         _ZL15flash_attn_tileILi128ELi128ELi1ELi8ELb0EEvPKcS1_S1_S1_S1_PKiPfP15HIP_vector_typeIfLj2EEffffjfiS5_IjLj3EEiiiiiiiiiiiliiliiiiil.kd
    .uniform_work_group_size: 1
    .uses_dynamic_stack: false
    .vgpr_count:     100
    .vgpr_spill_count: 0
    .wavefront_size: 32
    .workgroup_processor_mode: 1
  - .args:
      - .actual_access:  read_only
        .address_space:  global
        .offset:         0
        .size:           8
        .value_kind:     global_buffer
      - .actual_access:  write_only
        .address_space:  global
        .offset:         8
        .size:           8
        .value_kind:     global_buffer
      - .offset:         16
        .size:           4
        .value_kind:     by_value
      - .offset:         20
        .size:           4
        .value_kind:     by_value
      - .offset:         24
        .size:           4
        .value_kind:     by_value
      - .offset:         32
        .size:           4
        .value_kind:     hidden_block_count_x
      - .offset:         36
        .size:           4
        .value_kind:     hidden_block_count_y
      - .offset:         40
        .size:           4
        .value_kind:     hidden_block_count_z
      - .offset:         44
        .size:           2
        .value_kind:     hidden_group_size_x
      - .offset:         46
        .size:           2
        .value_kind:     hidden_group_size_y
      - .offset:         48
        .size:           2
        .value_kind:     hidden_group_size_z
      - .offset:         50
        .size:           2
        .value_kind:     hidden_remainder_x
      - .offset:         52
        .size:           2
        .value_kind:     hidden_remainder_y
      - .offset:         54
        .size:           2
        .value_kind:     hidden_remainder_z
      - .offset:         72
        .size:           8
        .value_kind:     hidden_global_offset_x
      - .offset:         80
        .size:           8
        .value_kind:     hidden_global_offset_y
      - .offset:         88
        .size:           8
        .value_kind:     hidden_global_offset_z
      - .offset:         96
        .size:           2
        .value_kind:     hidden_grid_dims
    .group_segment_fixed_size: 128
    .kernarg_segment_align: 8
    .kernarg_segment_size: 288
    .language:       OpenCL C
    .language_version:
      - 2
      - 0
    .max_flat_workgroup_size: 128
    .name:           _ZL25flash_attn_mask_to_KV_maxILi1EEvPK7__half2Piiii
    .private_segment_fixed_size: 0
    .sgpr_count:     18
    .sgpr_spill_count: 0
    .symbol:         _ZL25flash_attn_mask_to_KV_maxILi1EEvPK7__half2Piiii.kd
    .uniform_work_group_size: 1
    .uses_dynamic_stack: false
    .vgpr_count:     8
    .vgpr_spill_count: 0
    .wavefront_size: 32
    .workgroup_processor_mode: 1
  - .args:
      - .address_space:  global
        .offset:         0
        .size:           8
        .value_kind:     global_buffer
      - .address_space:  global
        .offset:         8
        .size:           8
        .value_kind:     global_buffer
      - .offset:         16
        .size:           4
        .value_kind:     by_value
      - .offset:         20
        .size:           4
        .value_kind:     by_value
      - .offset:         24
        .size:           4
        .value_kind:     by_value
      - .offset:         28
        .size:           4
        .value_kind:     by_value
      - .offset:         32
        .size:           4
        .value_kind:     by_value
      - .offset:         36
        .size:           4
        .value_kind:     by_value
      - .offset:         40
        .size:           12
        .value_kind:     by_value
      - .offset:         52
        .size:           12
        .value_kind:     by_value
      - .offset:         64
        .size:           12
        .value_kind:     by_value
    .group_segment_fixed_size: 0
    .kernarg_segment_align: 8
    .kernarg_segment_size: 76
    .language:       OpenCL C
    .language_version:
      - 2
      - 0
    .max_flat_workgroup_size: 128
    .name:           _ZL33flash_attn_stream_k_fixup_uniformILi128ELi1ELi8EEvPfPK15HIP_vector_typeIfLj2EEiiiiiiS1_IjLj3EES5_S5_
    .private_segment_fixed_size: 0
    .sgpr_count:     22
    .sgpr_spill_count: 0
    .symbol:         _ZL33flash_attn_stream_k_fixup_uniformILi128ELi1ELi8EEvPfPK15HIP_vector_typeIfLj2EEiiiiiiS1_IjLj3EES5_S5_.kd
    .uniform_work_group_size: 1
    .uses_dynamic_stack: false
    .vgpr_count:     15
    .vgpr_spill_count: 0
    .wavefront_size: 32
    .workgroup_processor_mode: 1
  - .args:
      - .address_space:  global
        .offset:         0
        .size:           8
        .value_kind:     global_buffer
      - .address_space:  global
        .offset:         8
        .size:           8
        .value_kind:     global_buffer
      - .offset:         16
        .size:           4
        .value_kind:     by_value
      - .offset:         20
        .size:           4
        .value_kind:     by_value
      - .offset:         24
        .size:           4
        .value_kind:     by_value
      - .offset:         28
        .size:           4
        .value_kind:     by_value
      - .offset:         32
        .size:           12
        .value_kind:     by_value
      - .offset:         44
        .size:           12
        .value_kind:     by_value
      - .offset:         56
        .size:           12
        .value_kind:     by_value
      - .offset:         68
        .size:           12
        .value_kind:     by_value
      - .offset:         80
        .size:           4
        .value_kind:     hidden_block_count_x
      - .offset:         84
        .size:           4
        .value_kind:     hidden_block_count_y
      - .offset:         88
        .size:           4
        .value_kind:     hidden_block_count_z
      - .offset:         92
        .size:           2
        .value_kind:     hidden_group_size_x
      - .offset:         94
        .size:           2
        .value_kind:     hidden_group_size_y
      - .offset:         96
        .size:           2
        .value_kind:     hidden_group_size_z
      - .offset:         98
        .size:           2
        .value_kind:     hidden_remainder_x
      - .offset:         100
        .size:           2
        .value_kind:     hidden_remainder_y
      - .offset:         102
        .size:           2
        .value_kind:     hidden_remainder_z
      - .offset:         120
        .size:           8
        .value_kind:     hidden_global_offset_x
      - .offset:         128
        .size:           8
        .value_kind:     hidden_global_offset_y
      - .offset:         136
        .size:           8
        .value_kind:     hidden_global_offset_z
      - .offset:         144
        .size:           2
        .value_kind:     hidden_grid_dims
    .group_segment_fixed_size: 0
    .kernarg_segment_align: 8
    .kernarg_segment_size: 336
    .language:       OpenCL C
    .language_version:
      - 2
      - 0
    .max_flat_workgroup_size: 128
    .name:           _ZL33flash_attn_stream_k_fixup_generalILi128ELi1ELi8EEvPfPK15HIP_vector_typeIfLj2EEiiiiS1_IjLj3EES5_S5_S5_
    .private_segment_fixed_size: 0
    .sgpr_count:     34
    .sgpr_spill_count: 0
    .symbol:         _ZL33flash_attn_stream_k_fixup_generalILi128ELi1ELi8EEvPfPK15HIP_vector_typeIfLj2EEiiiiS1_IjLj3EES5_S5_S5_.kd
    .uniform_work_group_size: 1
    .uses_dynamic_stack: false
    .vgpr_count:     17
    .vgpr_spill_count: 0
    .wavefront_size: 32
    .workgroup_processor_mode: 1
  - .args:
      - .address_space:  global
        .offset:         0
        .size:           8
        .value_kind:     global_buffer
      - .address_space:  global
        .offset:         8
        .size:           8
        .value_kind:     global_buffer
      - .address_space:  global
        .offset:         16
        .size:           8
        .value_kind:     global_buffer
      - .address_space:  global
        .offset:         24
        .size:           8
        .value_kind:     global_buffer
      - .address_space:  global
        .offset:         32
        .size:           8
        .value_kind:     global_buffer
      - .address_space:  global
        .offset:         40
        .size:           8
        .value_kind:     global_buffer
      - .address_space:  global
        .offset:         48
        .size:           8
        .value_kind:     global_buffer
      - .address_space:  global
        .offset:         56
        .size:           8
        .value_kind:     global_buffer
      - .offset:         64
        .size:           4
        .value_kind:     by_value
      - .offset:         68
        .size:           4
        .value_kind:     by_value
      - .offset:         72
        .size:           4
        .value_kind:     by_value
      - .offset:         76
        .size:           4
        .value_kind:     by_value
      - .offset:         80
        .size:           4
        .value_kind:     by_value
      - .offset:         84
        .size:           4
        .value_kind:     by_value
      - .offset:         88
        .size:           4
        .value_kind:     by_value
      - .offset:         92
        .size:           12
        .value_kind:     by_value
      - .offset:         104
        .size:           4
        .value_kind:     by_value
      - .offset:         108
        .size:           4
        .value_kind:     by_value
      - .offset:         112
        .size:           4
        .value_kind:     by_value
      - .offset:         116
        .size:           4
        .value_kind:     by_value
      - .offset:         120
        .size:           4
        .value_kind:     by_value
      - .offset:         124
        .size:           4
        .value_kind:     by_value
      - .offset:         128
        .size:           4
        .value_kind:     by_value
      - .offset:         132
        .size:           4
        .value_kind:     by_value
      - .offset:         136
        .size:           4
        .value_kind:     by_value
      - .offset:         140
        .size:           4
        .value_kind:     by_value
      - .offset:         144
        .size:           4
        .value_kind:     by_value
      - .offset:         152
        .size:           8
        .value_kind:     by_value
      - .offset:         160
        .size:           4
        .value_kind:     by_value
      - .offset:         164
        .size:           4
        .value_kind:     by_value
      - .offset:         168
        .size:           8
        .value_kind:     by_value
      - .offset:         176
        .size:           4
        .value_kind:     by_value
      - .offset:         180
        .size:           4
        .value_kind:     by_value
      - .offset:         184
        .size:           4
        .value_kind:     by_value
      - .offset:         188
        .size:           4
        .value_kind:     by_value
      - .offset:         192
        .size:           4
        .value_kind:     by_value
      - .offset:         200
        .size:           8
        .value_kind:     by_value
      - .offset:         208
        .size:           4
        .value_kind:     hidden_block_count_x
      - .offset:         212
        .size:           4
        .value_kind:     hidden_block_count_y
      - .offset:         216
        .size:           4
        .value_kind:     hidden_block_count_z
      - .offset:         220
        .size:           2
        .value_kind:     hidden_group_size_x
      - .offset:         222
        .size:           2
        .value_kind:     hidden_group_size_y
      - .offset:         224
        .size:           2
        .value_kind:     hidden_group_size_z
      - .offset:         226
        .size:           2
        .value_kind:     hidden_remainder_x
      - .offset:         228
        .size:           2
        .value_kind:     hidden_remainder_y
      - .offset:         230
        .size:           2
        .value_kind:     hidden_remainder_z
      - .offset:         248
        .size:           8
        .value_kind:     hidden_global_offset_x
      - .offset:         256
        .size:           8
        .value_kind:     hidden_global_offset_y
      - .offset:         264
        .size:           8
        .value_kind:     hidden_global_offset_z
      - .offset:         272
        .size:           2
        .value_kind:     hidden_grid_dims
    .group_segment_fixed_size: 33792
    .kernarg_segment_align: 8
    .kernarg_segment_size: 464
    .language:       OpenCL C
    .language_version:
      - 2
      - 0
    .max_flat_workgroup_size: 256
    .name:           _ZL15flash_attn_tileILi128ELi128ELi16ELi4ELb0EEvPKcS1_S1_S1_S1_PKiPfP15HIP_vector_typeIfLj2EEffffjfiS5_IjLj3EEiiiiiiiiiiiliiliiiiil
    .private_segment_fixed_size: 0
    .sgpr_count:     64
    .sgpr_spill_count: 0
    .symbol:         _ZL15flash_attn_tileILi128ELi128ELi16ELi4ELb0EEvPKcS1_S1_S1_S1_PKiPfP15HIP_vector_typeIfLj2EEffffjfiS5_IjLj3EEiiiiiiiiiiiliiliiiiil.kd
    .uniform_work_group_size: 1
    .uses_dynamic_stack: false
    .vgpr_count:     228
    .vgpr_spill_count: 0
    .wavefront_size: 32
    .workgroup_processor_mode: 1
  - .args:
      - .actual_access:  read_only
        .address_space:  global
        .offset:         0
        .size:           8
        .value_kind:     global_buffer
      - .actual_access:  write_only
        .address_space:  global
        .offset:         8
        .size:           8
        .value_kind:     global_buffer
      - .offset:         16
        .size:           4
        .value_kind:     by_value
      - .offset:         20
        .size:           4
        .value_kind:     by_value
      - .offset:         24
        .size:           4
        .value_kind:     by_value
      - .offset:         32
        .size:           4
        .value_kind:     hidden_block_count_x
      - .offset:         36
        .size:           4
        .value_kind:     hidden_block_count_y
      - .offset:         40
        .size:           4
        .value_kind:     hidden_block_count_z
      - .offset:         44
        .size:           2
        .value_kind:     hidden_group_size_x
      - .offset:         46
        .size:           2
        .value_kind:     hidden_group_size_y
      - .offset:         48
        .size:           2
        .value_kind:     hidden_group_size_z
      - .offset:         50
        .size:           2
        .value_kind:     hidden_remainder_x
      - .offset:         52
        .size:           2
        .value_kind:     hidden_remainder_y
      - .offset:         54
        .size:           2
        .value_kind:     hidden_remainder_z
      - .offset:         72
        .size:           8
        .value_kind:     hidden_global_offset_x
      - .offset:         80
        .size:           8
        .value_kind:     hidden_global_offset_y
      - .offset:         88
        .size:           8
        .value_kind:     hidden_global_offset_z
      - .offset:         96
        .size:           2
        .value_kind:     hidden_grid_dims
    .group_segment_fixed_size: 128
    .kernarg_segment_align: 8
    .kernarg_segment_size: 288
    .language:       OpenCL C
    .language_version:
      - 2
      - 0
    .max_flat_workgroup_size: 128
    .name:           _ZL25flash_attn_mask_to_KV_maxILi16EEvPK7__half2Piiii
    .private_segment_fixed_size: 0
    .sgpr_count:     46
    .sgpr_spill_count: 0
    .symbol:         _ZL25flash_attn_mask_to_KV_maxILi16EEvPK7__half2Piiii.kd
    .uniform_work_group_size: 1
    .uses_dynamic_stack: false
    .vgpr_count:     10
    .vgpr_spill_count: 0
    .wavefront_size: 32
    .workgroup_processor_mode: 1
  - .args:
      - .address_space:  global
        .offset:         0
        .size:           8
        .value_kind:     global_buffer
      - .address_space:  global
        .offset:         8
        .size:           8
        .value_kind:     global_buffer
      - .offset:         16
        .size:           4
        .value_kind:     by_value
      - .offset:         20
        .size:           4
        .value_kind:     by_value
      - .offset:         24
        .size:           4
        .value_kind:     by_value
      - .offset:         28
        .size:           4
        .value_kind:     by_value
      - .offset:         32
        .size:           4
        .value_kind:     by_value
      - .offset:         36
        .size:           4
        .value_kind:     by_value
      - .offset:         40
        .size:           12
        .value_kind:     by_value
      - .offset:         52
        .size:           12
        .value_kind:     by_value
      - .offset:         64
        .size:           12
        .value_kind:     by_value
    .group_segment_fixed_size: 0
    .kernarg_segment_align: 8
    .kernarg_segment_size: 76
    .language:       OpenCL C
    .language_version:
      - 2
      - 0
    .max_flat_workgroup_size: 128
    .name:           _ZL33flash_attn_stream_k_fixup_uniformILi128ELi16ELi4EEvPfPK15HIP_vector_typeIfLj2EEiiiiiiS1_IjLj3EES5_S5_
    .private_segment_fixed_size: 0
    .sgpr_count:     26
    .sgpr_spill_count: 0
    .symbol:         _ZL33flash_attn_stream_k_fixup_uniformILi128ELi16ELi4EEvPfPK15HIP_vector_typeIfLj2EEiiiiiiS1_IjLj3EES5_S5_.kd
    .uniform_work_group_size: 1
    .uses_dynamic_stack: false
    .vgpr_count:     15
    .vgpr_spill_count: 0
    .wavefront_size: 32
    .workgroup_processor_mode: 1
  - .args:
      - .address_space:  global
        .offset:         0
        .size:           8
        .value_kind:     global_buffer
      - .address_space:  global
        .offset:         8
        .size:           8
        .value_kind:     global_buffer
      - .offset:         16
        .size:           4
        .value_kind:     by_value
      - .offset:         20
        .size:           4
        .value_kind:     by_value
      - .offset:         24
        .size:           4
        .value_kind:     by_value
      - .offset:         28
        .size:           4
        .value_kind:     by_value
      - .offset:         32
        .size:           12
        .value_kind:     by_value
      - .offset:         44
        .size:           12
        .value_kind:     by_value
      - .offset:         56
        .size:           12
        .value_kind:     by_value
      - .offset:         68
        .size:           12
        .value_kind:     by_value
      - .offset:         80
        .size:           4
        .value_kind:     hidden_block_count_x
      - .offset:         84
        .size:           4
        .value_kind:     hidden_block_count_y
      - .offset:         88
        .size:           4
        .value_kind:     hidden_block_count_z
      - .offset:         92
        .size:           2
        .value_kind:     hidden_group_size_x
      - .offset:         94
        .size:           2
        .value_kind:     hidden_group_size_y
      - .offset:         96
        .size:           2
        .value_kind:     hidden_group_size_z
      - .offset:         98
        .size:           2
        .value_kind:     hidden_remainder_x
      - .offset:         100
        .size:           2
        .value_kind:     hidden_remainder_y
      - .offset:         102
        .size:           2
        .value_kind:     hidden_remainder_z
      - .offset:         120
        .size:           8
        .value_kind:     hidden_global_offset_x
      - .offset:         128
        .size:           8
        .value_kind:     hidden_global_offset_y
      - .offset:         136
        .size:           8
        .value_kind:     hidden_global_offset_z
      - .offset:         144
        .size:           2
        .value_kind:     hidden_grid_dims
    .group_segment_fixed_size: 0
    .kernarg_segment_align: 8
    .kernarg_segment_size: 336
    .language:       OpenCL C
    .language_version:
      - 2
      - 0
    .max_flat_workgroup_size: 128
    .name:           _ZL33flash_attn_stream_k_fixup_generalILi128ELi16ELi4EEvPfPK15HIP_vector_typeIfLj2EEiiiiS1_IjLj3EES5_S5_S5_
    .private_segment_fixed_size: 0
    .sgpr_count:     33
    .sgpr_spill_count: 0
    .symbol:         _ZL33flash_attn_stream_k_fixup_generalILi128ELi16ELi4EEvPfPK15HIP_vector_typeIfLj2EEiiiiS1_IjLj3EES5_S5_S5_.kd
    .uniform_work_group_size: 1
    .uses_dynamic_stack: false
    .vgpr_count:     17
    .vgpr_spill_count: 0
    .wavefront_size: 32
    .workgroup_processor_mode: 1
  - .args:
      - .address_space:  global
        .offset:         0
        .size:           8
        .value_kind:     global_buffer
      - .address_space:  global
        .offset:         8
        .size:           8
        .value_kind:     global_buffer
      - .address_space:  global
        .offset:         16
        .size:           8
        .value_kind:     global_buffer
      - .address_space:  global
        .offset:         24
        .size:           8
        .value_kind:     global_buffer
      - .address_space:  global
        .offset:         32
        .size:           8
        .value_kind:     global_buffer
      - .address_space:  global
        .offset:         40
        .size:           8
        .value_kind:     global_buffer
      - .address_space:  global
        .offset:         48
        .size:           8
        .value_kind:     global_buffer
      - .address_space:  global
        .offset:         56
        .size:           8
        .value_kind:     global_buffer
      - .offset:         64
        .size:           4
        .value_kind:     by_value
      - .offset:         68
        .size:           4
        .value_kind:     by_value
      - .offset:         72
        .size:           4
        .value_kind:     by_value
      - .offset:         76
        .size:           4
        .value_kind:     by_value
      - .offset:         80
        .size:           4
        .value_kind:     by_value
      - .offset:         84
        .size:           4
        .value_kind:     by_value
      - .offset:         88
        .size:           4
        .value_kind:     by_value
      - .offset:         92
        .size:           12
        .value_kind:     by_value
      - .offset:         104
        .size:           4
        .value_kind:     by_value
      - .offset:         108
        .size:           4
        .value_kind:     by_value
      - .offset:         112
        .size:           4
        .value_kind:     by_value
      - .offset:         116
        .size:           4
        .value_kind:     by_value
      - .offset:         120
        .size:           4
        .value_kind:     by_value
      - .offset:         124
        .size:           4
        .value_kind:     by_value
      - .offset:         128
        .size:           4
        .value_kind:     by_value
      - .offset:         132
        .size:           4
        .value_kind:     by_value
      - .offset:         136
        .size:           4
        .value_kind:     by_value
      - .offset:         140
        .size:           4
        .value_kind:     by_value
      - .offset:         144
        .size:           4
        .value_kind:     by_value
      - .offset:         152
        .size:           8
        .value_kind:     by_value
      - .offset:         160
        .size:           4
        .value_kind:     by_value
      - .offset:         164
        .size:           4
        .value_kind:     by_value
      - .offset:         168
        .size:           8
        .value_kind:     by_value
      - .offset:         176
        .size:           4
        .value_kind:     by_value
      - .offset:         180
        .size:           4
        .value_kind:     by_value
      - .offset:         184
        .size:           4
        .value_kind:     by_value
      - .offset:         188
        .size:           4
        .value_kind:     by_value
      - .offset:         192
        .size:           4
        .value_kind:     by_value
      - .offset:         200
        .size:           8
        .value_kind:     by_value
      - .offset:         208
        .size:           4
        .value_kind:     hidden_block_count_x
      - .offset:         212
        .size:           4
        .value_kind:     hidden_block_count_y
      - .offset:         216
        .size:           4
        .value_kind:     hidden_block_count_z
      - .offset:         220
        .size:           2
        .value_kind:     hidden_group_size_x
      - .offset:         222
        .size:           2
        .value_kind:     hidden_group_size_y
      - .offset:         224
        .size:           2
        .value_kind:     hidden_group_size_z
      - .offset:         226
        .size:           2
        .value_kind:     hidden_remainder_x
      - .offset:         228
        .size:           2
        .value_kind:     hidden_remainder_y
      - .offset:         230
        .size:           2
        .value_kind:     hidden_remainder_z
      - .offset:         248
        .size:           8
        .value_kind:     hidden_global_offset_x
      - .offset:         256
        .size:           8
        .value_kind:     hidden_global_offset_y
      - .offset:         264
        .size:           8
        .value_kind:     hidden_global_offset_z
      - .offset:         272
        .size:           2
        .value_kind:     hidden_grid_dims
    .group_segment_fixed_size: 34816
    .kernarg_segment_align: 8
    .kernarg_segment_size: 464
    .language:       OpenCL C
    .language_version:
      - 2
      - 0
    .max_flat_workgroup_size: 256
    .name:           _ZL15flash_attn_tileILi128ELi128ELi8ELi4ELb0EEvPKcS1_S1_S1_S1_PKiPfP15HIP_vector_typeIfLj2EEffffjfiS5_IjLj3EEiiiiiiiiiiiliiliiiiil
    .private_segment_fixed_size: 0
    .sgpr_count:     50
    .sgpr_spill_count: 0
    .symbol:         _ZL15flash_attn_tileILi128ELi128ELi8ELi4ELb0EEvPKcS1_S1_S1_S1_PKiPfP15HIP_vector_typeIfLj2EEffffjfiS5_IjLj3EEiiiiiiiiiiiliiliiiiil.kd
    .uniform_work_group_size: 1
    .uses_dynamic_stack: false
    .vgpr_count:     221
    .vgpr_spill_count: 0
    .wavefront_size: 32
    .workgroup_processor_mode: 1
  - .args:
      - .address_space:  global
        .offset:         0
        .size:           8
        .value_kind:     global_buffer
      - .address_space:  global
        .offset:         8
        .size:           8
        .value_kind:     global_buffer
      - .offset:         16
        .size:           4
        .value_kind:     by_value
      - .offset:         20
        .size:           4
        .value_kind:     by_value
      - .offset:         24
        .size:           4
        .value_kind:     by_value
      - .offset:         28
        .size:           4
        .value_kind:     by_value
      - .offset:         32
        .size:           4
        .value_kind:     by_value
      - .offset:         36
        .size:           4
        .value_kind:     by_value
      - .offset:         40
        .size:           12
        .value_kind:     by_value
      - .offset:         52
        .size:           12
        .value_kind:     by_value
      - .offset:         64
        .size:           12
        .value_kind:     by_value
    .group_segment_fixed_size: 0
    .kernarg_segment_align: 8
    .kernarg_segment_size: 76
    .language:       OpenCL C
    .language_version:
      - 2
      - 0
    .max_flat_workgroup_size: 128
    .name:           _ZL33flash_attn_stream_k_fixup_uniformILi128ELi8ELi4EEvPfPK15HIP_vector_typeIfLj2EEiiiiiiS1_IjLj3EES5_S5_
    .private_segment_fixed_size: 0
    .sgpr_count:     26
    .sgpr_spill_count: 0
    .symbol:         _ZL33flash_attn_stream_k_fixup_uniformILi128ELi8ELi4EEvPfPK15HIP_vector_typeIfLj2EEiiiiiiS1_IjLj3EES5_S5_.kd
    .uniform_work_group_size: 1
    .uses_dynamic_stack: false
    .vgpr_count:     15
    .vgpr_spill_count: 0
    .wavefront_size: 32
    .workgroup_processor_mode: 1
  - .args:
      - .address_space:  global
        .offset:         0
        .size:           8
        .value_kind:     global_buffer
      - .address_space:  global
        .offset:         8
        .size:           8
        .value_kind:     global_buffer
      - .offset:         16
        .size:           4
        .value_kind:     by_value
      - .offset:         20
        .size:           4
        .value_kind:     by_value
      - .offset:         24
        .size:           4
        .value_kind:     by_value
      - .offset:         28
        .size:           4
        .value_kind:     by_value
      - .offset:         32
        .size:           12
        .value_kind:     by_value
      - .offset:         44
        .size:           12
        .value_kind:     by_value
      - .offset:         56
        .size:           12
        .value_kind:     by_value
      - .offset:         68
        .size:           12
        .value_kind:     by_value
      - .offset:         80
        .size:           4
        .value_kind:     hidden_block_count_x
      - .offset:         84
        .size:           4
        .value_kind:     hidden_block_count_y
      - .offset:         88
        .size:           4
        .value_kind:     hidden_block_count_z
      - .offset:         92
        .size:           2
        .value_kind:     hidden_group_size_x
      - .offset:         94
        .size:           2
        .value_kind:     hidden_group_size_y
      - .offset:         96
        .size:           2
        .value_kind:     hidden_group_size_z
      - .offset:         98
        .size:           2
        .value_kind:     hidden_remainder_x
      - .offset:         100
        .size:           2
        .value_kind:     hidden_remainder_y
      - .offset:         102
        .size:           2
        .value_kind:     hidden_remainder_z
      - .offset:         120
        .size:           8
        .value_kind:     hidden_global_offset_x
      - .offset:         128
        .size:           8
        .value_kind:     hidden_global_offset_y
      - .offset:         136
        .size:           8
        .value_kind:     hidden_global_offset_z
      - .offset:         144
        .size:           2
        .value_kind:     hidden_grid_dims
    .group_segment_fixed_size: 0
    .kernarg_segment_align: 8
    .kernarg_segment_size: 336
    .language:       OpenCL C
    .language_version:
      - 2
      - 0
    .max_flat_workgroup_size: 128
    .name:           _ZL33flash_attn_stream_k_fixup_generalILi128ELi8ELi4EEvPfPK15HIP_vector_typeIfLj2EEiiiiS1_IjLj3EES5_S5_S5_
    .private_segment_fixed_size: 0
    .sgpr_count:     33
    .sgpr_spill_count: 0
    .symbol:         _ZL33flash_attn_stream_k_fixup_generalILi128ELi8ELi4EEvPfPK15HIP_vector_typeIfLj2EEiiiiS1_IjLj3EES5_S5_S5_.kd
    .uniform_work_group_size: 1
    .uses_dynamic_stack: false
    .vgpr_count:     17
    .vgpr_spill_count: 0
    .wavefront_size: 32
    .workgroup_processor_mode: 1
  - .args:
      - .address_space:  global
        .offset:         0
        .size:           8
        .value_kind:     global_buffer
      - .address_space:  global
        .offset:         8
        .size:           8
        .value_kind:     global_buffer
      - .address_space:  global
        .offset:         16
        .size:           8
        .value_kind:     global_buffer
      - .address_space:  global
        .offset:         24
        .size:           8
        .value_kind:     global_buffer
      - .address_space:  global
        .offset:         32
        .size:           8
        .value_kind:     global_buffer
      - .address_space:  global
        .offset:         40
        .size:           8
        .value_kind:     global_buffer
      - .address_space:  global
        .offset:         48
        .size:           8
        .value_kind:     global_buffer
      - .address_space:  global
        .offset:         56
        .size:           8
        .value_kind:     global_buffer
      - .offset:         64
        .size:           4
        .value_kind:     by_value
      - .offset:         68
        .size:           4
        .value_kind:     by_value
      - .offset:         72
        .size:           4
        .value_kind:     by_value
      - .offset:         76
        .size:           4
        .value_kind:     by_value
      - .offset:         80
        .size:           4
        .value_kind:     by_value
      - .offset:         84
        .size:           4
        .value_kind:     by_value
      - .offset:         88
        .size:           4
        .value_kind:     by_value
      - .offset:         92
        .size:           12
        .value_kind:     by_value
      - .offset:         104
        .size:           4
        .value_kind:     by_value
      - .offset:         108
        .size:           4
        .value_kind:     by_value
      - .offset:         112
        .size:           4
        .value_kind:     by_value
      - .offset:         116
        .size:           4
        .value_kind:     by_value
      - .offset:         120
        .size:           4
        .value_kind:     by_value
      - .offset:         124
        .size:           4
        .value_kind:     by_value
      - .offset:         128
        .size:           4
        .value_kind:     by_value
      - .offset:         132
        .size:           4
        .value_kind:     by_value
      - .offset:         136
        .size:           4
        .value_kind:     by_value
      - .offset:         140
        .size:           4
        .value_kind:     by_value
      - .offset:         144
        .size:           4
        .value_kind:     by_value
      - .offset:         152
        .size:           8
        .value_kind:     by_value
      - .offset:         160
        .size:           4
        .value_kind:     by_value
      - .offset:         164
        .size:           4
        .value_kind:     by_value
      - .offset:         168
        .size:           8
        .value_kind:     by_value
      - .offset:         176
        .size:           4
        .value_kind:     by_value
      - .offset:         180
        .size:           4
        .value_kind:     by_value
      - .offset:         184
        .size:           4
        .value_kind:     by_value
      - .offset:         188
        .size:           4
        .value_kind:     by_value
      - .offset:         192
        .size:           4
        .value_kind:     by_value
      - .offset:         200
        .size:           8
        .value_kind:     by_value
      - .offset:         208
        .size:           4
        .value_kind:     hidden_block_count_x
      - .offset:         212
        .size:           4
        .value_kind:     hidden_block_count_y
      - .offset:         216
        .size:           4
        .value_kind:     hidden_block_count_z
      - .offset:         220
        .size:           2
        .value_kind:     hidden_group_size_x
      - .offset:         222
        .size:           2
        .value_kind:     hidden_group_size_y
      - .offset:         224
        .size:           2
        .value_kind:     hidden_group_size_z
      - .offset:         226
        .size:           2
        .value_kind:     hidden_remainder_x
      - .offset:         228
        .size:           2
        .value_kind:     hidden_remainder_y
      - .offset:         230
        .size:           2
        .value_kind:     hidden_remainder_z
      - .offset:         248
        .size:           8
        .value_kind:     hidden_global_offset_x
      - .offset:         256
        .size:           8
        .value_kind:     hidden_global_offset_y
      - .offset:         264
        .size:           8
        .value_kind:     hidden_global_offset_z
      - .offset:         272
        .size:           2
        .value_kind:     hidden_grid_dims
    .group_segment_fixed_size: 43008
    .kernarg_segment_align: 8
    .kernarg_segment_size: 464
    .language:       OpenCL C
    .language_version:
      - 2
      - 0
    .max_flat_workgroup_size: 256
    .name:           _ZL15flash_attn_tileILi128ELi128ELi4ELi4ELb0EEvPKcS1_S1_S1_S1_PKiPfP15HIP_vector_typeIfLj2EEffffjfiS5_IjLj3EEiiiiiiiiiiiliiliiiiil
    .private_segment_fixed_size: 0
    .sgpr_count:     47
    .sgpr_spill_count: 0
    .symbol:         _ZL15flash_attn_tileILi128ELi128ELi4ELi4ELb0EEvPKcS1_S1_S1_S1_PKiPfP15HIP_vector_typeIfLj2EEffffjfiS5_IjLj3EEiiiiiiiiiiiliiliiiiil.kd
    .uniform_work_group_size: 1
    .uses_dynamic_stack: false
    .vgpr_count:     181
    .vgpr_spill_count: 0
    .wavefront_size: 32
    .workgroup_processor_mode: 1
  - .args:
      - .address_space:  global
        .offset:         0
        .size:           8
        .value_kind:     global_buffer
      - .address_space:  global
        .offset:         8
        .size:           8
        .value_kind:     global_buffer
      - .offset:         16
        .size:           4
        .value_kind:     by_value
      - .offset:         20
        .size:           4
        .value_kind:     by_value
      - .offset:         24
        .size:           4
        .value_kind:     by_value
      - .offset:         28
        .size:           4
        .value_kind:     by_value
      - .offset:         32
        .size:           4
        .value_kind:     by_value
      - .offset:         36
        .size:           4
        .value_kind:     by_value
      - .offset:         40
        .size:           12
        .value_kind:     by_value
      - .offset:         52
        .size:           12
        .value_kind:     by_value
      - .offset:         64
        .size:           12
        .value_kind:     by_value
    .group_segment_fixed_size: 0
    .kernarg_segment_align: 8
    .kernarg_segment_size: 76
    .language:       OpenCL C
    .language_version:
      - 2
      - 0
    .max_flat_workgroup_size: 128
    .name:           _ZL33flash_attn_stream_k_fixup_uniformILi128ELi4ELi4EEvPfPK15HIP_vector_typeIfLj2EEiiiiiiS1_IjLj3EES5_S5_
    .private_segment_fixed_size: 0
    .sgpr_count:     26
    .sgpr_spill_count: 0
    .symbol:         _ZL33flash_attn_stream_k_fixup_uniformILi128ELi4ELi4EEvPfPK15HIP_vector_typeIfLj2EEiiiiiiS1_IjLj3EES5_S5_.kd
    .uniform_work_group_size: 1
    .uses_dynamic_stack: false
    .vgpr_count:     15
    .vgpr_spill_count: 0
    .wavefront_size: 32
    .workgroup_processor_mode: 1
  - .args:
      - .address_space:  global
        .offset:         0
        .size:           8
        .value_kind:     global_buffer
      - .address_space:  global
        .offset:         8
        .size:           8
        .value_kind:     global_buffer
      - .offset:         16
        .size:           4
        .value_kind:     by_value
      - .offset:         20
        .size:           4
        .value_kind:     by_value
      - .offset:         24
        .size:           4
        .value_kind:     by_value
      - .offset:         28
        .size:           4
        .value_kind:     by_value
      - .offset:         32
        .size:           12
        .value_kind:     by_value
      - .offset:         44
        .size:           12
        .value_kind:     by_value
      - .offset:         56
        .size:           12
        .value_kind:     by_value
      - .offset:         68
        .size:           12
        .value_kind:     by_value
      - .offset:         80
        .size:           4
        .value_kind:     hidden_block_count_x
      - .offset:         84
        .size:           4
        .value_kind:     hidden_block_count_y
      - .offset:         88
        .size:           4
        .value_kind:     hidden_block_count_z
      - .offset:         92
        .size:           2
        .value_kind:     hidden_group_size_x
      - .offset:         94
        .size:           2
        .value_kind:     hidden_group_size_y
      - .offset:         96
        .size:           2
        .value_kind:     hidden_group_size_z
      - .offset:         98
        .size:           2
        .value_kind:     hidden_remainder_x
      - .offset:         100
        .size:           2
        .value_kind:     hidden_remainder_y
      - .offset:         102
        .size:           2
        .value_kind:     hidden_remainder_z
      - .offset:         120
        .size:           8
        .value_kind:     hidden_global_offset_x
      - .offset:         128
        .size:           8
        .value_kind:     hidden_global_offset_y
      - .offset:         136
        .size:           8
        .value_kind:     hidden_global_offset_z
      - .offset:         144
        .size:           2
        .value_kind:     hidden_grid_dims
    .group_segment_fixed_size: 0
    .kernarg_segment_align: 8
    .kernarg_segment_size: 336
    .language:       OpenCL C
    .language_version:
      - 2
      - 0
    .max_flat_workgroup_size: 128
    .name:           _ZL33flash_attn_stream_k_fixup_generalILi128ELi4ELi4EEvPfPK15HIP_vector_typeIfLj2EEiiiiS1_IjLj3EES5_S5_S5_
    .private_segment_fixed_size: 0
    .sgpr_count:     33
    .sgpr_spill_count: 0
    .symbol:         _ZL33flash_attn_stream_k_fixup_generalILi128ELi4ELi4EEvPfPK15HIP_vector_typeIfLj2EEiiiiS1_IjLj3EES5_S5_S5_.kd
    .uniform_work_group_size: 1
    .uses_dynamic_stack: false
    .vgpr_count:     17
    .vgpr_spill_count: 0
    .wavefront_size: 32
    .workgroup_processor_mode: 1
  - .args:
      - .address_space:  global
        .offset:         0
        .size:           8
        .value_kind:     global_buffer
      - .address_space:  global
        .offset:         8
        .size:           8
        .value_kind:     global_buffer
      - .address_space:  global
        .offset:         16
        .size:           8
        .value_kind:     global_buffer
      - .address_space:  global
        .offset:         24
        .size:           8
        .value_kind:     global_buffer
      - .address_space:  global
        .offset:         32
        .size:           8
        .value_kind:     global_buffer
      - .address_space:  global
        .offset:         40
        .size:           8
        .value_kind:     global_buffer
      - .address_space:  global
        .offset:         48
        .size:           8
        .value_kind:     global_buffer
      - .address_space:  global
        .offset:         56
        .size:           8
        .value_kind:     global_buffer
      - .offset:         64
        .size:           4
        .value_kind:     by_value
      - .offset:         68
        .size:           4
        .value_kind:     by_value
      - .offset:         72
        .size:           4
        .value_kind:     by_value
      - .offset:         76
        .size:           4
        .value_kind:     by_value
      - .offset:         80
        .size:           4
        .value_kind:     by_value
      - .offset:         84
        .size:           4
        .value_kind:     by_value
      - .offset:         88
        .size:           4
        .value_kind:     by_value
      - .offset:         92
        .size:           12
        .value_kind:     by_value
      - .offset:         104
        .size:           4
        .value_kind:     by_value
      - .offset:         108
        .size:           4
        .value_kind:     by_value
      - .offset:         112
        .size:           4
        .value_kind:     by_value
      - .offset:         116
        .size:           4
        .value_kind:     by_value
      - .offset:         120
        .size:           4
        .value_kind:     by_value
      - .offset:         124
        .size:           4
        .value_kind:     by_value
      - .offset:         128
        .size:           4
        .value_kind:     by_value
      - .offset:         132
        .size:           4
        .value_kind:     by_value
      - .offset:         136
        .size:           4
        .value_kind:     by_value
      - .offset:         140
        .size:           4
        .value_kind:     by_value
      - .offset:         144
        .size:           4
        .value_kind:     by_value
      - .offset:         152
        .size:           8
        .value_kind:     by_value
      - .offset:         160
        .size:           4
        .value_kind:     by_value
      - .offset:         164
        .size:           4
        .value_kind:     by_value
      - .offset:         168
        .size:           8
        .value_kind:     by_value
      - .offset:         176
        .size:           4
        .value_kind:     by_value
      - .offset:         180
        .size:           4
        .value_kind:     by_value
      - .offset:         184
        .size:           4
        .value_kind:     by_value
      - .offset:         188
        .size:           4
        .value_kind:     by_value
      - .offset:         192
        .size:           4
        .value_kind:     by_value
      - .offset:         200
        .size:           8
        .value_kind:     by_value
      - .offset:         208
        .size:           4
        .value_kind:     hidden_block_count_x
      - .offset:         212
        .size:           4
        .value_kind:     hidden_block_count_y
      - .offset:         216
        .size:           4
        .value_kind:     hidden_block_count_z
      - .offset:         220
        .size:           2
        .value_kind:     hidden_group_size_x
      - .offset:         222
        .size:           2
        .value_kind:     hidden_group_size_y
      - .offset:         224
        .size:           2
        .value_kind:     hidden_group_size_z
      - .offset:         226
        .size:           2
        .value_kind:     hidden_remainder_x
      - .offset:         228
        .size:           2
        .value_kind:     hidden_remainder_y
      - .offset:         230
        .size:           2
        .value_kind:     hidden_remainder_z
      - .offset:         248
        .size:           8
        .value_kind:     hidden_global_offset_x
      - .offset:         256
        .size:           8
        .value_kind:     hidden_global_offset_y
      - .offset:         264
        .size:           8
        .value_kind:     hidden_global_offset_z
      - .offset:         272
        .size:           2
        .value_kind:     hidden_grid_dims
    .group_segment_fixed_size: 12288
    .kernarg_segment_align: 8
    .kernarg_segment_size: 464
    .language:       OpenCL C
    .language_version:
      - 2
      - 0
    .max_flat_workgroup_size: 128
    .name:           _ZL15flash_attn_tileILi128ELi128ELi2ELi4ELb0EEvPKcS1_S1_S1_S1_PKiPfP15HIP_vector_typeIfLj2EEffffjfiS5_IjLj3EEiiiiiiiiiiiliiliiiiil
    .private_segment_fixed_size: 0
    .sgpr_count:     42
    .sgpr_spill_count: 0
    .symbol:         _ZL15flash_attn_tileILi128ELi128ELi2ELi4ELb0EEvPKcS1_S1_S1_S1_PKiPfP15HIP_vector_typeIfLj2EEffffjfiS5_IjLj3EEiiiiiiiiiiiliiliiiiil.kd
    .uniform_work_group_size: 1
    .uses_dynamic_stack: false
    .vgpr_count:     100
    .vgpr_spill_count: 0
    .wavefront_size: 32
    .workgroup_processor_mode: 1
  - .args:
      - .address_space:  global
        .offset:         0
        .size:           8
        .value_kind:     global_buffer
      - .address_space:  global
        .offset:         8
        .size:           8
        .value_kind:     global_buffer
      - .offset:         16
        .size:           4
        .value_kind:     by_value
      - .offset:         20
        .size:           4
        .value_kind:     by_value
      - .offset:         24
        .size:           4
        .value_kind:     by_value
      - .offset:         28
        .size:           4
        .value_kind:     by_value
      - .offset:         32
        .size:           4
        .value_kind:     by_value
      - .offset:         36
        .size:           4
        .value_kind:     by_value
      - .offset:         40
        .size:           12
        .value_kind:     by_value
      - .offset:         52
        .size:           12
        .value_kind:     by_value
      - .offset:         64
        .size:           12
        .value_kind:     by_value
    .group_segment_fixed_size: 0
    .kernarg_segment_align: 8
    .kernarg_segment_size: 76
    .language:       OpenCL C
    .language_version:
      - 2
      - 0
    .max_flat_workgroup_size: 128
    .name:           _ZL33flash_attn_stream_k_fixup_uniformILi128ELi2ELi4EEvPfPK15HIP_vector_typeIfLj2EEiiiiiiS1_IjLj3EES5_S5_
    .private_segment_fixed_size: 0
    .sgpr_count:     26
    .sgpr_spill_count: 0
    .symbol:         _ZL33flash_attn_stream_k_fixup_uniformILi128ELi2ELi4EEvPfPK15HIP_vector_typeIfLj2EEiiiiiiS1_IjLj3EES5_S5_.kd
    .uniform_work_group_size: 1
    .uses_dynamic_stack: false
    .vgpr_count:     15
    .vgpr_spill_count: 0
    .wavefront_size: 32
    .workgroup_processor_mode: 1
  - .args:
      - .address_space:  global
        .offset:         0
        .size:           8
        .value_kind:     global_buffer
      - .address_space:  global
        .offset:         8
        .size:           8
        .value_kind:     global_buffer
      - .offset:         16
        .size:           4
        .value_kind:     by_value
      - .offset:         20
        .size:           4
        .value_kind:     by_value
      - .offset:         24
        .size:           4
        .value_kind:     by_value
      - .offset:         28
        .size:           4
        .value_kind:     by_value
      - .offset:         32
        .size:           12
        .value_kind:     by_value
      - .offset:         44
        .size:           12
        .value_kind:     by_value
      - .offset:         56
        .size:           12
        .value_kind:     by_value
      - .offset:         68
        .size:           12
        .value_kind:     by_value
      - .offset:         80
        .size:           4
        .value_kind:     hidden_block_count_x
      - .offset:         84
        .size:           4
        .value_kind:     hidden_block_count_y
      - .offset:         88
        .size:           4
        .value_kind:     hidden_block_count_z
      - .offset:         92
        .size:           2
        .value_kind:     hidden_group_size_x
      - .offset:         94
        .size:           2
        .value_kind:     hidden_group_size_y
      - .offset:         96
        .size:           2
        .value_kind:     hidden_group_size_z
      - .offset:         98
        .size:           2
        .value_kind:     hidden_remainder_x
      - .offset:         100
        .size:           2
        .value_kind:     hidden_remainder_y
      - .offset:         102
        .size:           2
        .value_kind:     hidden_remainder_z
      - .offset:         120
        .size:           8
        .value_kind:     hidden_global_offset_x
      - .offset:         128
        .size:           8
        .value_kind:     hidden_global_offset_y
      - .offset:         136
        .size:           8
        .value_kind:     hidden_global_offset_z
      - .offset:         144
        .size:           2
        .value_kind:     hidden_grid_dims
    .group_segment_fixed_size: 0
    .kernarg_segment_align: 8
    .kernarg_segment_size: 336
    .language:       OpenCL C
    .language_version:
      - 2
      - 0
    .max_flat_workgroup_size: 128
    .name:           _ZL33flash_attn_stream_k_fixup_generalILi128ELi2ELi4EEvPfPK15HIP_vector_typeIfLj2EEiiiiS1_IjLj3EES5_S5_S5_
    .private_segment_fixed_size: 0
    .sgpr_count:     33
    .sgpr_spill_count: 0
    .symbol:         _ZL33flash_attn_stream_k_fixup_generalILi128ELi2ELi4EEvPfPK15HIP_vector_typeIfLj2EEiiiiS1_IjLj3EES5_S5_S5_.kd
    .uniform_work_group_size: 1
    .uses_dynamic_stack: false
    .vgpr_count:     17
    .vgpr_spill_count: 0
    .wavefront_size: 32
    .workgroup_processor_mode: 1
  - .args:
      - .address_space:  global
        .offset:         0
        .size:           8
        .value_kind:     global_buffer
      - .address_space:  global
        .offset:         8
        .size:           8
        .value_kind:     global_buffer
      - .address_space:  global
        .offset:         16
        .size:           8
        .value_kind:     global_buffer
      - .address_space:  global
        .offset:         24
        .size:           8
        .value_kind:     global_buffer
      - .address_space:  global
        .offset:         32
        .size:           8
        .value_kind:     global_buffer
      - .address_space:  global
        .offset:         40
        .size:           8
        .value_kind:     global_buffer
      - .address_space:  global
        .offset:         48
        .size:           8
        .value_kind:     global_buffer
      - .address_space:  global
        .offset:         56
        .size:           8
        .value_kind:     global_buffer
      - .offset:         64
        .size:           4
        .value_kind:     by_value
      - .offset:         68
        .size:           4
        .value_kind:     by_value
      - .offset:         72
        .size:           4
        .value_kind:     by_value
      - .offset:         76
        .size:           4
        .value_kind:     by_value
      - .offset:         80
        .size:           4
        .value_kind:     by_value
      - .offset:         84
        .size:           4
        .value_kind:     by_value
      - .offset:         88
        .size:           4
        .value_kind:     by_value
      - .offset:         92
        .size:           12
        .value_kind:     by_value
      - .offset:         104
        .size:           4
        .value_kind:     by_value
      - .offset:         108
        .size:           4
        .value_kind:     by_value
      - .offset:         112
        .size:           4
        .value_kind:     by_value
      - .offset:         116
        .size:           4
        .value_kind:     by_value
      - .offset:         120
        .size:           4
        .value_kind:     by_value
      - .offset:         124
        .size:           4
        .value_kind:     by_value
      - .offset:         128
        .size:           4
        .value_kind:     by_value
      - .offset:         132
        .size:           4
        .value_kind:     by_value
      - .offset:         136
        .size:           4
        .value_kind:     by_value
      - .offset:         140
        .size:           4
        .value_kind:     by_value
      - .offset:         144
        .size:           4
        .value_kind:     by_value
      - .offset:         152
        .size:           8
        .value_kind:     by_value
      - .offset:         160
        .size:           4
        .value_kind:     by_value
      - .offset:         164
        .size:           4
        .value_kind:     by_value
      - .offset:         168
        .size:           8
        .value_kind:     by_value
      - .offset:         176
        .size:           4
        .value_kind:     by_value
      - .offset:         180
        .size:           4
        .value_kind:     by_value
      - .offset:         184
        .size:           4
        .value_kind:     by_value
      - .offset:         188
        .size:           4
        .value_kind:     by_value
      - .offset:         192
        .size:           4
        .value_kind:     by_value
      - .offset:         200
        .size:           8
        .value_kind:     by_value
      - .offset:         208
        .size:           4
        .value_kind:     hidden_block_count_x
      - .offset:         212
        .size:           4
        .value_kind:     hidden_block_count_y
      - .offset:         216
        .size:           4
        .value_kind:     hidden_block_count_z
      - .offset:         220
        .size:           2
        .value_kind:     hidden_group_size_x
      - .offset:         222
        .size:           2
        .value_kind:     hidden_group_size_y
      - .offset:         224
        .size:           2
        .value_kind:     hidden_group_size_z
      - .offset:         226
        .size:           2
        .value_kind:     hidden_remainder_x
      - .offset:         228
        .size:           2
        .value_kind:     hidden_remainder_y
      - .offset:         230
        .size:           2
        .value_kind:     hidden_remainder_z
      - .offset:         248
        .size:           8
        .value_kind:     hidden_global_offset_x
      - .offset:         256
        .size:           8
        .value_kind:     hidden_global_offset_y
      - .offset:         264
        .size:           8
        .value_kind:     hidden_global_offset_z
      - .offset:         272
        .size:           2
        .value_kind:     hidden_grid_dims
    .group_segment_fixed_size: 10752
    .kernarg_segment_align: 8
    .kernarg_segment_size: 464
    .language:       OpenCL C
    .language_version:
      - 2
      - 0
    .max_flat_workgroup_size: 128
    .name:           _ZL15flash_attn_tileILi128ELi128ELi1ELi4ELb0EEvPKcS1_S1_S1_S1_PKiPfP15HIP_vector_typeIfLj2EEffffjfiS5_IjLj3EEiiiiiiiiiiiliiliiiiil
    .private_segment_fixed_size: 0
    .sgpr_count:     42
    .sgpr_spill_count: 0
    .symbol:         _ZL15flash_attn_tileILi128ELi128ELi1ELi4ELb0EEvPKcS1_S1_S1_S1_PKiPfP15HIP_vector_typeIfLj2EEffffjfiS5_IjLj3EEiiiiiiiiiiiliiliiiiil.kd
    .uniform_work_group_size: 1
    .uses_dynamic_stack: false
    .vgpr_count:     84
    .vgpr_spill_count: 0
    .wavefront_size: 32
    .workgroup_processor_mode: 1
  - .args:
      - .address_space:  global
        .offset:         0
        .size:           8
        .value_kind:     global_buffer
      - .address_space:  global
        .offset:         8
        .size:           8
        .value_kind:     global_buffer
      - .offset:         16
        .size:           4
        .value_kind:     by_value
      - .offset:         20
        .size:           4
        .value_kind:     by_value
      - .offset:         24
        .size:           4
        .value_kind:     by_value
      - .offset:         28
        .size:           4
        .value_kind:     by_value
      - .offset:         32
        .size:           4
        .value_kind:     by_value
      - .offset:         36
        .size:           4
        .value_kind:     by_value
      - .offset:         40
        .size:           12
        .value_kind:     by_value
      - .offset:         52
        .size:           12
        .value_kind:     by_value
      - .offset:         64
        .size:           12
        .value_kind:     by_value
    .group_segment_fixed_size: 0
    .kernarg_segment_align: 8
    .kernarg_segment_size: 76
    .language:       OpenCL C
    .language_version:
      - 2
      - 0
    .max_flat_workgroup_size: 128
    .name:           _ZL33flash_attn_stream_k_fixup_uniformILi128ELi1ELi4EEvPfPK15HIP_vector_typeIfLj2EEiiiiiiS1_IjLj3EES5_S5_
    .private_segment_fixed_size: 0
    .sgpr_count:     22
    .sgpr_spill_count: 0
    .symbol:         _ZL33flash_attn_stream_k_fixup_uniformILi128ELi1ELi4EEvPfPK15HIP_vector_typeIfLj2EEiiiiiiS1_IjLj3EES5_S5_.kd
    .uniform_work_group_size: 1
    .uses_dynamic_stack: false
    .vgpr_count:     15
    .vgpr_spill_count: 0
    .wavefront_size: 32
    .workgroup_processor_mode: 1
  - .args:
      - .address_space:  global
        .offset:         0
        .size:           8
        .value_kind:     global_buffer
      - .address_space:  global
        .offset:         8
        .size:           8
        .value_kind:     global_buffer
      - .offset:         16
        .size:           4
        .value_kind:     by_value
      - .offset:         20
        .size:           4
        .value_kind:     by_value
      - .offset:         24
        .size:           4
        .value_kind:     by_value
      - .offset:         28
        .size:           4
        .value_kind:     by_value
      - .offset:         32
        .size:           12
        .value_kind:     by_value
      - .offset:         44
        .size:           12
        .value_kind:     by_value
      - .offset:         56
        .size:           12
        .value_kind:     by_value
      - .offset:         68
        .size:           12
        .value_kind:     by_value
      - .offset:         80
        .size:           4
        .value_kind:     hidden_block_count_x
      - .offset:         84
        .size:           4
        .value_kind:     hidden_block_count_y
      - .offset:         88
        .size:           4
        .value_kind:     hidden_block_count_z
      - .offset:         92
        .size:           2
        .value_kind:     hidden_group_size_x
      - .offset:         94
        .size:           2
        .value_kind:     hidden_group_size_y
      - .offset:         96
        .size:           2
        .value_kind:     hidden_group_size_z
      - .offset:         98
        .size:           2
        .value_kind:     hidden_remainder_x
      - .offset:         100
        .size:           2
        .value_kind:     hidden_remainder_y
      - .offset:         102
        .size:           2
        .value_kind:     hidden_remainder_z
      - .offset:         120
        .size:           8
        .value_kind:     hidden_global_offset_x
      - .offset:         128
        .size:           8
        .value_kind:     hidden_global_offset_y
      - .offset:         136
        .size:           8
        .value_kind:     hidden_global_offset_z
      - .offset:         144
        .size:           2
        .value_kind:     hidden_grid_dims
    .group_segment_fixed_size: 0
    .kernarg_segment_align: 8
    .kernarg_segment_size: 336
    .language:       OpenCL C
    .language_version:
      - 2
      - 0
    .max_flat_workgroup_size: 128
    .name:           _ZL33flash_attn_stream_k_fixup_generalILi128ELi1ELi4EEvPfPK15HIP_vector_typeIfLj2EEiiiiS1_IjLj3EES5_S5_S5_
    .private_segment_fixed_size: 0
    .sgpr_count:     34
    .sgpr_spill_count: 0
    .symbol:         _ZL33flash_attn_stream_k_fixup_generalILi128ELi1ELi4EEvPfPK15HIP_vector_typeIfLj2EEiiiiS1_IjLj3EES5_S5_S5_.kd
    .uniform_work_group_size: 1
    .uses_dynamic_stack: false
    .vgpr_count:     17
    .vgpr_spill_count: 0
    .wavefront_size: 32
    .workgroup_processor_mode: 1
  - .args:
      - .address_space:  global
        .offset:         0
        .size:           8
        .value_kind:     global_buffer
      - .address_space:  global
        .offset:         8
        .size:           8
        .value_kind:     global_buffer
      - .address_space:  global
        .offset:         16
        .size:           8
        .value_kind:     global_buffer
      - .address_space:  global
        .offset:         24
        .size:           8
        .value_kind:     global_buffer
      - .address_space:  global
        .offset:         32
        .size:           8
        .value_kind:     global_buffer
      - .address_space:  global
        .offset:         40
        .size:           8
        .value_kind:     global_buffer
      - .address_space:  global
        .offset:         48
        .size:           8
        .value_kind:     global_buffer
      - .address_space:  global
        .offset:         56
        .size:           8
        .value_kind:     global_buffer
      - .offset:         64
        .size:           4
        .value_kind:     by_value
      - .offset:         68
        .size:           4
        .value_kind:     by_value
      - .offset:         72
        .size:           4
        .value_kind:     by_value
      - .offset:         76
        .size:           4
        .value_kind:     by_value
      - .offset:         80
        .size:           4
        .value_kind:     by_value
      - .offset:         84
        .size:           4
        .value_kind:     by_value
      - .offset:         88
        .size:           4
        .value_kind:     by_value
      - .offset:         92
        .size:           12
        .value_kind:     by_value
      - .offset:         104
        .size:           4
        .value_kind:     by_value
      - .offset:         108
        .size:           4
        .value_kind:     by_value
      - .offset:         112
        .size:           4
        .value_kind:     by_value
      - .offset:         116
        .size:           4
        .value_kind:     by_value
      - .offset:         120
        .size:           4
        .value_kind:     by_value
      - .offset:         124
        .size:           4
        .value_kind:     by_value
      - .offset:         128
        .size:           4
        .value_kind:     by_value
      - .offset:         132
        .size:           4
        .value_kind:     by_value
      - .offset:         136
        .size:           4
        .value_kind:     by_value
      - .offset:         140
        .size:           4
        .value_kind:     by_value
      - .offset:         144
        .size:           4
        .value_kind:     by_value
      - .offset:         152
        .size:           8
        .value_kind:     by_value
      - .offset:         160
        .size:           4
        .value_kind:     by_value
      - .offset:         164
        .size:           4
        .value_kind:     by_value
      - .offset:         168
        .size:           8
        .value_kind:     by_value
      - .offset:         176
        .size:           4
        .value_kind:     by_value
      - .offset:         180
        .size:           4
        .value_kind:     by_value
      - .offset:         184
        .size:           4
        .value_kind:     by_value
      - .offset:         188
        .size:           4
        .value_kind:     by_value
      - .offset:         192
        .size:           4
        .value_kind:     by_value
      - .offset:         200
        .size:           8
        .value_kind:     by_value
      - .offset:         208
        .size:           4
        .value_kind:     hidden_block_count_x
      - .offset:         212
        .size:           4
        .value_kind:     hidden_block_count_y
      - .offset:         216
        .size:           4
        .value_kind:     hidden_block_count_z
      - .offset:         220
        .size:           2
        .value_kind:     hidden_group_size_x
      - .offset:         222
        .size:           2
        .value_kind:     hidden_group_size_y
      - .offset:         224
        .size:           2
        .value_kind:     hidden_group_size_z
      - .offset:         226
        .size:           2
        .value_kind:     hidden_remainder_x
      - .offset:         228
        .size:           2
        .value_kind:     hidden_remainder_y
      - .offset:         230
        .size:           2
        .value_kind:     hidden_remainder_z
      - .offset:         248
        .size:           8
        .value_kind:     hidden_global_offset_x
      - .offset:         256
        .size:           8
        .value_kind:     hidden_global_offset_y
      - .offset:         264
        .size:           8
        .value_kind:     hidden_global_offset_z
      - .offset:         272
        .size:           2
        .value_kind:     hidden_grid_dims
    .group_segment_fixed_size: 33792
    .kernarg_segment_align: 8
    .kernarg_segment_size: 464
    .language:       OpenCL C
    .language_version:
      - 2
      - 0
    .max_flat_workgroup_size: 256
    .name:           _ZL15flash_attn_tileILi128ELi128ELi32ELi2ELb0EEvPKcS1_S1_S1_S1_PKiPfP15HIP_vector_typeIfLj2EEffffjfiS5_IjLj3EEiiiiiiiiiiiliiliiiiil
    .private_segment_fixed_size: 0
    .sgpr_count:     64
    .sgpr_spill_count: 0
    .symbol:         _ZL15flash_attn_tileILi128ELi128ELi32ELi2ELb0EEvPKcS1_S1_S1_S1_PKiPfP15HIP_vector_typeIfLj2EEffffjfiS5_IjLj3EEiiiiiiiiiiiliiliiiiil.kd
    .uniform_work_group_size: 1
    .uses_dynamic_stack: false
    .vgpr_count:     226
    .vgpr_spill_count: 0
    .wavefront_size: 32
    .workgroup_processor_mode: 1
  - .args:
      - .actual_access:  read_only
        .address_space:  global
        .offset:         0
        .size:           8
        .value_kind:     global_buffer
      - .actual_access:  write_only
        .address_space:  global
        .offset:         8
        .size:           8
        .value_kind:     global_buffer
      - .offset:         16
        .size:           4
        .value_kind:     by_value
      - .offset:         20
        .size:           4
        .value_kind:     by_value
      - .offset:         24
        .size:           4
        .value_kind:     by_value
      - .offset:         32
        .size:           4
        .value_kind:     hidden_block_count_x
      - .offset:         36
        .size:           4
        .value_kind:     hidden_block_count_y
      - .offset:         40
        .size:           4
        .value_kind:     hidden_block_count_z
      - .offset:         44
        .size:           2
        .value_kind:     hidden_group_size_x
      - .offset:         46
        .size:           2
        .value_kind:     hidden_group_size_y
      - .offset:         48
        .size:           2
        .value_kind:     hidden_group_size_z
      - .offset:         50
        .size:           2
        .value_kind:     hidden_remainder_x
      - .offset:         52
        .size:           2
        .value_kind:     hidden_remainder_y
      - .offset:         54
        .size:           2
        .value_kind:     hidden_remainder_z
      - .offset:         72
        .size:           8
        .value_kind:     hidden_global_offset_x
      - .offset:         80
        .size:           8
        .value_kind:     hidden_global_offset_y
      - .offset:         88
        .size:           8
        .value_kind:     hidden_global_offset_z
      - .offset:         96
        .size:           2
        .value_kind:     hidden_grid_dims
    .group_segment_fixed_size: 128
    .kernarg_segment_align: 8
    .kernarg_segment_size: 288
    .language:       OpenCL C
    .language_version:
      - 2
      - 0
    .max_flat_workgroup_size: 128
    .name:           _ZL25flash_attn_mask_to_KV_maxILi32EEvPK7__half2Piiii
    .private_segment_fixed_size: 0
    .sgpr_count:     78
    .sgpr_spill_count: 0
    .symbol:         _ZL25flash_attn_mask_to_KV_maxILi32EEvPK7__half2Piiii.kd
    .uniform_work_group_size: 1
    .uses_dynamic_stack: false
    .vgpr_count:     10
    .vgpr_spill_count: 0
    .wavefront_size: 32
    .workgroup_processor_mode: 1
  - .args:
      - .address_space:  global
        .offset:         0
        .size:           8
        .value_kind:     global_buffer
      - .address_space:  global
        .offset:         8
        .size:           8
        .value_kind:     global_buffer
      - .offset:         16
        .size:           4
        .value_kind:     by_value
      - .offset:         20
        .size:           4
        .value_kind:     by_value
      - .offset:         24
        .size:           4
        .value_kind:     by_value
      - .offset:         28
        .size:           4
        .value_kind:     by_value
      - .offset:         32
        .size:           4
        .value_kind:     by_value
      - .offset:         36
        .size:           4
        .value_kind:     by_value
      - .offset:         40
        .size:           12
        .value_kind:     by_value
      - .offset:         52
        .size:           12
        .value_kind:     by_value
      - .offset:         64
        .size:           12
        .value_kind:     by_value
    .group_segment_fixed_size: 0
    .kernarg_segment_align: 8
    .kernarg_segment_size: 76
    .language:       OpenCL C
    .language_version:
      - 2
      - 0
    .max_flat_workgroup_size: 128
    .name:           _ZL33flash_attn_stream_k_fixup_uniformILi128ELi32ELi2EEvPfPK15HIP_vector_typeIfLj2EEiiiiiiS1_IjLj3EES5_S5_
    .private_segment_fixed_size: 0
    .sgpr_count:     26
    .sgpr_spill_count: 0
    .symbol:         _ZL33flash_attn_stream_k_fixup_uniformILi128ELi32ELi2EEvPfPK15HIP_vector_typeIfLj2EEiiiiiiS1_IjLj3EES5_S5_.kd
    .uniform_work_group_size: 1
    .uses_dynamic_stack: false
    .vgpr_count:     15
    .vgpr_spill_count: 0
    .wavefront_size: 32
    .workgroup_processor_mode: 1
  - .args:
      - .address_space:  global
        .offset:         0
        .size:           8
        .value_kind:     global_buffer
      - .address_space:  global
        .offset:         8
        .size:           8
        .value_kind:     global_buffer
      - .offset:         16
        .size:           4
        .value_kind:     by_value
      - .offset:         20
        .size:           4
        .value_kind:     by_value
      - .offset:         24
        .size:           4
        .value_kind:     by_value
      - .offset:         28
        .size:           4
        .value_kind:     by_value
      - .offset:         32
        .size:           12
        .value_kind:     by_value
      - .offset:         44
        .size:           12
        .value_kind:     by_value
      - .offset:         56
        .size:           12
        .value_kind:     by_value
      - .offset:         68
        .size:           12
        .value_kind:     by_value
      - .offset:         80
        .size:           4
        .value_kind:     hidden_block_count_x
      - .offset:         84
        .size:           4
        .value_kind:     hidden_block_count_y
      - .offset:         88
        .size:           4
        .value_kind:     hidden_block_count_z
      - .offset:         92
        .size:           2
        .value_kind:     hidden_group_size_x
      - .offset:         94
        .size:           2
        .value_kind:     hidden_group_size_y
      - .offset:         96
        .size:           2
        .value_kind:     hidden_group_size_z
      - .offset:         98
        .size:           2
        .value_kind:     hidden_remainder_x
      - .offset:         100
        .size:           2
        .value_kind:     hidden_remainder_y
      - .offset:         102
        .size:           2
        .value_kind:     hidden_remainder_z
      - .offset:         120
        .size:           8
        .value_kind:     hidden_global_offset_x
      - .offset:         128
        .size:           8
        .value_kind:     hidden_global_offset_y
      - .offset:         136
        .size:           8
        .value_kind:     hidden_global_offset_z
      - .offset:         144
        .size:           2
        .value_kind:     hidden_grid_dims
    .group_segment_fixed_size: 0
    .kernarg_segment_align: 8
    .kernarg_segment_size: 336
    .language:       OpenCL C
    .language_version:
      - 2
      - 0
    .max_flat_workgroup_size: 128
    .name:           _ZL33flash_attn_stream_k_fixup_generalILi128ELi32ELi2EEvPfPK15HIP_vector_typeIfLj2EEiiiiS1_IjLj3EES5_S5_S5_
    .private_segment_fixed_size: 0
    .sgpr_count:     33
    .sgpr_spill_count: 0
    .symbol:         _ZL33flash_attn_stream_k_fixup_generalILi128ELi32ELi2EEvPfPK15HIP_vector_typeIfLj2EEiiiiS1_IjLj3EES5_S5_S5_.kd
    .uniform_work_group_size: 1
    .uses_dynamic_stack: false
    .vgpr_count:     17
    .vgpr_spill_count: 0
    .wavefront_size: 32
    .workgroup_processor_mode: 1
  - .args:
      - .address_space:  global
        .offset:         0
        .size:           8
        .value_kind:     global_buffer
      - .address_space:  global
        .offset:         8
        .size:           8
        .value_kind:     global_buffer
      - .address_space:  global
        .offset:         16
        .size:           8
        .value_kind:     global_buffer
      - .address_space:  global
        .offset:         24
        .size:           8
        .value_kind:     global_buffer
      - .address_space:  global
        .offset:         32
        .size:           8
        .value_kind:     global_buffer
      - .address_space:  global
        .offset:         40
        .size:           8
        .value_kind:     global_buffer
      - .address_space:  global
        .offset:         48
        .size:           8
        .value_kind:     global_buffer
      - .address_space:  global
        .offset:         56
        .size:           8
        .value_kind:     global_buffer
      - .offset:         64
        .size:           4
        .value_kind:     by_value
      - .offset:         68
        .size:           4
        .value_kind:     by_value
      - .offset:         72
        .size:           4
        .value_kind:     by_value
      - .offset:         76
        .size:           4
        .value_kind:     by_value
      - .offset:         80
        .size:           4
        .value_kind:     by_value
      - .offset:         84
        .size:           4
        .value_kind:     by_value
      - .offset:         88
        .size:           4
        .value_kind:     by_value
      - .offset:         92
        .size:           12
        .value_kind:     by_value
      - .offset:         104
        .size:           4
        .value_kind:     by_value
      - .offset:         108
        .size:           4
        .value_kind:     by_value
      - .offset:         112
        .size:           4
        .value_kind:     by_value
      - .offset:         116
        .size:           4
        .value_kind:     by_value
      - .offset:         120
        .size:           4
        .value_kind:     by_value
      - .offset:         124
        .size:           4
        .value_kind:     by_value
      - .offset:         128
        .size:           4
        .value_kind:     by_value
      - .offset:         132
        .size:           4
        .value_kind:     by_value
      - .offset:         136
        .size:           4
        .value_kind:     by_value
      - .offset:         140
        .size:           4
        .value_kind:     by_value
      - .offset:         144
        .size:           4
        .value_kind:     by_value
      - .offset:         152
        .size:           8
        .value_kind:     by_value
      - .offset:         160
        .size:           4
        .value_kind:     by_value
      - .offset:         164
        .size:           4
        .value_kind:     by_value
      - .offset:         168
        .size:           8
        .value_kind:     by_value
      - .offset:         176
        .size:           4
        .value_kind:     by_value
      - .offset:         180
        .size:           4
        .value_kind:     by_value
      - .offset:         184
        .size:           4
        .value_kind:     by_value
      - .offset:         188
        .size:           4
        .value_kind:     by_value
      - .offset:         192
        .size:           4
        .value_kind:     by_value
      - .offset:         200
        .size:           8
        .value_kind:     by_value
      - .offset:         208
        .size:           4
        .value_kind:     hidden_block_count_x
      - .offset:         212
        .size:           4
        .value_kind:     hidden_block_count_y
      - .offset:         216
        .size:           4
        .value_kind:     hidden_block_count_z
      - .offset:         220
        .size:           2
        .value_kind:     hidden_group_size_x
      - .offset:         222
        .size:           2
        .value_kind:     hidden_group_size_y
      - .offset:         224
        .size:           2
        .value_kind:     hidden_group_size_z
      - .offset:         226
        .size:           2
        .value_kind:     hidden_remainder_x
      - .offset:         228
        .size:           2
        .value_kind:     hidden_remainder_y
      - .offset:         230
        .size:           2
        .value_kind:     hidden_remainder_z
      - .offset:         248
        .size:           8
        .value_kind:     hidden_global_offset_x
      - .offset:         256
        .size:           8
        .value_kind:     hidden_global_offset_y
      - .offset:         264
        .size:           8
        .value_kind:     hidden_global_offset_z
      - .offset:         272
        .size:           2
        .value_kind:     hidden_grid_dims
    .group_segment_fixed_size: 34816
    .kernarg_segment_align: 8
    .kernarg_segment_size: 464
    .language:       OpenCL C
    .language_version:
      - 2
      - 0
    .max_flat_workgroup_size: 256
    .name:           _ZL15flash_attn_tileILi128ELi128ELi16ELi2ELb0EEvPKcS1_S1_S1_S1_PKiPfP15HIP_vector_typeIfLj2EEffffjfiS5_IjLj3EEiiiiiiiiiiiliiliiiiil
    .private_segment_fixed_size: 0
    .sgpr_count:     49
    .sgpr_spill_count: 0
    .symbol:         _ZL15flash_attn_tileILi128ELi128ELi16ELi2ELb0EEvPKcS1_S1_S1_S1_PKiPfP15HIP_vector_typeIfLj2EEffffjfiS5_IjLj3EEiiiiiiiiiiiliiliiiiil.kd
    .uniform_work_group_size: 1
    .uses_dynamic_stack: false
    .vgpr_count:     217
    .vgpr_spill_count: 0
    .wavefront_size: 32
    .workgroup_processor_mode: 1
  - .args:
      - .address_space:  global
        .offset:         0
        .size:           8
        .value_kind:     global_buffer
      - .address_space:  global
        .offset:         8
        .size:           8
        .value_kind:     global_buffer
      - .offset:         16
        .size:           4
        .value_kind:     by_value
      - .offset:         20
        .size:           4
        .value_kind:     by_value
      - .offset:         24
        .size:           4
        .value_kind:     by_value
      - .offset:         28
        .size:           4
        .value_kind:     by_value
      - .offset:         32
        .size:           4
        .value_kind:     by_value
      - .offset:         36
        .size:           4
        .value_kind:     by_value
      - .offset:         40
        .size:           12
        .value_kind:     by_value
      - .offset:         52
        .size:           12
        .value_kind:     by_value
      - .offset:         64
        .size:           12
        .value_kind:     by_value
    .group_segment_fixed_size: 0
    .kernarg_segment_align: 8
    .kernarg_segment_size: 76
    .language:       OpenCL C
    .language_version:
      - 2
      - 0
    .max_flat_workgroup_size: 128
    .name:           _ZL33flash_attn_stream_k_fixup_uniformILi128ELi16ELi2EEvPfPK15HIP_vector_typeIfLj2EEiiiiiiS1_IjLj3EES5_S5_
    .private_segment_fixed_size: 0
    .sgpr_count:     26
    .sgpr_spill_count: 0
    .symbol:         _ZL33flash_attn_stream_k_fixup_uniformILi128ELi16ELi2EEvPfPK15HIP_vector_typeIfLj2EEiiiiiiS1_IjLj3EES5_S5_.kd
    .uniform_work_group_size: 1
    .uses_dynamic_stack: false
    .vgpr_count:     15
    .vgpr_spill_count: 0
    .wavefront_size: 32
    .workgroup_processor_mode: 1
  - .args:
      - .address_space:  global
        .offset:         0
        .size:           8
        .value_kind:     global_buffer
      - .address_space:  global
        .offset:         8
        .size:           8
        .value_kind:     global_buffer
      - .offset:         16
        .size:           4
        .value_kind:     by_value
      - .offset:         20
        .size:           4
        .value_kind:     by_value
      - .offset:         24
        .size:           4
        .value_kind:     by_value
      - .offset:         28
        .size:           4
        .value_kind:     by_value
      - .offset:         32
        .size:           12
        .value_kind:     by_value
      - .offset:         44
        .size:           12
        .value_kind:     by_value
      - .offset:         56
        .size:           12
        .value_kind:     by_value
      - .offset:         68
        .size:           12
        .value_kind:     by_value
      - .offset:         80
        .size:           4
        .value_kind:     hidden_block_count_x
      - .offset:         84
        .size:           4
        .value_kind:     hidden_block_count_y
      - .offset:         88
        .size:           4
        .value_kind:     hidden_block_count_z
      - .offset:         92
        .size:           2
        .value_kind:     hidden_group_size_x
      - .offset:         94
        .size:           2
        .value_kind:     hidden_group_size_y
      - .offset:         96
        .size:           2
        .value_kind:     hidden_group_size_z
      - .offset:         98
        .size:           2
        .value_kind:     hidden_remainder_x
      - .offset:         100
        .size:           2
        .value_kind:     hidden_remainder_y
      - .offset:         102
        .size:           2
        .value_kind:     hidden_remainder_z
      - .offset:         120
        .size:           8
        .value_kind:     hidden_global_offset_x
      - .offset:         128
        .size:           8
        .value_kind:     hidden_global_offset_y
      - .offset:         136
        .size:           8
        .value_kind:     hidden_global_offset_z
      - .offset:         144
        .size:           2
        .value_kind:     hidden_grid_dims
    .group_segment_fixed_size: 0
    .kernarg_segment_align: 8
    .kernarg_segment_size: 336
    .language:       OpenCL C
    .language_version:
      - 2
      - 0
    .max_flat_workgroup_size: 128
    .name:           _ZL33flash_attn_stream_k_fixup_generalILi128ELi16ELi2EEvPfPK15HIP_vector_typeIfLj2EEiiiiS1_IjLj3EES5_S5_S5_
    .private_segment_fixed_size: 0
    .sgpr_count:     33
    .sgpr_spill_count: 0
    .symbol:         _ZL33flash_attn_stream_k_fixup_generalILi128ELi16ELi2EEvPfPK15HIP_vector_typeIfLj2EEiiiiS1_IjLj3EES5_S5_S5_.kd
    .uniform_work_group_size: 1
    .uses_dynamic_stack: false
    .vgpr_count:     17
    .vgpr_spill_count: 0
    .wavefront_size: 32
    .workgroup_processor_mode: 1
  - .args:
      - .address_space:  global
        .offset:         0
        .size:           8
        .value_kind:     global_buffer
      - .address_space:  global
        .offset:         8
        .size:           8
        .value_kind:     global_buffer
      - .address_space:  global
        .offset:         16
        .size:           8
        .value_kind:     global_buffer
      - .address_space:  global
        .offset:         24
        .size:           8
        .value_kind:     global_buffer
      - .address_space:  global
        .offset:         32
        .size:           8
        .value_kind:     global_buffer
      - .address_space:  global
        .offset:         40
        .size:           8
        .value_kind:     global_buffer
      - .address_space:  global
        .offset:         48
        .size:           8
        .value_kind:     global_buffer
      - .address_space:  global
        .offset:         56
        .size:           8
        .value_kind:     global_buffer
      - .offset:         64
        .size:           4
        .value_kind:     by_value
      - .offset:         68
        .size:           4
        .value_kind:     by_value
      - .offset:         72
        .size:           4
        .value_kind:     by_value
      - .offset:         76
        .size:           4
        .value_kind:     by_value
      - .offset:         80
        .size:           4
        .value_kind:     by_value
      - .offset:         84
        .size:           4
        .value_kind:     by_value
      - .offset:         88
        .size:           4
        .value_kind:     by_value
      - .offset:         92
        .size:           12
        .value_kind:     by_value
      - .offset:         104
        .size:           4
        .value_kind:     by_value
      - .offset:         108
        .size:           4
        .value_kind:     by_value
      - .offset:         112
        .size:           4
        .value_kind:     by_value
      - .offset:         116
        .size:           4
        .value_kind:     by_value
      - .offset:         120
        .size:           4
        .value_kind:     by_value
      - .offset:         124
        .size:           4
        .value_kind:     by_value
      - .offset:         128
        .size:           4
        .value_kind:     by_value
      - .offset:         132
        .size:           4
        .value_kind:     by_value
      - .offset:         136
        .size:           4
        .value_kind:     by_value
      - .offset:         140
        .size:           4
        .value_kind:     by_value
      - .offset:         144
        .size:           4
        .value_kind:     by_value
      - .offset:         152
        .size:           8
        .value_kind:     by_value
      - .offset:         160
        .size:           4
        .value_kind:     by_value
      - .offset:         164
        .size:           4
        .value_kind:     by_value
      - .offset:         168
        .size:           8
        .value_kind:     by_value
      - .offset:         176
        .size:           4
        .value_kind:     by_value
      - .offset:         180
        .size:           4
        .value_kind:     by_value
      - .offset:         184
        .size:           4
        .value_kind:     by_value
      - .offset:         188
        .size:           4
        .value_kind:     by_value
      - .offset:         192
        .size:           4
        .value_kind:     by_value
      - .offset:         200
        .size:           8
        .value_kind:     by_value
      - .offset:         208
        .size:           4
        .value_kind:     hidden_block_count_x
      - .offset:         212
        .size:           4
        .value_kind:     hidden_block_count_y
      - .offset:         216
        .size:           4
        .value_kind:     hidden_block_count_z
      - .offset:         220
        .size:           2
        .value_kind:     hidden_group_size_x
      - .offset:         222
        .size:           2
        .value_kind:     hidden_group_size_y
      - .offset:         224
        .size:           2
        .value_kind:     hidden_group_size_z
      - .offset:         226
        .size:           2
        .value_kind:     hidden_remainder_x
      - .offset:         228
        .size:           2
        .value_kind:     hidden_remainder_y
      - .offset:         230
        .size:           2
        .value_kind:     hidden_remainder_z
      - .offset:         248
        .size:           8
        .value_kind:     hidden_global_offset_x
      - .offset:         256
        .size:           8
        .value_kind:     hidden_global_offset_y
      - .offset:         264
        .size:           8
        .value_kind:     hidden_global_offset_z
      - .offset:         272
        .size:           2
        .value_kind:     hidden_grid_dims
    .group_segment_fixed_size: 43008
    .kernarg_segment_align: 8
    .kernarg_segment_size: 464
    .language:       OpenCL C
    .language_version:
      - 2
      - 0
    .max_flat_workgroup_size: 256
    .name:           _ZL15flash_attn_tileILi128ELi128ELi8ELi2ELb0EEvPKcS1_S1_S1_S1_PKiPfP15HIP_vector_typeIfLj2EEffffjfiS5_IjLj3EEiiiiiiiiiiiliiliiiiil
    .private_segment_fixed_size: 0
    .sgpr_count:     42
    .sgpr_spill_count: 0
    .symbol:         _ZL15flash_attn_tileILi128ELi128ELi8ELi2ELb0EEvPKcS1_S1_S1_S1_PKiPfP15HIP_vector_typeIfLj2EEffffjfiS5_IjLj3EEiiiiiiiiiiiliiliiiiil.kd
    .uniform_work_group_size: 1
    .uses_dynamic_stack: false
    .vgpr_count:     186
    .vgpr_spill_count: 0
    .wavefront_size: 32
    .workgroup_processor_mode: 1
  - .args:
      - .address_space:  global
        .offset:         0
        .size:           8
        .value_kind:     global_buffer
      - .address_space:  global
        .offset:         8
        .size:           8
        .value_kind:     global_buffer
      - .offset:         16
        .size:           4
        .value_kind:     by_value
      - .offset:         20
        .size:           4
        .value_kind:     by_value
      - .offset:         24
        .size:           4
        .value_kind:     by_value
      - .offset:         28
        .size:           4
        .value_kind:     by_value
      - .offset:         32
        .size:           4
        .value_kind:     by_value
      - .offset:         36
        .size:           4
        .value_kind:     by_value
      - .offset:         40
        .size:           12
        .value_kind:     by_value
      - .offset:         52
        .size:           12
        .value_kind:     by_value
      - .offset:         64
        .size:           12
        .value_kind:     by_value
    .group_segment_fixed_size: 0
    .kernarg_segment_align: 8
    .kernarg_segment_size: 76
    .language:       OpenCL C
    .language_version:
      - 2
      - 0
    .max_flat_workgroup_size: 128
    .name:           _ZL33flash_attn_stream_k_fixup_uniformILi128ELi8ELi2EEvPfPK15HIP_vector_typeIfLj2EEiiiiiiS1_IjLj3EES5_S5_
    .private_segment_fixed_size: 0
    .sgpr_count:     26
    .sgpr_spill_count: 0
    .symbol:         _ZL33flash_attn_stream_k_fixup_uniformILi128ELi8ELi2EEvPfPK15HIP_vector_typeIfLj2EEiiiiiiS1_IjLj3EES5_S5_.kd
    .uniform_work_group_size: 1
    .uses_dynamic_stack: false
    .vgpr_count:     15
    .vgpr_spill_count: 0
    .wavefront_size: 32
    .workgroup_processor_mode: 1
  - .args:
      - .address_space:  global
        .offset:         0
        .size:           8
        .value_kind:     global_buffer
      - .address_space:  global
        .offset:         8
        .size:           8
        .value_kind:     global_buffer
      - .offset:         16
        .size:           4
        .value_kind:     by_value
      - .offset:         20
        .size:           4
        .value_kind:     by_value
      - .offset:         24
        .size:           4
        .value_kind:     by_value
      - .offset:         28
        .size:           4
        .value_kind:     by_value
      - .offset:         32
        .size:           12
        .value_kind:     by_value
      - .offset:         44
        .size:           12
        .value_kind:     by_value
      - .offset:         56
        .size:           12
        .value_kind:     by_value
      - .offset:         68
        .size:           12
        .value_kind:     by_value
      - .offset:         80
        .size:           4
        .value_kind:     hidden_block_count_x
      - .offset:         84
        .size:           4
        .value_kind:     hidden_block_count_y
      - .offset:         88
        .size:           4
        .value_kind:     hidden_block_count_z
      - .offset:         92
        .size:           2
        .value_kind:     hidden_group_size_x
      - .offset:         94
        .size:           2
        .value_kind:     hidden_group_size_y
      - .offset:         96
        .size:           2
        .value_kind:     hidden_group_size_z
      - .offset:         98
        .size:           2
        .value_kind:     hidden_remainder_x
      - .offset:         100
        .size:           2
        .value_kind:     hidden_remainder_y
      - .offset:         102
        .size:           2
        .value_kind:     hidden_remainder_z
      - .offset:         120
        .size:           8
        .value_kind:     hidden_global_offset_x
      - .offset:         128
        .size:           8
        .value_kind:     hidden_global_offset_y
      - .offset:         136
        .size:           8
        .value_kind:     hidden_global_offset_z
      - .offset:         144
        .size:           2
        .value_kind:     hidden_grid_dims
    .group_segment_fixed_size: 0
    .kernarg_segment_align: 8
    .kernarg_segment_size: 336
    .language:       OpenCL C
    .language_version:
      - 2
      - 0
    .max_flat_workgroup_size: 128
    .name:           _ZL33flash_attn_stream_k_fixup_generalILi128ELi8ELi2EEvPfPK15HIP_vector_typeIfLj2EEiiiiS1_IjLj3EES5_S5_S5_
    .private_segment_fixed_size: 0
    .sgpr_count:     33
    .sgpr_spill_count: 0
    .symbol:         _ZL33flash_attn_stream_k_fixup_generalILi128ELi8ELi2EEvPfPK15HIP_vector_typeIfLj2EEiiiiS1_IjLj3EES5_S5_S5_.kd
    .uniform_work_group_size: 1
    .uses_dynamic_stack: false
    .vgpr_count:     17
    .vgpr_spill_count: 0
    .wavefront_size: 32
    .workgroup_processor_mode: 1
  - .args:
      - .address_space:  global
        .offset:         0
        .size:           8
        .value_kind:     global_buffer
      - .address_space:  global
        .offset:         8
        .size:           8
        .value_kind:     global_buffer
      - .address_space:  global
        .offset:         16
        .size:           8
        .value_kind:     global_buffer
      - .address_space:  global
        .offset:         24
        .size:           8
        .value_kind:     global_buffer
      - .address_space:  global
        .offset:         32
        .size:           8
        .value_kind:     global_buffer
      - .address_space:  global
        .offset:         40
        .size:           8
        .value_kind:     global_buffer
      - .address_space:  global
        .offset:         48
        .size:           8
        .value_kind:     global_buffer
      - .address_space:  global
        .offset:         56
        .size:           8
        .value_kind:     global_buffer
      - .offset:         64
        .size:           4
        .value_kind:     by_value
      - .offset:         68
        .size:           4
        .value_kind:     by_value
      - .offset:         72
        .size:           4
        .value_kind:     by_value
      - .offset:         76
        .size:           4
        .value_kind:     by_value
      - .offset:         80
        .size:           4
        .value_kind:     by_value
      - .offset:         84
        .size:           4
        .value_kind:     by_value
      - .offset:         88
        .size:           4
        .value_kind:     by_value
      - .offset:         92
        .size:           12
        .value_kind:     by_value
      - .offset:         104
        .size:           4
        .value_kind:     by_value
      - .offset:         108
        .size:           4
        .value_kind:     by_value
      - .offset:         112
        .size:           4
        .value_kind:     by_value
      - .offset:         116
        .size:           4
        .value_kind:     by_value
      - .offset:         120
        .size:           4
        .value_kind:     by_value
      - .offset:         124
        .size:           4
        .value_kind:     by_value
      - .offset:         128
        .size:           4
        .value_kind:     by_value
      - .offset:         132
        .size:           4
        .value_kind:     by_value
      - .offset:         136
        .size:           4
        .value_kind:     by_value
      - .offset:         140
        .size:           4
        .value_kind:     by_value
      - .offset:         144
        .size:           4
        .value_kind:     by_value
      - .offset:         152
        .size:           8
        .value_kind:     by_value
      - .offset:         160
        .size:           4
        .value_kind:     by_value
      - .offset:         164
        .size:           4
        .value_kind:     by_value
      - .offset:         168
        .size:           8
        .value_kind:     by_value
      - .offset:         176
        .size:           4
        .value_kind:     by_value
      - .offset:         180
        .size:           4
        .value_kind:     by_value
      - .offset:         184
        .size:           4
        .value_kind:     by_value
      - .offset:         188
        .size:           4
        .value_kind:     by_value
      - .offset:         192
        .size:           4
        .value_kind:     by_value
      - .offset:         200
        .size:           8
        .value_kind:     by_value
      - .offset:         208
        .size:           4
        .value_kind:     hidden_block_count_x
      - .offset:         212
        .size:           4
        .value_kind:     hidden_block_count_y
      - .offset:         216
        .size:           4
        .value_kind:     hidden_block_count_z
      - .offset:         220
        .size:           2
        .value_kind:     hidden_group_size_x
      - .offset:         222
        .size:           2
        .value_kind:     hidden_group_size_y
      - .offset:         224
        .size:           2
        .value_kind:     hidden_group_size_z
      - .offset:         226
        .size:           2
        .value_kind:     hidden_remainder_x
      - .offset:         228
        .size:           2
        .value_kind:     hidden_remainder_y
      - .offset:         230
        .size:           2
        .value_kind:     hidden_remainder_z
      - .offset:         248
        .size:           8
        .value_kind:     hidden_global_offset_x
      - .offset:         256
        .size:           8
        .value_kind:     hidden_global_offset_y
      - .offset:         264
        .size:           8
        .value_kind:     hidden_global_offset_z
      - .offset:         272
        .size:           2
        .value_kind:     hidden_grid_dims
    .group_segment_fixed_size: 12288
    .kernarg_segment_align: 8
    .kernarg_segment_size: 464
    .language:       OpenCL C
    .language_version:
      - 2
      - 0
    .max_flat_workgroup_size: 128
    .name:           _ZL15flash_attn_tileILi128ELi128ELi4ELi2ELb0EEvPKcS1_S1_S1_S1_PKiPfP15HIP_vector_typeIfLj2EEffffjfiS5_IjLj3EEiiiiiiiiiiiliiliiiiil
    .private_segment_fixed_size: 0
    .sgpr_count:     42
    .sgpr_spill_count: 0
    .symbol:         _ZL15flash_attn_tileILi128ELi128ELi4ELi2ELb0EEvPKcS1_S1_S1_S1_PKiPfP15HIP_vector_typeIfLj2EEffffjfiS5_IjLj3EEiiiiiiiiiiiliiliiiiil.kd
    .uniform_work_group_size: 1
    .uses_dynamic_stack: false
    .vgpr_count:     99
    .vgpr_spill_count: 0
    .wavefront_size: 32
    .workgroup_processor_mode: 1
  - .args:
      - .address_space:  global
        .offset:         0
        .size:           8
        .value_kind:     global_buffer
      - .address_space:  global
        .offset:         8
        .size:           8
        .value_kind:     global_buffer
      - .offset:         16
        .size:           4
        .value_kind:     by_value
      - .offset:         20
        .size:           4
        .value_kind:     by_value
      - .offset:         24
        .size:           4
        .value_kind:     by_value
      - .offset:         28
        .size:           4
        .value_kind:     by_value
      - .offset:         32
        .size:           4
        .value_kind:     by_value
      - .offset:         36
        .size:           4
        .value_kind:     by_value
      - .offset:         40
        .size:           12
        .value_kind:     by_value
      - .offset:         52
        .size:           12
        .value_kind:     by_value
      - .offset:         64
        .size:           12
        .value_kind:     by_value
    .group_segment_fixed_size: 0
    .kernarg_segment_align: 8
    .kernarg_segment_size: 76
    .language:       OpenCL C
    .language_version:
      - 2
      - 0
    .max_flat_workgroup_size: 128
    .name:           _ZL33flash_attn_stream_k_fixup_uniformILi128ELi4ELi2EEvPfPK15HIP_vector_typeIfLj2EEiiiiiiS1_IjLj3EES5_S5_
    .private_segment_fixed_size: 0
    .sgpr_count:     26
    .sgpr_spill_count: 0
    .symbol:         _ZL33flash_attn_stream_k_fixup_uniformILi128ELi4ELi2EEvPfPK15HIP_vector_typeIfLj2EEiiiiiiS1_IjLj3EES5_S5_.kd
    .uniform_work_group_size: 1
    .uses_dynamic_stack: false
    .vgpr_count:     15
    .vgpr_spill_count: 0
    .wavefront_size: 32
    .workgroup_processor_mode: 1
  - .args:
      - .address_space:  global
        .offset:         0
        .size:           8
        .value_kind:     global_buffer
      - .address_space:  global
        .offset:         8
        .size:           8
        .value_kind:     global_buffer
      - .offset:         16
        .size:           4
        .value_kind:     by_value
      - .offset:         20
        .size:           4
        .value_kind:     by_value
      - .offset:         24
        .size:           4
        .value_kind:     by_value
      - .offset:         28
        .size:           4
        .value_kind:     by_value
      - .offset:         32
        .size:           12
        .value_kind:     by_value
      - .offset:         44
        .size:           12
        .value_kind:     by_value
      - .offset:         56
        .size:           12
        .value_kind:     by_value
      - .offset:         68
        .size:           12
        .value_kind:     by_value
      - .offset:         80
        .size:           4
        .value_kind:     hidden_block_count_x
      - .offset:         84
        .size:           4
        .value_kind:     hidden_block_count_y
      - .offset:         88
        .size:           4
        .value_kind:     hidden_block_count_z
      - .offset:         92
        .size:           2
        .value_kind:     hidden_group_size_x
      - .offset:         94
        .size:           2
        .value_kind:     hidden_group_size_y
      - .offset:         96
        .size:           2
        .value_kind:     hidden_group_size_z
      - .offset:         98
        .size:           2
        .value_kind:     hidden_remainder_x
      - .offset:         100
        .size:           2
        .value_kind:     hidden_remainder_y
      - .offset:         102
        .size:           2
        .value_kind:     hidden_remainder_z
      - .offset:         120
        .size:           8
        .value_kind:     hidden_global_offset_x
      - .offset:         128
        .size:           8
        .value_kind:     hidden_global_offset_y
      - .offset:         136
        .size:           8
        .value_kind:     hidden_global_offset_z
      - .offset:         144
        .size:           2
        .value_kind:     hidden_grid_dims
    .group_segment_fixed_size: 0
    .kernarg_segment_align: 8
    .kernarg_segment_size: 336
    .language:       OpenCL C
    .language_version:
      - 2
      - 0
    .max_flat_workgroup_size: 128
    .name:           _ZL33flash_attn_stream_k_fixup_generalILi128ELi4ELi2EEvPfPK15HIP_vector_typeIfLj2EEiiiiS1_IjLj3EES5_S5_S5_
    .private_segment_fixed_size: 0
    .sgpr_count:     33
    .sgpr_spill_count: 0
    .symbol:         _ZL33flash_attn_stream_k_fixup_generalILi128ELi4ELi2EEvPfPK15HIP_vector_typeIfLj2EEiiiiS1_IjLj3EES5_S5_S5_.kd
    .uniform_work_group_size: 1
    .uses_dynamic_stack: false
    .vgpr_count:     17
    .vgpr_spill_count: 0
    .wavefront_size: 32
    .workgroup_processor_mode: 1
  - .args:
      - .address_space:  global
        .offset:         0
        .size:           8
        .value_kind:     global_buffer
      - .address_space:  global
        .offset:         8
        .size:           8
        .value_kind:     global_buffer
      - .address_space:  global
        .offset:         16
        .size:           8
        .value_kind:     global_buffer
      - .address_space:  global
        .offset:         24
        .size:           8
        .value_kind:     global_buffer
      - .address_space:  global
        .offset:         32
        .size:           8
        .value_kind:     global_buffer
      - .address_space:  global
        .offset:         40
        .size:           8
        .value_kind:     global_buffer
      - .address_space:  global
        .offset:         48
        .size:           8
        .value_kind:     global_buffer
      - .address_space:  global
        .offset:         56
        .size:           8
        .value_kind:     global_buffer
      - .offset:         64
        .size:           4
        .value_kind:     by_value
      - .offset:         68
        .size:           4
        .value_kind:     by_value
      - .offset:         72
        .size:           4
        .value_kind:     by_value
      - .offset:         76
        .size:           4
        .value_kind:     by_value
      - .offset:         80
        .size:           4
        .value_kind:     by_value
      - .offset:         84
        .size:           4
        .value_kind:     by_value
      - .offset:         88
        .size:           4
        .value_kind:     by_value
      - .offset:         92
        .size:           12
        .value_kind:     by_value
      - .offset:         104
        .size:           4
        .value_kind:     by_value
      - .offset:         108
        .size:           4
        .value_kind:     by_value
      - .offset:         112
        .size:           4
        .value_kind:     by_value
      - .offset:         116
        .size:           4
        .value_kind:     by_value
      - .offset:         120
        .size:           4
        .value_kind:     by_value
      - .offset:         124
        .size:           4
        .value_kind:     by_value
      - .offset:         128
        .size:           4
        .value_kind:     by_value
      - .offset:         132
        .size:           4
        .value_kind:     by_value
      - .offset:         136
        .size:           4
        .value_kind:     by_value
      - .offset:         140
        .size:           4
        .value_kind:     by_value
      - .offset:         144
        .size:           4
        .value_kind:     by_value
      - .offset:         152
        .size:           8
        .value_kind:     by_value
      - .offset:         160
        .size:           4
        .value_kind:     by_value
      - .offset:         164
        .size:           4
        .value_kind:     by_value
      - .offset:         168
        .size:           8
        .value_kind:     by_value
      - .offset:         176
        .size:           4
        .value_kind:     by_value
      - .offset:         180
        .size:           4
        .value_kind:     by_value
      - .offset:         184
        .size:           4
        .value_kind:     by_value
      - .offset:         188
        .size:           4
        .value_kind:     by_value
      - .offset:         192
        .size:           4
        .value_kind:     by_value
      - .offset:         200
        .size:           8
        .value_kind:     by_value
      - .offset:         208
        .size:           4
        .value_kind:     hidden_block_count_x
      - .offset:         212
        .size:           4
        .value_kind:     hidden_block_count_y
      - .offset:         216
        .size:           4
        .value_kind:     hidden_block_count_z
      - .offset:         220
        .size:           2
        .value_kind:     hidden_group_size_x
      - .offset:         222
        .size:           2
        .value_kind:     hidden_group_size_y
      - .offset:         224
        .size:           2
        .value_kind:     hidden_group_size_z
      - .offset:         226
        .size:           2
        .value_kind:     hidden_remainder_x
      - .offset:         228
        .size:           2
        .value_kind:     hidden_remainder_y
      - .offset:         230
        .size:           2
        .value_kind:     hidden_remainder_z
      - .offset:         248
        .size:           8
        .value_kind:     hidden_global_offset_x
      - .offset:         256
        .size:           8
        .value_kind:     hidden_global_offset_y
      - .offset:         264
        .size:           8
        .value_kind:     hidden_global_offset_z
      - .offset:         272
        .size:           2
        .value_kind:     hidden_grid_dims
    .group_segment_fixed_size: 10752
    .kernarg_segment_align: 8
    .kernarg_segment_size: 464
    .language:       OpenCL C
    .language_version:
      - 2
      - 0
    .max_flat_workgroup_size: 128
    .name:           _ZL15flash_attn_tileILi128ELi128ELi2ELi2ELb0EEvPKcS1_S1_S1_S1_PKiPfP15HIP_vector_typeIfLj2EEffffjfiS5_IjLj3EEiiiiiiiiiiiliiliiiiil
    .private_segment_fixed_size: 0
    .sgpr_count:     42
    .sgpr_spill_count: 0
    .symbol:         _ZL15flash_attn_tileILi128ELi128ELi2ELi2ELb0EEvPKcS1_S1_S1_S1_PKiPfP15HIP_vector_typeIfLj2EEffffjfiS5_IjLj3EEiiiiiiiiiiiliiliiiiil.kd
    .uniform_work_group_size: 1
    .uses_dynamic_stack: false
    .vgpr_count:     84
    .vgpr_spill_count: 0
    .wavefront_size: 32
    .workgroup_processor_mode: 1
  - .args:
      - .address_space:  global
        .offset:         0
        .size:           8
        .value_kind:     global_buffer
      - .address_space:  global
        .offset:         8
        .size:           8
        .value_kind:     global_buffer
      - .offset:         16
        .size:           4
        .value_kind:     by_value
      - .offset:         20
        .size:           4
        .value_kind:     by_value
      - .offset:         24
        .size:           4
        .value_kind:     by_value
      - .offset:         28
        .size:           4
        .value_kind:     by_value
      - .offset:         32
        .size:           4
        .value_kind:     by_value
      - .offset:         36
        .size:           4
        .value_kind:     by_value
      - .offset:         40
        .size:           12
        .value_kind:     by_value
      - .offset:         52
        .size:           12
        .value_kind:     by_value
      - .offset:         64
        .size:           12
        .value_kind:     by_value
    .group_segment_fixed_size: 0
    .kernarg_segment_align: 8
    .kernarg_segment_size: 76
    .language:       OpenCL C
    .language_version:
      - 2
      - 0
    .max_flat_workgroup_size: 128
    .name:           _ZL33flash_attn_stream_k_fixup_uniformILi128ELi2ELi2EEvPfPK15HIP_vector_typeIfLj2EEiiiiiiS1_IjLj3EES5_S5_
    .private_segment_fixed_size: 0
    .sgpr_count:     26
    .sgpr_spill_count: 0
    .symbol:         _ZL33flash_attn_stream_k_fixup_uniformILi128ELi2ELi2EEvPfPK15HIP_vector_typeIfLj2EEiiiiiiS1_IjLj3EES5_S5_.kd
    .uniform_work_group_size: 1
    .uses_dynamic_stack: false
    .vgpr_count:     15
    .vgpr_spill_count: 0
    .wavefront_size: 32
    .workgroup_processor_mode: 1
  - .args:
      - .address_space:  global
        .offset:         0
        .size:           8
        .value_kind:     global_buffer
      - .address_space:  global
        .offset:         8
        .size:           8
        .value_kind:     global_buffer
      - .offset:         16
        .size:           4
        .value_kind:     by_value
      - .offset:         20
        .size:           4
        .value_kind:     by_value
      - .offset:         24
        .size:           4
        .value_kind:     by_value
      - .offset:         28
        .size:           4
        .value_kind:     by_value
      - .offset:         32
        .size:           12
        .value_kind:     by_value
      - .offset:         44
        .size:           12
        .value_kind:     by_value
      - .offset:         56
        .size:           12
        .value_kind:     by_value
      - .offset:         68
        .size:           12
        .value_kind:     by_value
      - .offset:         80
        .size:           4
        .value_kind:     hidden_block_count_x
      - .offset:         84
        .size:           4
        .value_kind:     hidden_block_count_y
      - .offset:         88
        .size:           4
        .value_kind:     hidden_block_count_z
      - .offset:         92
        .size:           2
        .value_kind:     hidden_group_size_x
      - .offset:         94
        .size:           2
        .value_kind:     hidden_group_size_y
      - .offset:         96
        .size:           2
        .value_kind:     hidden_group_size_z
      - .offset:         98
        .size:           2
        .value_kind:     hidden_remainder_x
      - .offset:         100
        .size:           2
        .value_kind:     hidden_remainder_y
      - .offset:         102
        .size:           2
        .value_kind:     hidden_remainder_z
      - .offset:         120
        .size:           8
        .value_kind:     hidden_global_offset_x
      - .offset:         128
        .size:           8
        .value_kind:     hidden_global_offset_y
      - .offset:         136
        .size:           8
        .value_kind:     hidden_global_offset_z
      - .offset:         144
        .size:           2
        .value_kind:     hidden_grid_dims
    .group_segment_fixed_size: 0
    .kernarg_segment_align: 8
    .kernarg_segment_size: 336
    .language:       OpenCL C
    .language_version:
      - 2
      - 0
    .max_flat_workgroup_size: 128
    .name:           _ZL33flash_attn_stream_k_fixup_generalILi128ELi2ELi2EEvPfPK15HIP_vector_typeIfLj2EEiiiiS1_IjLj3EES5_S5_S5_
    .private_segment_fixed_size: 0
    .sgpr_count:     33
    .sgpr_spill_count: 0
    .symbol:         _ZL33flash_attn_stream_k_fixup_generalILi128ELi2ELi2EEvPfPK15HIP_vector_typeIfLj2EEiiiiS1_IjLj3EES5_S5_S5_.kd
    .uniform_work_group_size: 1
    .uses_dynamic_stack: false
    .vgpr_count:     17
    .vgpr_spill_count: 0
    .wavefront_size: 32
    .workgroup_processor_mode: 1
  - .args:
      - .address_space:  global
        .offset:         0
        .size:           8
        .value_kind:     global_buffer
      - .address_space:  global
        .offset:         8
        .size:           8
        .value_kind:     global_buffer
      - .address_space:  global
        .offset:         16
        .size:           8
        .value_kind:     global_buffer
      - .address_space:  global
        .offset:         24
        .size:           8
        .value_kind:     global_buffer
      - .address_space:  global
        .offset:         32
        .size:           8
        .value_kind:     global_buffer
      - .address_space:  global
        .offset:         40
        .size:           8
        .value_kind:     global_buffer
      - .address_space:  global
        .offset:         48
        .size:           8
        .value_kind:     global_buffer
      - .address_space:  global
        .offset:         56
        .size:           8
        .value_kind:     global_buffer
      - .offset:         64
        .size:           4
        .value_kind:     by_value
      - .offset:         68
        .size:           4
        .value_kind:     by_value
      - .offset:         72
        .size:           4
        .value_kind:     by_value
      - .offset:         76
        .size:           4
        .value_kind:     by_value
      - .offset:         80
        .size:           4
        .value_kind:     by_value
      - .offset:         84
        .size:           4
        .value_kind:     by_value
      - .offset:         88
        .size:           4
        .value_kind:     by_value
      - .offset:         92
        .size:           12
        .value_kind:     by_value
      - .offset:         104
        .size:           4
        .value_kind:     by_value
      - .offset:         108
        .size:           4
        .value_kind:     by_value
      - .offset:         112
        .size:           4
        .value_kind:     by_value
      - .offset:         116
        .size:           4
        .value_kind:     by_value
      - .offset:         120
        .size:           4
        .value_kind:     by_value
      - .offset:         124
        .size:           4
        .value_kind:     by_value
      - .offset:         128
        .size:           4
        .value_kind:     by_value
      - .offset:         132
        .size:           4
        .value_kind:     by_value
      - .offset:         136
        .size:           4
        .value_kind:     by_value
      - .offset:         140
        .size:           4
        .value_kind:     by_value
      - .offset:         144
        .size:           4
        .value_kind:     by_value
      - .offset:         152
        .size:           8
        .value_kind:     by_value
      - .offset:         160
        .size:           4
        .value_kind:     by_value
      - .offset:         164
        .size:           4
        .value_kind:     by_value
      - .offset:         168
        .size:           8
        .value_kind:     by_value
      - .offset:         176
        .size:           4
        .value_kind:     by_value
      - .offset:         180
        .size:           4
        .value_kind:     by_value
      - .offset:         184
        .size:           4
        .value_kind:     by_value
      - .offset:         188
        .size:           4
        .value_kind:     by_value
      - .offset:         192
        .size:           4
        .value_kind:     by_value
      - .offset:         200
        .size:           8
        .value_kind:     by_value
      - .offset:         208
        .size:           4
        .value_kind:     hidden_block_count_x
      - .offset:         212
        .size:           4
        .value_kind:     hidden_block_count_y
      - .offset:         216
        .size:           4
        .value_kind:     hidden_block_count_z
      - .offset:         220
        .size:           2
        .value_kind:     hidden_group_size_x
      - .offset:         222
        .size:           2
        .value_kind:     hidden_group_size_y
      - .offset:         224
        .size:           2
        .value_kind:     hidden_group_size_z
      - .offset:         226
        .size:           2
        .value_kind:     hidden_remainder_x
      - .offset:         228
        .size:           2
        .value_kind:     hidden_remainder_y
      - .offset:         230
        .size:           2
        .value_kind:     hidden_remainder_z
      - .offset:         248
        .size:           8
        .value_kind:     hidden_global_offset_x
      - .offset:         256
        .size:           8
        .value_kind:     hidden_global_offset_y
      - .offset:         264
        .size:           8
        .value_kind:     hidden_global_offset_z
      - .offset:         272
        .size:           2
        .value_kind:     hidden_grid_dims
    .group_segment_fixed_size: 5248
    .kernarg_segment_align: 8
    .kernarg_segment_size: 464
    .language:       OpenCL C
    .language_version:
      - 2
      - 0
    .max_flat_workgroup_size: 64
    .name:           _ZL15flash_attn_tileILi128ELi128ELi1ELi2ELb0EEvPKcS1_S1_S1_S1_PKiPfP15HIP_vector_typeIfLj2EEffffjfiS5_IjLj3EEiiiiiiiiiiiliiliiiiil
    .private_segment_fixed_size: 0
    .sgpr_count:     43
    .sgpr_spill_count: 0
    .symbol:         _ZL15flash_attn_tileILi128ELi128ELi1ELi2ELb0EEvPKcS1_S1_S1_S1_PKiPfP15HIP_vector_typeIfLj2EEffffjfiS5_IjLj3EEiiiiiiiiiiiliiliiiiil.kd
    .uniform_work_group_size: 1
    .uses_dynamic_stack: false
    .vgpr_count:     86
    .vgpr_spill_count: 0
    .wavefront_size: 32
    .workgroup_processor_mode: 1
  - .args:
      - .address_space:  global
        .offset:         0
        .size:           8
        .value_kind:     global_buffer
      - .address_space:  global
        .offset:         8
        .size:           8
        .value_kind:     global_buffer
      - .offset:         16
        .size:           4
        .value_kind:     by_value
      - .offset:         20
        .size:           4
        .value_kind:     by_value
      - .offset:         24
        .size:           4
        .value_kind:     by_value
      - .offset:         28
        .size:           4
        .value_kind:     by_value
      - .offset:         32
        .size:           4
        .value_kind:     by_value
      - .offset:         36
        .size:           4
        .value_kind:     by_value
      - .offset:         40
        .size:           12
        .value_kind:     by_value
      - .offset:         52
        .size:           12
        .value_kind:     by_value
      - .offset:         64
        .size:           12
        .value_kind:     by_value
    .group_segment_fixed_size: 0
    .kernarg_segment_align: 8
    .kernarg_segment_size: 76
    .language:       OpenCL C
    .language_version:
      - 2
      - 0
    .max_flat_workgroup_size: 128
    .name:           _ZL33flash_attn_stream_k_fixup_uniformILi128ELi1ELi2EEvPfPK15HIP_vector_typeIfLj2EEiiiiiiS1_IjLj3EES5_S5_
    .private_segment_fixed_size: 0
    .sgpr_count:     22
    .sgpr_spill_count: 0
    .symbol:         _ZL33flash_attn_stream_k_fixup_uniformILi128ELi1ELi2EEvPfPK15HIP_vector_typeIfLj2EEiiiiiiS1_IjLj3EES5_S5_.kd
    .uniform_work_group_size: 1
    .uses_dynamic_stack: false
    .vgpr_count:     15
    .vgpr_spill_count: 0
    .wavefront_size: 32
    .workgroup_processor_mode: 1
  - .args:
      - .address_space:  global
        .offset:         0
        .size:           8
        .value_kind:     global_buffer
      - .address_space:  global
        .offset:         8
        .size:           8
        .value_kind:     global_buffer
      - .offset:         16
        .size:           4
        .value_kind:     by_value
      - .offset:         20
        .size:           4
        .value_kind:     by_value
      - .offset:         24
        .size:           4
        .value_kind:     by_value
      - .offset:         28
        .size:           4
        .value_kind:     by_value
      - .offset:         32
        .size:           12
        .value_kind:     by_value
      - .offset:         44
        .size:           12
        .value_kind:     by_value
      - .offset:         56
        .size:           12
        .value_kind:     by_value
      - .offset:         68
        .size:           12
        .value_kind:     by_value
      - .offset:         80
        .size:           4
        .value_kind:     hidden_block_count_x
      - .offset:         84
        .size:           4
        .value_kind:     hidden_block_count_y
      - .offset:         88
        .size:           4
        .value_kind:     hidden_block_count_z
      - .offset:         92
        .size:           2
        .value_kind:     hidden_group_size_x
      - .offset:         94
        .size:           2
        .value_kind:     hidden_group_size_y
      - .offset:         96
        .size:           2
        .value_kind:     hidden_group_size_z
      - .offset:         98
        .size:           2
        .value_kind:     hidden_remainder_x
      - .offset:         100
        .size:           2
        .value_kind:     hidden_remainder_y
      - .offset:         102
        .size:           2
        .value_kind:     hidden_remainder_z
      - .offset:         120
        .size:           8
        .value_kind:     hidden_global_offset_x
      - .offset:         128
        .size:           8
        .value_kind:     hidden_global_offset_y
      - .offset:         136
        .size:           8
        .value_kind:     hidden_global_offset_z
      - .offset:         144
        .size:           2
        .value_kind:     hidden_grid_dims
    .group_segment_fixed_size: 0
    .kernarg_segment_align: 8
    .kernarg_segment_size: 336
    .language:       OpenCL C
    .language_version:
      - 2
      - 0
    .max_flat_workgroup_size: 128
    .name:           _ZL33flash_attn_stream_k_fixup_generalILi128ELi1ELi2EEvPfPK15HIP_vector_typeIfLj2EEiiiiS1_IjLj3EES5_S5_S5_
    .private_segment_fixed_size: 0
    .sgpr_count:     34
    .sgpr_spill_count: 0
    .symbol:         _ZL33flash_attn_stream_k_fixup_generalILi128ELi1ELi2EEvPfPK15HIP_vector_typeIfLj2EEiiiiS1_IjLj3EES5_S5_S5_.kd
    .uniform_work_group_size: 1
    .uses_dynamic_stack: false
    .vgpr_count:     17
    .vgpr_spill_count: 0
    .wavefront_size: 32
    .workgroup_processor_mode: 1
  - .args:
      - .address_space:  global
        .offset:         0
        .size:           8
        .value_kind:     global_buffer
      - .address_space:  global
        .offset:         8
        .size:           8
        .value_kind:     global_buffer
      - .address_space:  global
        .offset:         16
        .size:           8
        .value_kind:     global_buffer
      - .address_space:  global
        .offset:         24
        .size:           8
        .value_kind:     global_buffer
      - .address_space:  global
        .offset:         32
        .size:           8
        .value_kind:     global_buffer
      - .address_space:  global
        .offset:         40
        .size:           8
        .value_kind:     global_buffer
      - .address_space:  global
        .offset:         48
        .size:           8
        .value_kind:     global_buffer
      - .address_space:  global
        .offset:         56
        .size:           8
        .value_kind:     global_buffer
      - .offset:         64
        .size:           4
        .value_kind:     by_value
      - .offset:         68
        .size:           4
        .value_kind:     by_value
      - .offset:         72
        .size:           4
        .value_kind:     by_value
      - .offset:         76
        .size:           4
        .value_kind:     by_value
      - .offset:         80
        .size:           4
        .value_kind:     by_value
      - .offset:         84
        .size:           4
        .value_kind:     by_value
      - .offset:         88
        .size:           4
        .value_kind:     by_value
      - .offset:         92
        .size:           12
        .value_kind:     by_value
      - .offset:         104
        .size:           4
        .value_kind:     by_value
      - .offset:         108
        .size:           4
        .value_kind:     by_value
      - .offset:         112
        .size:           4
        .value_kind:     by_value
      - .offset:         116
        .size:           4
        .value_kind:     by_value
      - .offset:         120
        .size:           4
        .value_kind:     by_value
      - .offset:         124
        .size:           4
        .value_kind:     by_value
      - .offset:         128
        .size:           4
        .value_kind:     by_value
      - .offset:         132
        .size:           4
        .value_kind:     by_value
      - .offset:         136
        .size:           4
        .value_kind:     by_value
      - .offset:         140
        .size:           4
        .value_kind:     by_value
      - .offset:         144
        .size:           4
        .value_kind:     by_value
      - .offset:         152
        .size:           8
        .value_kind:     by_value
      - .offset:         160
        .size:           4
        .value_kind:     by_value
      - .offset:         164
        .size:           4
        .value_kind:     by_value
      - .offset:         168
        .size:           8
        .value_kind:     by_value
      - .offset:         176
        .size:           4
        .value_kind:     by_value
      - .offset:         180
        .size:           4
        .value_kind:     by_value
      - .offset:         184
        .size:           4
        .value_kind:     by_value
      - .offset:         188
        .size:           4
        .value_kind:     by_value
      - .offset:         192
        .size:           4
        .value_kind:     by_value
      - .offset:         200
        .size:           8
        .value_kind:     by_value
      - .offset:         208
        .size:           4
        .value_kind:     hidden_block_count_x
      - .offset:         212
        .size:           4
        .value_kind:     hidden_block_count_y
      - .offset:         216
        .size:           4
        .value_kind:     hidden_block_count_z
      - .offset:         220
        .size:           2
        .value_kind:     hidden_group_size_x
      - .offset:         222
        .size:           2
        .value_kind:     hidden_group_size_y
      - .offset:         224
        .size:           2
        .value_kind:     hidden_group_size_z
      - .offset:         226
        .size:           2
        .value_kind:     hidden_remainder_x
      - .offset:         228
        .size:           2
        .value_kind:     hidden_remainder_y
      - .offset:         230
        .size:           2
        .value_kind:     hidden_remainder_z
      - .offset:         248
        .size:           8
        .value_kind:     hidden_global_offset_x
      - .offset:         256
        .size:           8
        .value_kind:     hidden_global_offset_y
      - .offset:         264
        .size:           8
        .value_kind:     hidden_global_offset_z
      - .offset:         272
        .size:           2
        .value_kind:     hidden_grid_dims
    .group_segment_fixed_size: 33792
    .kernarg_segment_align: 8
    .kernarg_segment_size: 464
    .language:       OpenCL C
    .language_version:
      - 2
      - 0
    .max_flat_workgroup_size: 256
    .name:           _ZL15flash_attn_tileILi128ELi128ELi64ELi1ELb0EEvPKcS1_S1_S1_S1_PKiPfP15HIP_vector_typeIfLj2EEffffjfiS5_IjLj3EEiiiiiiiiiiiliiliiiiil
    .private_segment_fixed_size: 32
    .sgpr_count:     54
    .sgpr_spill_count: 0
    .symbol:         _ZL15flash_attn_tileILi128ELi128ELi64ELi1ELb0EEvPKcS1_S1_S1_S1_PKiPfP15HIP_vector_typeIfLj2EEffffjfiS5_IjLj3EEiiiiiiiiiiiliiliiiiil.kd
    .uniform_work_group_size: 1
    .uses_dynamic_stack: false
    .vgpr_count:     156
    .vgpr_spill_count: 0
    .wavefront_size: 32
    .workgroup_processor_mode: 1
  - .args:
      - .actual_access:  read_only
        .address_space:  global
        .offset:         0
        .size:           8
        .value_kind:     global_buffer
      - .actual_access:  write_only
        .address_space:  global
        .offset:         8
        .size:           8
        .value_kind:     global_buffer
      - .offset:         16
        .size:           4
        .value_kind:     by_value
      - .offset:         20
        .size:           4
        .value_kind:     by_value
      - .offset:         24
        .size:           4
        .value_kind:     by_value
      - .offset:         32
        .size:           4
        .value_kind:     hidden_block_count_x
      - .offset:         36
        .size:           4
        .value_kind:     hidden_block_count_y
      - .offset:         40
        .size:           4
        .value_kind:     hidden_block_count_z
      - .offset:         44
        .size:           2
        .value_kind:     hidden_group_size_x
      - .offset:         46
        .size:           2
        .value_kind:     hidden_group_size_y
      - .offset:         48
        .size:           2
        .value_kind:     hidden_group_size_z
      - .offset:         50
        .size:           2
        .value_kind:     hidden_remainder_x
      - .offset:         52
        .size:           2
        .value_kind:     hidden_remainder_y
      - .offset:         54
        .size:           2
        .value_kind:     hidden_remainder_z
      - .offset:         72
        .size:           8
        .value_kind:     hidden_global_offset_x
      - .offset:         80
        .size:           8
        .value_kind:     hidden_global_offset_y
      - .offset:         88
        .size:           8
        .value_kind:     hidden_global_offset_z
      - .offset:         96
        .size:           2
        .value_kind:     hidden_grid_dims
    .group_segment_fixed_size: 128
    .kernarg_segment_align: 8
    .kernarg_segment_size: 288
    .language:       OpenCL C
    .language_version:
      - 2
      - 0
    .max_flat_workgroup_size: 128
    .name:           _ZL25flash_attn_mask_to_KV_maxILi64EEvPK7__half2Piiii
    .private_segment_fixed_size: 0
    .sgpr_count:     107
    .sgpr_spill_count: 37
    .symbol:         _ZL25flash_attn_mask_to_KV_maxILi64EEvPK7__half2Piiii.kd
    .uniform_work_group_size: 1
    .uses_dynamic_stack: false
    .vgpr_count:     12
    .vgpr_spill_count: 0
    .wavefront_size: 32
    .workgroup_processor_mode: 1
  - .args:
      - .address_space:  global
        .offset:         0
        .size:           8
        .value_kind:     global_buffer
      - .address_space:  global
        .offset:         8
        .size:           8
        .value_kind:     global_buffer
      - .offset:         16
        .size:           4
        .value_kind:     by_value
      - .offset:         20
        .size:           4
        .value_kind:     by_value
      - .offset:         24
        .size:           4
        .value_kind:     by_value
      - .offset:         28
        .size:           4
        .value_kind:     by_value
      - .offset:         32
        .size:           4
        .value_kind:     by_value
      - .offset:         36
        .size:           4
        .value_kind:     by_value
      - .offset:         40
        .size:           12
        .value_kind:     by_value
      - .offset:         52
        .size:           12
        .value_kind:     by_value
      - .offset:         64
        .size:           12
        .value_kind:     by_value
    .group_segment_fixed_size: 0
    .kernarg_segment_align: 8
    .kernarg_segment_size: 76
    .language:       OpenCL C
    .language_version:
      - 2
      - 0
    .max_flat_workgroup_size: 128
    .name:           _ZL33flash_attn_stream_k_fixup_uniformILi128ELi64ELi1EEvPfPK15HIP_vector_typeIfLj2EEiiiiiiS1_IjLj3EES5_S5_
    .private_segment_fixed_size: 0
    .sgpr_count:     26
    .sgpr_spill_count: 0
    .symbol:         _ZL33flash_attn_stream_k_fixup_uniformILi128ELi64ELi1EEvPfPK15HIP_vector_typeIfLj2EEiiiiiiS1_IjLj3EES5_S5_.kd
    .uniform_work_group_size: 1
    .uses_dynamic_stack: false
    .vgpr_count:     15
    .vgpr_spill_count: 0
    .wavefront_size: 32
    .workgroup_processor_mode: 1
  - .args:
      - .address_space:  global
        .offset:         0
        .size:           8
        .value_kind:     global_buffer
      - .address_space:  global
        .offset:         8
        .size:           8
        .value_kind:     global_buffer
      - .offset:         16
        .size:           4
        .value_kind:     by_value
      - .offset:         20
        .size:           4
        .value_kind:     by_value
      - .offset:         24
        .size:           4
        .value_kind:     by_value
      - .offset:         28
        .size:           4
        .value_kind:     by_value
      - .offset:         32
        .size:           12
        .value_kind:     by_value
      - .offset:         44
        .size:           12
        .value_kind:     by_value
      - .offset:         56
        .size:           12
        .value_kind:     by_value
      - .offset:         68
        .size:           12
        .value_kind:     by_value
      - .offset:         80
        .size:           4
        .value_kind:     hidden_block_count_x
      - .offset:         84
        .size:           4
        .value_kind:     hidden_block_count_y
      - .offset:         88
        .size:           4
        .value_kind:     hidden_block_count_z
      - .offset:         92
        .size:           2
        .value_kind:     hidden_group_size_x
      - .offset:         94
        .size:           2
        .value_kind:     hidden_group_size_y
      - .offset:         96
        .size:           2
        .value_kind:     hidden_group_size_z
      - .offset:         98
        .size:           2
        .value_kind:     hidden_remainder_x
      - .offset:         100
        .size:           2
        .value_kind:     hidden_remainder_y
      - .offset:         102
        .size:           2
        .value_kind:     hidden_remainder_z
      - .offset:         120
        .size:           8
        .value_kind:     hidden_global_offset_x
      - .offset:         128
        .size:           8
        .value_kind:     hidden_global_offset_y
      - .offset:         136
        .size:           8
        .value_kind:     hidden_global_offset_z
      - .offset:         144
        .size:           2
        .value_kind:     hidden_grid_dims
    .group_segment_fixed_size: 0
    .kernarg_segment_align: 8
    .kernarg_segment_size: 336
    .language:       OpenCL C
    .language_version:
      - 2
      - 0
    .max_flat_workgroup_size: 128
    .name:           _ZL33flash_attn_stream_k_fixup_generalILi128ELi64ELi1EEvPfPK15HIP_vector_typeIfLj2EEiiiiS1_IjLj3EES5_S5_S5_
    .private_segment_fixed_size: 0
    .sgpr_count:     33
    .sgpr_spill_count: 0
    .symbol:         _ZL33flash_attn_stream_k_fixup_generalILi128ELi64ELi1EEvPfPK15HIP_vector_typeIfLj2EEiiiiS1_IjLj3EES5_S5_S5_.kd
    .uniform_work_group_size: 1
    .uses_dynamic_stack: false
    .vgpr_count:     17
    .vgpr_spill_count: 0
    .wavefront_size: 32
    .workgroup_processor_mode: 1
  - .args:
      - .address_space:  global
        .offset:         0
        .size:           8
        .value_kind:     global_buffer
      - .address_space:  global
        .offset:         8
        .size:           8
        .value_kind:     global_buffer
      - .address_space:  global
        .offset:         16
        .size:           8
        .value_kind:     global_buffer
      - .address_space:  global
        .offset:         24
        .size:           8
        .value_kind:     global_buffer
      - .address_space:  global
        .offset:         32
        .size:           8
        .value_kind:     global_buffer
      - .address_space:  global
        .offset:         40
        .size:           8
        .value_kind:     global_buffer
      - .address_space:  global
        .offset:         48
        .size:           8
        .value_kind:     global_buffer
      - .address_space:  global
        .offset:         56
        .size:           8
        .value_kind:     global_buffer
      - .offset:         64
        .size:           4
        .value_kind:     by_value
      - .offset:         68
        .size:           4
        .value_kind:     by_value
      - .offset:         72
        .size:           4
        .value_kind:     by_value
      - .offset:         76
        .size:           4
        .value_kind:     by_value
      - .offset:         80
        .size:           4
        .value_kind:     by_value
      - .offset:         84
        .size:           4
        .value_kind:     by_value
      - .offset:         88
        .size:           4
        .value_kind:     by_value
      - .offset:         92
        .size:           12
        .value_kind:     by_value
      - .offset:         104
        .size:           4
        .value_kind:     by_value
      - .offset:         108
        .size:           4
        .value_kind:     by_value
      - .offset:         112
        .size:           4
        .value_kind:     by_value
      - .offset:         116
        .size:           4
        .value_kind:     by_value
      - .offset:         120
        .size:           4
        .value_kind:     by_value
      - .offset:         124
        .size:           4
        .value_kind:     by_value
      - .offset:         128
        .size:           4
        .value_kind:     by_value
      - .offset:         132
        .size:           4
        .value_kind:     by_value
      - .offset:         136
        .size:           4
        .value_kind:     by_value
      - .offset:         140
        .size:           4
        .value_kind:     by_value
      - .offset:         144
        .size:           4
        .value_kind:     by_value
      - .offset:         152
        .size:           8
        .value_kind:     by_value
      - .offset:         160
        .size:           4
        .value_kind:     by_value
      - .offset:         164
        .size:           4
        .value_kind:     by_value
      - .offset:         168
        .size:           8
        .value_kind:     by_value
      - .offset:         176
        .size:           4
        .value_kind:     by_value
      - .offset:         180
        .size:           4
        .value_kind:     by_value
      - .offset:         184
        .size:           4
        .value_kind:     by_value
      - .offset:         188
        .size:           4
        .value_kind:     by_value
      - .offset:         192
        .size:           4
        .value_kind:     by_value
      - .offset:         200
        .size:           8
        .value_kind:     by_value
      - .offset:         208
        .size:           4
        .value_kind:     hidden_block_count_x
      - .offset:         212
        .size:           4
        .value_kind:     hidden_block_count_y
      - .offset:         216
        .size:           4
        .value_kind:     hidden_block_count_z
      - .offset:         220
        .size:           2
        .value_kind:     hidden_group_size_x
      - .offset:         222
        .size:           2
        .value_kind:     hidden_group_size_y
      - .offset:         224
        .size:           2
        .value_kind:     hidden_group_size_z
      - .offset:         226
        .size:           2
        .value_kind:     hidden_remainder_x
      - .offset:         228
        .size:           2
        .value_kind:     hidden_remainder_y
      - .offset:         230
        .size:           2
        .value_kind:     hidden_remainder_z
      - .offset:         248
        .size:           8
        .value_kind:     hidden_global_offset_x
      - .offset:         256
        .size:           8
        .value_kind:     hidden_global_offset_y
      - .offset:         264
        .size:           8
        .value_kind:     hidden_global_offset_z
      - .offset:         272
        .size:           2
        .value_kind:     hidden_grid_dims
    .group_segment_fixed_size: 34816
    .kernarg_segment_align: 8
    .kernarg_segment_size: 464
    .language:       OpenCL C
    .language_version:
      - 2
      - 0
    .max_flat_workgroup_size: 256
    .name:           _ZL15flash_attn_tileILi128ELi128ELi32ELi1ELb0EEvPKcS1_S1_S1_S1_PKiPfP15HIP_vector_typeIfLj2EEffffjfiS5_IjLj3EEiiiiiiiiiiiliiliiiiil
    .private_segment_fixed_size: 32
    .sgpr_count:     54
    .sgpr_spill_count: 0
    .symbol:         _ZL15flash_attn_tileILi128ELi128ELi32ELi1ELb0EEvPKcS1_S1_S1_S1_PKiPfP15HIP_vector_typeIfLj2EEffffjfiS5_IjLj3EEiiiiiiiiiiiliiliiiiil.kd
    .uniform_work_group_size: 1
    .uses_dynamic_stack: false
    .vgpr_count:     130
    .vgpr_spill_count: 0
    .wavefront_size: 32
    .workgroup_processor_mode: 1
  - .args:
      - .address_space:  global
        .offset:         0
        .size:           8
        .value_kind:     global_buffer
      - .address_space:  global
        .offset:         8
        .size:           8
        .value_kind:     global_buffer
      - .offset:         16
        .size:           4
        .value_kind:     by_value
      - .offset:         20
        .size:           4
        .value_kind:     by_value
      - .offset:         24
        .size:           4
        .value_kind:     by_value
      - .offset:         28
        .size:           4
        .value_kind:     by_value
      - .offset:         32
        .size:           4
        .value_kind:     by_value
      - .offset:         36
        .size:           4
        .value_kind:     by_value
      - .offset:         40
        .size:           12
        .value_kind:     by_value
      - .offset:         52
        .size:           12
        .value_kind:     by_value
      - .offset:         64
        .size:           12
        .value_kind:     by_value
    .group_segment_fixed_size: 0
    .kernarg_segment_align: 8
    .kernarg_segment_size: 76
    .language:       OpenCL C
    .language_version:
      - 2
      - 0
    .max_flat_workgroup_size: 128
    .name:           _ZL33flash_attn_stream_k_fixup_uniformILi128ELi32ELi1EEvPfPK15HIP_vector_typeIfLj2EEiiiiiiS1_IjLj3EES5_S5_
    .private_segment_fixed_size: 0
    .sgpr_count:     26
    .sgpr_spill_count: 0
    .symbol:         _ZL33flash_attn_stream_k_fixup_uniformILi128ELi32ELi1EEvPfPK15HIP_vector_typeIfLj2EEiiiiiiS1_IjLj3EES5_S5_.kd
    .uniform_work_group_size: 1
    .uses_dynamic_stack: false
    .vgpr_count:     15
    .vgpr_spill_count: 0
    .wavefront_size: 32
    .workgroup_processor_mode: 1
  - .args:
      - .address_space:  global
        .offset:         0
        .size:           8
        .value_kind:     global_buffer
      - .address_space:  global
        .offset:         8
        .size:           8
        .value_kind:     global_buffer
      - .offset:         16
        .size:           4
        .value_kind:     by_value
      - .offset:         20
        .size:           4
        .value_kind:     by_value
      - .offset:         24
        .size:           4
        .value_kind:     by_value
      - .offset:         28
        .size:           4
        .value_kind:     by_value
      - .offset:         32
        .size:           12
        .value_kind:     by_value
      - .offset:         44
        .size:           12
        .value_kind:     by_value
      - .offset:         56
        .size:           12
        .value_kind:     by_value
      - .offset:         68
        .size:           12
        .value_kind:     by_value
      - .offset:         80
        .size:           4
        .value_kind:     hidden_block_count_x
      - .offset:         84
        .size:           4
        .value_kind:     hidden_block_count_y
      - .offset:         88
        .size:           4
        .value_kind:     hidden_block_count_z
      - .offset:         92
        .size:           2
        .value_kind:     hidden_group_size_x
      - .offset:         94
        .size:           2
        .value_kind:     hidden_group_size_y
      - .offset:         96
        .size:           2
        .value_kind:     hidden_group_size_z
      - .offset:         98
        .size:           2
        .value_kind:     hidden_remainder_x
      - .offset:         100
        .size:           2
        .value_kind:     hidden_remainder_y
      - .offset:         102
        .size:           2
        .value_kind:     hidden_remainder_z
      - .offset:         120
        .size:           8
        .value_kind:     hidden_global_offset_x
      - .offset:         128
        .size:           8
        .value_kind:     hidden_global_offset_y
      - .offset:         136
        .size:           8
        .value_kind:     hidden_global_offset_z
      - .offset:         144
        .size:           2
        .value_kind:     hidden_grid_dims
    .group_segment_fixed_size: 0
    .kernarg_segment_align: 8
    .kernarg_segment_size: 336
    .language:       OpenCL C
    .language_version:
      - 2
      - 0
    .max_flat_workgroup_size: 128
    .name:           _ZL33flash_attn_stream_k_fixup_generalILi128ELi32ELi1EEvPfPK15HIP_vector_typeIfLj2EEiiiiS1_IjLj3EES5_S5_S5_
    .private_segment_fixed_size: 0
    .sgpr_count:     33
    .sgpr_spill_count: 0
    .symbol:         _ZL33flash_attn_stream_k_fixup_generalILi128ELi32ELi1EEvPfPK15HIP_vector_typeIfLj2EEiiiiS1_IjLj3EES5_S5_S5_.kd
    .uniform_work_group_size: 1
    .uses_dynamic_stack: false
    .vgpr_count:     17
    .vgpr_spill_count: 0
    .wavefront_size: 32
    .workgroup_processor_mode: 1
  - .args:
      - .address_space:  global
        .offset:         0
        .size:           8
        .value_kind:     global_buffer
      - .address_space:  global
        .offset:         8
        .size:           8
        .value_kind:     global_buffer
      - .address_space:  global
        .offset:         16
        .size:           8
        .value_kind:     global_buffer
      - .address_space:  global
        .offset:         24
        .size:           8
        .value_kind:     global_buffer
      - .address_space:  global
        .offset:         32
        .size:           8
        .value_kind:     global_buffer
      - .address_space:  global
        .offset:         40
        .size:           8
        .value_kind:     global_buffer
      - .address_space:  global
        .offset:         48
        .size:           8
        .value_kind:     global_buffer
      - .address_space:  global
        .offset:         56
        .size:           8
        .value_kind:     global_buffer
      - .offset:         64
        .size:           4
        .value_kind:     by_value
      - .offset:         68
        .size:           4
        .value_kind:     by_value
      - .offset:         72
        .size:           4
        .value_kind:     by_value
      - .offset:         76
        .size:           4
        .value_kind:     by_value
      - .offset:         80
        .size:           4
        .value_kind:     by_value
      - .offset:         84
        .size:           4
        .value_kind:     by_value
      - .offset:         88
        .size:           4
        .value_kind:     by_value
      - .offset:         92
        .size:           12
        .value_kind:     by_value
      - .offset:         104
        .size:           4
        .value_kind:     by_value
      - .offset:         108
        .size:           4
        .value_kind:     by_value
      - .offset:         112
        .size:           4
        .value_kind:     by_value
      - .offset:         116
        .size:           4
        .value_kind:     by_value
      - .offset:         120
        .size:           4
        .value_kind:     by_value
      - .offset:         124
        .size:           4
        .value_kind:     by_value
      - .offset:         128
        .size:           4
        .value_kind:     by_value
      - .offset:         132
        .size:           4
        .value_kind:     by_value
      - .offset:         136
        .size:           4
        .value_kind:     by_value
      - .offset:         140
        .size:           4
        .value_kind:     by_value
      - .offset:         144
        .size:           4
        .value_kind:     by_value
      - .offset:         152
        .size:           8
        .value_kind:     by_value
      - .offset:         160
        .size:           4
        .value_kind:     by_value
      - .offset:         164
        .size:           4
        .value_kind:     by_value
      - .offset:         168
        .size:           8
        .value_kind:     by_value
      - .offset:         176
        .size:           4
        .value_kind:     by_value
      - .offset:         180
        .size:           4
        .value_kind:     by_value
      - .offset:         184
        .size:           4
        .value_kind:     by_value
      - .offset:         188
        .size:           4
        .value_kind:     by_value
      - .offset:         192
        .size:           4
        .value_kind:     by_value
      - .offset:         200
        .size:           8
        .value_kind:     by_value
      - .offset:         208
        .size:           4
        .value_kind:     hidden_block_count_x
      - .offset:         212
        .size:           4
        .value_kind:     hidden_block_count_y
      - .offset:         216
        .size:           4
        .value_kind:     hidden_block_count_z
      - .offset:         220
        .size:           2
        .value_kind:     hidden_group_size_x
      - .offset:         222
        .size:           2
        .value_kind:     hidden_group_size_y
      - .offset:         224
        .size:           2
        .value_kind:     hidden_group_size_z
      - .offset:         226
        .size:           2
        .value_kind:     hidden_remainder_x
      - .offset:         228
        .size:           2
        .value_kind:     hidden_remainder_y
      - .offset:         230
        .size:           2
        .value_kind:     hidden_remainder_z
      - .offset:         248
        .size:           8
        .value_kind:     hidden_global_offset_x
      - .offset:         256
        .size:           8
        .value_kind:     hidden_global_offset_y
      - .offset:         264
        .size:           8
        .value_kind:     hidden_global_offset_z
      - .offset:         272
        .size:           2
        .value_kind:     hidden_grid_dims
    .group_segment_fixed_size: 43008
    .kernarg_segment_align: 8
    .kernarg_segment_size: 464
    .language:       OpenCL C
    .language_version:
      - 2
      - 0
    .max_flat_workgroup_size: 256
    .name:           _ZL15flash_attn_tileILi128ELi128ELi16ELi1ELb0EEvPKcS1_S1_S1_S1_PKiPfP15HIP_vector_typeIfLj2EEffffjfiS5_IjLj3EEiiiiiiiiiiiliiliiiiil
    .private_segment_fixed_size: 32
    .sgpr_count:     55
    .sgpr_spill_count: 0
    .symbol:         _ZL15flash_attn_tileILi128ELi128ELi16ELi1ELb0EEvPKcS1_S1_S1_S1_PKiPfP15HIP_vector_typeIfLj2EEffffjfiS5_IjLj3EEiiiiiiiiiiiliiliiiiil.kd
    .uniform_work_group_size: 1
    .uses_dynamic_stack: false
    .vgpr_count:     248
    .vgpr_spill_count: 0
    .wavefront_size: 32
    .workgroup_processor_mode: 1
  - .args:
      - .address_space:  global
        .offset:         0
        .size:           8
        .value_kind:     global_buffer
      - .address_space:  global
        .offset:         8
        .size:           8
        .value_kind:     global_buffer
      - .offset:         16
        .size:           4
        .value_kind:     by_value
      - .offset:         20
        .size:           4
        .value_kind:     by_value
      - .offset:         24
        .size:           4
        .value_kind:     by_value
      - .offset:         28
        .size:           4
        .value_kind:     by_value
      - .offset:         32
        .size:           4
        .value_kind:     by_value
      - .offset:         36
        .size:           4
        .value_kind:     by_value
      - .offset:         40
        .size:           12
        .value_kind:     by_value
      - .offset:         52
        .size:           12
        .value_kind:     by_value
      - .offset:         64
        .size:           12
        .value_kind:     by_value
    .group_segment_fixed_size: 0
    .kernarg_segment_align: 8
    .kernarg_segment_size: 76
    .language:       OpenCL C
    .language_version:
      - 2
      - 0
    .max_flat_workgroup_size: 128
    .name:           _ZL33flash_attn_stream_k_fixup_uniformILi128ELi16ELi1EEvPfPK15HIP_vector_typeIfLj2EEiiiiiiS1_IjLj3EES5_S5_
    .private_segment_fixed_size: 0
    .sgpr_count:     26
    .sgpr_spill_count: 0
    .symbol:         _ZL33flash_attn_stream_k_fixup_uniformILi128ELi16ELi1EEvPfPK15HIP_vector_typeIfLj2EEiiiiiiS1_IjLj3EES5_S5_.kd
    .uniform_work_group_size: 1
    .uses_dynamic_stack: false
    .vgpr_count:     15
    .vgpr_spill_count: 0
    .wavefront_size: 32
    .workgroup_processor_mode: 1
  - .args:
      - .address_space:  global
        .offset:         0
        .size:           8
        .value_kind:     global_buffer
      - .address_space:  global
        .offset:         8
        .size:           8
        .value_kind:     global_buffer
      - .offset:         16
        .size:           4
        .value_kind:     by_value
      - .offset:         20
        .size:           4
        .value_kind:     by_value
      - .offset:         24
        .size:           4
        .value_kind:     by_value
      - .offset:         28
        .size:           4
        .value_kind:     by_value
      - .offset:         32
        .size:           12
        .value_kind:     by_value
      - .offset:         44
        .size:           12
        .value_kind:     by_value
      - .offset:         56
        .size:           12
        .value_kind:     by_value
      - .offset:         68
        .size:           12
        .value_kind:     by_value
      - .offset:         80
        .size:           4
        .value_kind:     hidden_block_count_x
      - .offset:         84
        .size:           4
        .value_kind:     hidden_block_count_y
      - .offset:         88
        .size:           4
        .value_kind:     hidden_block_count_z
      - .offset:         92
        .size:           2
        .value_kind:     hidden_group_size_x
      - .offset:         94
        .size:           2
        .value_kind:     hidden_group_size_y
      - .offset:         96
        .size:           2
        .value_kind:     hidden_group_size_z
      - .offset:         98
        .size:           2
        .value_kind:     hidden_remainder_x
      - .offset:         100
        .size:           2
        .value_kind:     hidden_remainder_y
      - .offset:         102
        .size:           2
        .value_kind:     hidden_remainder_z
      - .offset:         120
        .size:           8
        .value_kind:     hidden_global_offset_x
      - .offset:         128
        .size:           8
        .value_kind:     hidden_global_offset_y
      - .offset:         136
        .size:           8
        .value_kind:     hidden_global_offset_z
      - .offset:         144
        .size:           2
        .value_kind:     hidden_grid_dims
    .group_segment_fixed_size: 0
    .kernarg_segment_align: 8
    .kernarg_segment_size: 336
    .language:       OpenCL C
    .language_version:
      - 2
      - 0
    .max_flat_workgroup_size: 128
    .name:           _ZL33flash_attn_stream_k_fixup_generalILi128ELi16ELi1EEvPfPK15HIP_vector_typeIfLj2EEiiiiS1_IjLj3EES5_S5_S5_
    .private_segment_fixed_size: 0
    .sgpr_count:     33
    .sgpr_spill_count: 0
    .symbol:         _ZL33flash_attn_stream_k_fixup_generalILi128ELi16ELi1EEvPfPK15HIP_vector_typeIfLj2EEiiiiS1_IjLj3EES5_S5_S5_.kd
    .uniform_work_group_size: 1
    .uses_dynamic_stack: false
    .vgpr_count:     17
    .vgpr_spill_count: 0
    .wavefront_size: 32
    .workgroup_processor_mode: 1
  - .args:
      - .address_space:  global
        .offset:         0
        .size:           8
        .value_kind:     global_buffer
      - .address_space:  global
        .offset:         8
        .size:           8
        .value_kind:     global_buffer
      - .address_space:  global
        .offset:         16
        .size:           8
        .value_kind:     global_buffer
      - .address_space:  global
        .offset:         24
        .size:           8
        .value_kind:     global_buffer
      - .address_space:  global
        .offset:         32
        .size:           8
        .value_kind:     global_buffer
      - .address_space:  global
        .offset:         40
        .size:           8
        .value_kind:     global_buffer
      - .address_space:  global
        .offset:         48
        .size:           8
        .value_kind:     global_buffer
      - .address_space:  global
        .offset:         56
        .size:           8
        .value_kind:     global_buffer
      - .offset:         64
        .size:           4
        .value_kind:     by_value
      - .offset:         68
        .size:           4
        .value_kind:     by_value
      - .offset:         72
        .size:           4
        .value_kind:     by_value
      - .offset:         76
        .size:           4
        .value_kind:     by_value
      - .offset:         80
        .size:           4
        .value_kind:     by_value
      - .offset:         84
        .size:           4
        .value_kind:     by_value
      - .offset:         88
        .size:           4
        .value_kind:     by_value
      - .offset:         92
        .size:           12
        .value_kind:     by_value
      - .offset:         104
        .size:           4
        .value_kind:     by_value
      - .offset:         108
        .size:           4
        .value_kind:     by_value
      - .offset:         112
        .size:           4
        .value_kind:     by_value
      - .offset:         116
        .size:           4
        .value_kind:     by_value
      - .offset:         120
        .size:           4
        .value_kind:     by_value
      - .offset:         124
        .size:           4
        .value_kind:     by_value
      - .offset:         128
        .size:           4
        .value_kind:     by_value
      - .offset:         132
        .size:           4
        .value_kind:     by_value
      - .offset:         136
        .size:           4
        .value_kind:     by_value
      - .offset:         140
        .size:           4
        .value_kind:     by_value
      - .offset:         144
        .size:           4
        .value_kind:     by_value
      - .offset:         152
        .size:           8
        .value_kind:     by_value
      - .offset:         160
        .size:           4
        .value_kind:     by_value
      - .offset:         164
        .size:           4
        .value_kind:     by_value
      - .offset:         168
        .size:           8
        .value_kind:     by_value
      - .offset:         176
        .size:           4
        .value_kind:     by_value
      - .offset:         180
        .size:           4
        .value_kind:     by_value
      - .offset:         184
        .size:           4
        .value_kind:     by_value
      - .offset:         188
        .size:           4
        .value_kind:     by_value
      - .offset:         192
        .size:           4
        .value_kind:     by_value
      - .offset:         200
        .size:           8
        .value_kind:     by_value
      - .offset:         208
        .size:           4
        .value_kind:     hidden_block_count_x
      - .offset:         212
        .size:           4
        .value_kind:     hidden_block_count_y
      - .offset:         216
        .size:           4
        .value_kind:     hidden_block_count_z
      - .offset:         220
        .size:           2
        .value_kind:     hidden_group_size_x
      - .offset:         222
        .size:           2
        .value_kind:     hidden_group_size_y
      - .offset:         224
        .size:           2
        .value_kind:     hidden_group_size_z
      - .offset:         226
        .size:           2
        .value_kind:     hidden_remainder_x
      - .offset:         228
        .size:           2
        .value_kind:     hidden_remainder_y
      - .offset:         230
        .size:           2
        .value_kind:     hidden_remainder_z
      - .offset:         248
        .size:           8
        .value_kind:     hidden_global_offset_x
      - .offset:         256
        .size:           8
        .value_kind:     hidden_global_offset_y
      - .offset:         264
        .size:           8
        .value_kind:     hidden_global_offset_z
      - .offset:         272
        .size:           2
        .value_kind:     hidden_grid_dims
    .group_segment_fixed_size: 12288
    .kernarg_segment_align: 8
    .kernarg_segment_size: 464
    .language:       OpenCL C
    .language_version:
      - 2
      - 0
    .max_flat_workgroup_size: 128
    .name:           _ZL15flash_attn_tileILi128ELi128ELi8ELi1ELb0EEvPKcS1_S1_S1_S1_PKiPfP15HIP_vector_typeIfLj2EEffffjfiS5_IjLj3EEiiiiiiiiiiiliiliiiiil
    .private_segment_fixed_size: 32
    .sgpr_count:     54
    .sgpr_spill_count: 0
    .symbol:         _ZL15flash_attn_tileILi128ELi128ELi8ELi1ELb0EEvPKcS1_S1_S1_S1_PKiPfP15HIP_vector_typeIfLj2EEffffjfiS5_IjLj3EEiiiiiiiiiiiliiliiiiil.kd
    .uniform_work_group_size: 1
    .uses_dynamic_stack: false
    .vgpr_count:     128
    .vgpr_spill_count: 1
    .wavefront_size: 32
    .workgroup_processor_mode: 1
  - .args:
      - .address_space:  global
        .offset:         0
        .size:           8
        .value_kind:     global_buffer
      - .address_space:  global
        .offset:         8
        .size:           8
        .value_kind:     global_buffer
      - .offset:         16
        .size:           4
        .value_kind:     by_value
      - .offset:         20
        .size:           4
        .value_kind:     by_value
      - .offset:         24
        .size:           4
        .value_kind:     by_value
      - .offset:         28
        .size:           4
        .value_kind:     by_value
      - .offset:         32
        .size:           4
        .value_kind:     by_value
      - .offset:         36
        .size:           4
        .value_kind:     by_value
      - .offset:         40
        .size:           12
        .value_kind:     by_value
      - .offset:         52
        .size:           12
        .value_kind:     by_value
      - .offset:         64
        .size:           12
        .value_kind:     by_value
    .group_segment_fixed_size: 0
    .kernarg_segment_align: 8
    .kernarg_segment_size: 76
    .language:       OpenCL C
    .language_version:
      - 2
      - 0
    .max_flat_workgroup_size: 128
    .name:           _ZL33flash_attn_stream_k_fixup_uniformILi128ELi8ELi1EEvPfPK15HIP_vector_typeIfLj2EEiiiiiiS1_IjLj3EES5_S5_
    .private_segment_fixed_size: 0
    .sgpr_count:     26
    .sgpr_spill_count: 0
    .symbol:         _ZL33flash_attn_stream_k_fixup_uniformILi128ELi8ELi1EEvPfPK15HIP_vector_typeIfLj2EEiiiiiiS1_IjLj3EES5_S5_.kd
    .uniform_work_group_size: 1
    .uses_dynamic_stack: false
    .vgpr_count:     15
    .vgpr_spill_count: 0
    .wavefront_size: 32
    .workgroup_processor_mode: 1
  - .args:
      - .address_space:  global
        .offset:         0
        .size:           8
        .value_kind:     global_buffer
      - .address_space:  global
        .offset:         8
        .size:           8
        .value_kind:     global_buffer
      - .offset:         16
        .size:           4
        .value_kind:     by_value
      - .offset:         20
        .size:           4
        .value_kind:     by_value
      - .offset:         24
        .size:           4
        .value_kind:     by_value
      - .offset:         28
        .size:           4
        .value_kind:     by_value
      - .offset:         32
        .size:           12
        .value_kind:     by_value
      - .offset:         44
        .size:           12
        .value_kind:     by_value
      - .offset:         56
        .size:           12
        .value_kind:     by_value
      - .offset:         68
        .size:           12
        .value_kind:     by_value
      - .offset:         80
        .size:           4
        .value_kind:     hidden_block_count_x
      - .offset:         84
        .size:           4
        .value_kind:     hidden_block_count_y
      - .offset:         88
        .size:           4
        .value_kind:     hidden_block_count_z
      - .offset:         92
        .size:           2
        .value_kind:     hidden_group_size_x
      - .offset:         94
        .size:           2
        .value_kind:     hidden_group_size_y
      - .offset:         96
        .size:           2
        .value_kind:     hidden_group_size_z
      - .offset:         98
        .size:           2
        .value_kind:     hidden_remainder_x
      - .offset:         100
        .size:           2
        .value_kind:     hidden_remainder_y
      - .offset:         102
        .size:           2
        .value_kind:     hidden_remainder_z
      - .offset:         120
        .size:           8
        .value_kind:     hidden_global_offset_x
      - .offset:         128
        .size:           8
        .value_kind:     hidden_global_offset_y
      - .offset:         136
        .size:           8
        .value_kind:     hidden_global_offset_z
      - .offset:         144
        .size:           2
        .value_kind:     hidden_grid_dims
    .group_segment_fixed_size: 0
    .kernarg_segment_align: 8
    .kernarg_segment_size: 336
    .language:       OpenCL C
    .language_version:
      - 2
      - 0
    .max_flat_workgroup_size: 128
    .name:           _ZL33flash_attn_stream_k_fixup_generalILi128ELi8ELi1EEvPfPK15HIP_vector_typeIfLj2EEiiiiS1_IjLj3EES5_S5_S5_
    .private_segment_fixed_size: 0
    .sgpr_count:     33
    .sgpr_spill_count: 0
    .symbol:         _ZL33flash_attn_stream_k_fixup_generalILi128ELi8ELi1EEvPfPK15HIP_vector_typeIfLj2EEiiiiS1_IjLj3EES5_S5_S5_.kd
    .uniform_work_group_size: 1
    .uses_dynamic_stack: false
    .vgpr_count:     17
    .vgpr_spill_count: 0
    .wavefront_size: 32
    .workgroup_processor_mode: 1
  - .args:
      - .address_space:  global
        .offset:         0
        .size:           8
        .value_kind:     global_buffer
      - .address_space:  global
        .offset:         8
        .size:           8
        .value_kind:     global_buffer
      - .address_space:  global
        .offset:         16
        .size:           8
        .value_kind:     global_buffer
      - .address_space:  global
        .offset:         24
        .size:           8
        .value_kind:     global_buffer
      - .address_space:  global
        .offset:         32
        .size:           8
        .value_kind:     global_buffer
      - .address_space:  global
        .offset:         40
        .size:           8
        .value_kind:     global_buffer
      - .address_space:  global
        .offset:         48
        .size:           8
        .value_kind:     global_buffer
      - .address_space:  global
        .offset:         56
        .size:           8
        .value_kind:     global_buffer
      - .offset:         64
        .size:           4
        .value_kind:     by_value
      - .offset:         68
        .size:           4
        .value_kind:     by_value
      - .offset:         72
        .size:           4
        .value_kind:     by_value
      - .offset:         76
        .size:           4
        .value_kind:     by_value
      - .offset:         80
        .size:           4
        .value_kind:     by_value
      - .offset:         84
        .size:           4
        .value_kind:     by_value
      - .offset:         88
        .size:           4
        .value_kind:     by_value
      - .offset:         92
        .size:           12
        .value_kind:     by_value
      - .offset:         104
        .size:           4
        .value_kind:     by_value
      - .offset:         108
        .size:           4
        .value_kind:     by_value
      - .offset:         112
        .size:           4
        .value_kind:     by_value
      - .offset:         116
        .size:           4
        .value_kind:     by_value
      - .offset:         120
        .size:           4
        .value_kind:     by_value
      - .offset:         124
        .size:           4
        .value_kind:     by_value
      - .offset:         128
        .size:           4
        .value_kind:     by_value
      - .offset:         132
        .size:           4
        .value_kind:     by_value
      - .offset:         136
        .size:           4
        .value_kind:     by_value
      - .offset:         140
        .size:           4
        .value_kind:     by_value
      - .offset:         144
        .size:           4
        .value_kind:     by_value
      - .offset:         152
        .size:           8
        .value_kind:     by_value
      - .offset:         160
        .size:           4
        .value_kind:     by_value
      - .offset:         164
        .size:           4
        .value_kind:     by_value
      - .offset:         168
        .size:           8
        .value_kind:     by_value
      - .offset:         176
        .size:           4
        .value_kind:     by_value
      - .offset:         180
        .size:           4
        .value_kind:     by_value
      - .offset:         184
        .size:           4
        .value_kind:     by_value
      - .offset:         188
        .size:           4
        .value_kind:     by_value
      - .offset:         192
        .size:           4
        .value_kind:     by_value
      - .offset:         200
        .size:           8
        .value_kind:     by_value
      - .offset:         208
        .size:           4
        .value_kind:     hidden_block_count_x
      - .offset:         212
        .size:           4
        .value_kind:     hidden_block_count_y
      - .offset:         216
        .size:           4
        .value_kind:     hidden_block_count_z
      - .offset:         220
        .size:           2
        .value_kind:     hidden_group_size_x
      - .offset:         222
        .size:           2
        .value_kind:     hidden_group_size_y
      - .offset:         224
        .size:           2
        .value_kind:     hidden_group_size_z
      - .offset:         226
        .size:           2
        .value_kind:     hidden_remainder_x
      - .offset:         228
        .size:           2
        .value_kind:     hidden_remainder_y
      - .offset:         230
        .size:           2
        .value_kind:     hidden_remainder_z
      - .offset:         248
        .size:           8
        .value_kind:     hidden_global_offset_x
      - .offset:         256
        .size:           8
        .value_kind:     hidden_global_offset_y
      - .offset:         264
        .size:           8
        .value_kind:     hidden_global_offset_z
      - .offset:         272
        .size:           2
        .value_kind:     hidden_grid_dims
    .group_segment_fixed_size: 10752
    .kernarg_segment_align: 8
    .kernarg_segment_size: 464
    .language:       OpenCL C
    .language_version:
      - 2
      - 0
    .max_flat_workgroup_size: 128
    .name:           _ZL15flash_attn_tileILi128ELi128ELi4ELi1ELb0EEvPKcS1_S1_S1_S1_PKiPfP15HIP_vector_typeIfLj2EEffffjfiS5_IjLj3EEiiiiiiiiiiiliiliiiiil
    .private_segment_fixed_size: 32
    .sgpr_count:     54
    .sgpr_spill_count: 0
    .symbol:         _ZL15flash_attn_tileILi128ELi128ELi4ELi1ELb0EEvPKcS1_S1_S1_S1_PKiPfP15HIP_vector_typeIfLj2EEffffjfiS5_IjLj3EEiiiiiiiiiiiliiliiiiil.kd
    .uniform_work_group_size: 1
    .uses_dynamic_stack: false
    .vgpr_count:     123
    .vgpr_spill_count: 0
    .wavefront_size: 32
    .workgroup_processor_mode: 1
  - .args:
      - .address_space:  global
        .offset:         0
        .size:           8
        .value_kind:     global_buffer
      - .address_space:  global
        .offset:         8
        .size:           8
        .value_kind:     global_buffer
      - .offset:         16
        .size:           4
        .value_kind:     by_value
      - .offset:         20
        .size:           4
        .value_kind:     by_value
      - .offset:         24
        .size:           4
        .value_kind:     by_value
      - .offset:         28
        .size:           4
        .value_kind:     by_value
      - .offset:         32
        .size:           4
        .value_kind:     by_value
      - .offset:         36
        .size:           4
        .value_kind:     by_value
      - .offset:         40
        .size:           12
        .value_kind:     by_value
      - .offset:         52
        .size:           12
        .value_kind:     by_value
      - .offset:         64
        .size:           12
        .value_kind:     by_value
    .group_segment_fixed_size: 0
    .kernarg_segment_align: 8
    .kernarg_segment_size: 76
    .language:       OpenCL C
    .language_version:
      - 2
      - 0
    .max_flat_workgroup_size: 128
    .name:           _ZL33flash_attn_stream_k_fixup_uniformILi128ELi4ELi1EEvPfPK15HIP_vector_typeIfLj2EEiiiiiiS1_IjLj3EES5_S5_
    .private_segment_fixed_size: 0
    .sgpr_count:     26
    .sgpr_spill_count: 0
    .symbol:         _ZL33flash_attn_stream_k_fixup_uniformILi128ELi4ELi1EEvPfPK15HIP_vector_typeIfLj2EEiiiiiiS1_IjLj3EES5_S5_.kd
    .uniform_work_group_size: 1
    .uses_dynamic_stack: false
    .vgpr_count:     15
    .vgpr_spill_count: 0
    .wavefront_size: 32
    .workgroup_processor_mode: 1
  - .args:
      - .address_space:  global
        .offset:         0
        .size:           8
        .value_kind:     global_buffer
      - .address_space:  global
        .offset:         8
        .size:           8
        .value_kind:     global_buffer
      - .offset:         16
        .size:           4
        .value_kind:     by_value
      - .offset:         20
        .size:           4
        .value_kind:     by_value
      - .offset:         24
        .size:           4
        .value_kind:     by_value
      - .offset:         28
        .size:           4
        .value_kind:     by_value
      - .offset:         32
        .size:           12
        .value_kind:     by_value
      - .offset:         44
        .size:           12
        .value_kind:     by_value
      - .offset:         56
        .size:           12
        .value_kind:     by_value
      - .offset:         68
        .size:           12
        .value_kind:     by_value
      - .offset:         80
        .size:           4
        .value_kind:     hidden_block_count_x
      - .offset:         84
        .size:           4
        .value_kind:     hidden_block_count_y
      - .offset:         88
        .size:           4
        .value_kind:     hidden_block_count_z
      - .offset:         92
        .size:           2
        .value_kind:     hidden_group_size_x
      - .offset:         94
        .size:           2
        .value_kind:     hidden_group_size_y
      - .offset:         96
        .size:           2
        .value_kind:     hidden_group_size_z
      - .offset:         98
        .size:           2
        .value_kind:     hidden_remainder_x
      - .offset:         100
        .size:           2
        .value_kind:     hidden_remainder_y
      - .offset:         102
        .size:           2
        .value_kind:     hidden_remainder_z
      - .offset:         120
        .size:           8
        .value_kind:     hidden_global_offset_x
      - .offset:         128
        .size:           8
        .value_kind:     hidden_global_offset_y
      - .offset:         136
        .size:           8
        .value_kind:     hidden_global_offset_z
      - .offset:         144
        .size:           2
        .value_kind:     hidden_grid_dims
    .group_segment_fixed_size: 0
    .kernarg_segment_align: 8
    .kernarg_segment_size: 336
    .language:       OpenCL C
    .language_version:
      - 2
      - 0
    .max_flat_workgroup_size: 128
    .name:           _ZL33flash_attn_stream_k_fixup_generalILi128ELi4ELi1EEvPfPK15HIP_vector_typeIfLj2EEiiiiS1_IjLj3EES5_S5_S5_
    .private_segment_fixed_size: 0
    .sgpr_count:     33
    .sgpr_spill_count: 0
    .symbol:         _ZL33flash_attn_stream_k_fixup_generalILi128ELi4ELi1EEvPfPK15HIP_vector_typeIfLj2EEiiiiS1_IjLj3EES5_S5_S5_.kd
    .uniform_work_group_size: 1
    .uses_dynamic_stack: false
    .vgpr_count:     17
    .vgpr_spill_count: 0
    .wavefront_size: 32
    .workgroup_processor_mode: 1
  - .args:
      - .address_space:  global
        .offset:         0
        .size:           8
        .value_kind:     global_buffer
      - .address_space:  global
        .offset:         8
        .size:           8
        .value_kind:     global_buffer
      - .address_space:  global
        .offset:         16
        .size:           8
        .value_kind:     global_buffer
      - .address_space:  global
        .offset:         24
        .size:           8
        .value_kind:     global_buffer
      - .address_space:  global
        .offset:         32
        .size:           8
        .value_kind:     global_buffer
      - .address_space:  global
        .offset:         40
        .size:           8
        .value_kind:     global_buffer
      - .address_space:  global
        .offset:         48
        .size:           8
        .value_kind:     global_buffer
      - .address_space:  global
        .offset:         56
        .size:           8
        .value_kind:     global_buffer
      - .offset:         64
        .size:           4
        .value_kind:     by_value
      - .offset:         68
        .size:           4
        .value_kind:     by_value
      - .offset:         72
        .size:           4
        .value_kind:     by_value
      - .offset:         76
        .size:           4
        .value_kind:     by_value
      - .offset:         80
        .size:           4
        .value_kind:     by_value
      - .offset:         84
        .size:           4
        .value_kind:     by_value
      - .offset:         88
        .size:           4
        .value_kind:     by_value
      - .offset:         92
        .size:           12
        .value_kind:     by_value
      - .offset:         104
        .size:           4
        .value_kind:     by_value
      - .offset:         108
        .size:           4
        .value_kind:     by_value
      - .offset:         112
        .size:           4
        .value_kind:     by_value
      - .offset:         116
        .size:           4
        .value_kind:     by_value
      - .offset:         120
        .size:           4
        .value_kind:     by_value
      - .offset:         124
        .size:           4
        .value_kind:     by_value
      - .offset:         128
        .size:           4
        .value_kind:     by_value
      - .offset:         132
        .size:           4
        .value_kind:     by_value
      - .offset:         136
        .size:           4
        .value_kind:     by_value
      - .offset:         140
        .size:           4
        .value_kind:     by_value
      - .offset:         144
        .size:           4
        .value_kind:     by_value
      - .offset:         152
        .size:           8
        .value_kind:     by_value
      - .offset:         160
        .size:           4
        .value_kind:     by_value
      - .offset:         164
        .size:           4
        .value_kind:     by_value
      - .offset:         168
        .size:           8
        .value_kind:     by_value
      - .offset:         176
        .size:           4
        .value_kind:     by_value
      - .offset:         180
        .size:           4
        .value_kind:     by_value
      - .offset:         184
        .size:           4
        .value_kind:     by_value
      - .offset:         188
        .size:           4
        .value_kind:     by_value
      - .offset:         192
        .size:           4
        .value_kind:     by_value
      - .offset:         200
        .size:           8
        .value_kind:     by_value
      - .offset:         208
        .size:           4
        .value_kind:     hidden_block_count_x
      - .offset:         212
        .size:           4
        .value_kind:     hidden_block_count_y
      - .offset:         216
        .size:           4
        .value_kind:     hidden_block_count_z
      - .offset:         220
        .size:           2
        .value_kind:     hidden_group_size_x
      - .offset:         222
        .size:           2
        .value_kind:     hidden_group_size_y
      - .offset:         224
        .size:           2
        .value_kind:     hidden_group_size_z
      - .offset:         226
        .size:           2
        .value_kind:     hidden_remainder_x
      - .offset:         228
        .size:           2
        .value_kind:     hidden_remainder_y
      - .offset:         230
        .size:           2
        .value_kind:     hidden_remainder_z
      - .offset:         248
        .size:           8
        .value_kind:     hidden_global_offset_x
      - .offset:         256
        .size:           8
        .value_kind:     hidden_global_offset_y
      - .offset:         264
        .size:           8
        .value_kind:     hidden_global_offset_z
      - .offset:         272
        .size:           2
        .value_kind:     hidden_grid_dims
    .group_segment_fixed_size: 5248
    .kernarg_segment_align: 8
    .kernarg_segment_size: 464
    .language:       OpenCL C
    .language_version:
      - 2
      - 0
    .max_flat_workgroup_size: 64
    .name:           _ZL15flash_attn_tileILi128ELi128ELi2ELi1ELb0EEvPKcS1_S1_S1_S1_PKiPfP15HIP_vector_typeIfLj2EEffffjfiS5_IjLj3EEiiiiiiiiiiiliiliiiiil
    .private_segment_fixed_size: 32
    .sgpr_count:     54
    .sgpr_spill_count: 0
    .symbol:         _ZL15flash_attn_tileILi128ELi128ELi2ELi1ELb0EEvPKcS1_S1_S1_S1_PKiPfP15HIP_vector_typeIfLj2EEffffjfiS5_IjLj3EEiiiiiiiiiiiliiliiiiil.kd
    .uniform_work_group_size: 1
    .uses_dynamic_stack: false
    .vgpr_count:     110
    .vgpr_spill_count: 0
    .wavefront_size: 32
    .workgroup_processor_mode: 1
  - .args:
      - .address_space:  global
        .offset:         0
        .size:           8
        .value_kind:     global_buffer
      - .address_space:  global
        .offset:         8
        .size:           8
        .value_kind:     global_buffer
      - .offset:         16
        .size:           4
        .value_kind:     by_value
      - .offset:         20
        .size:           4
        .value_kind:     by_value
      - .offset:         24
        .size:           4
        .value_kind:     by_value
      - .offset:         28
        .size:           4
        .value_kind:     by_value
      - .offset:         32
        .size:           4
        .value_kind:     by_value
      - .offset:         36
        .size:           4
        .value_kind:     by_value
      - .offset:         40
        .size:           12
        .value_kind:     by_value
      - .offset:         52
        .size:           12
        .value_kind:     by_value
      - .offset:         64
        .size:           12
        .value_kind:     by_value
    .group_segment_fixed_size: 0
    .kernarg_segment_align: 8
    .kernarg_segment_size: 76
    .language:       OpenCL C
    .language_version:
      - 2
      - 0
    .max_flat_workgroup_size: 128
    .name:           _ZL33flash_attn_stream_k_fixup_uniformILi128ELi2ELi1EEvPfPK15HIP_vector_typeIfLj2EEiiiiiiS1_IjLj3EES5_S5_
    .private_segment_fixed_size: 0
    .sgpr_count:     26
    .sgpr_spill_count: 0
    .symbol:         _ZL33flash_attn_stream_k_fixup_uniformILi128ELi2ELi1EEvPfPK15HIP_vector_typeIfLj2EEiiiiiiS1_IjLj3EES5_S5_.kd
    .uniform_work_group_size: 1
    .uses_dynamic_stack: false
    .vgpr_count:     15
    .vgpr_spill_count: 0
    .wavefront_size: 32
    .workgroup_processor_mode: 1
  - .args:
      - .address_space:  global
        .offset:         0
        .size:           8
        .value_kind:     global_buffer
      - .address_space:  global
        .offset:         8
        .size:           8
        .value_kind:     global_buffer
      - .offset:         16
        .size:           4
        .value_kind:     by_value
      - .offset:         20
        .size:           4
        .value_kind:     by_value
      - .offset:         24
        .size:           4
        .value_kind:     by_value
      - .offset:         28
        .size:           4
        .value_kind:     by_value
      - .offset:         32
        .size:           12
        .value_kind:     by_value
      - .offset:         44
        .size:           12
        .value_kind:     by_value
      - .offset:         56
        .size:           12
        .value_kind:     by_value
      - .offset:         68
        .size:           12
        .value_kind:     by_value
      - .offset:         80
        .size:           4
        .value_kind:     hidden_block_count_x
      - .offset:         84
        .size:           4
        .value_kind:     hidden_block_count_y
      - .offset:         88
        .size:           4
        .value_kind:     hidden_block_count_z
      - .offset:         92
        .size:           2
        .value_kind:     hidden_group_size_x
      - .offset:         94
        .size:           2
        .value_kind:     hidden_group_size_y
      - .offset:         96
        .size:           2
        .value_kind:     hidden_group_size_z
      - .offset:         98
        .size:           2
        .value_kind:     hidden_remainder_x
      - .offset:         100
        .size:           2
        .value_kind:     hidden_remainder_y
      - .offset:         102
        .size:           2
        .value_kind:     hidden_remainder_z
      - .offset:         120
        .size:           8
        .value_kind:     hidden_global_offset_x
      - .offset:         128
        .size:           8
        .value_kind:     hidden_global_offset_y
      - .offset:         136
        .size:           8
        .value_kind:     hidden_global_offset_z
      - .offset:         144
        .size:           2
        .value_kind:     hidden_grid_dims
    .group_segment_fixed_size: 0
    .kernarg_segment_align: 8
    .kernarg_segment_size: 336
    .language:       OpenCL C
    .language_version:
      - 2
      - 0
    .max_flat_workgroup_size: 128
    .name:           _ZL33flash_attn_stream_k_fixup_generalILi128ELi2ELi1EEvPfPK15HIP_vector_typeIfLj2EEiiiiS1_IjLj3EES5_S5_S5_
    .private_segment_fixed_size: 0
    .sgpr_count:     33
    .sgpr_spill_count: 0
    .symbol:         _ZL33flash_attn_stream_k_fixup_generalILi128ELi2ELi1EEvPfPK15HIP_vector_typeIfLj2EEiiiiS1_IjLj3EES5_S5_S5_.kd
    .uniform_work_group_size: 1
    .uses_dynamic_stack: false
    .vgpr_count:     17
    .vgpr_spill_count: 0
    .wavefront_size: 32
    .workgroup_processor_mode: 1
  - .args:
      - .address_space:  global
        .offset:         0
        .size:           8
        .value_kind:     global_buffer
      - .address_space:  global
        .offset:         8
        .size:           8
        .value_kind:     global_buffer
      - .address_space:  global
        .offset:         16
        .size:           8
        .value_kind:     global_buffer
      - .address_space:  global
        .offset:         24
        .size:           8
        .value_kind:     global_buffer
      - .address_space:  global
        .offset:         32
        .size:           8
        .value_kind:     global_buffer
      - .address_space:  global
        .offset:         40
        .size:           8
        .value_kind:     global_buffer
      - .address_space:  global
        .offset:         48
        .size:           8
        .value_kind:     global_buffer
      - .address_space:  global
        .offset:         56
        .size:           8
        .value_kind:     global_buffer
      - .offset:         64
        .size:           4
        .value_kind:     by_value
      - .offset:         68
        .size:           4
        .value_kind:     by_value
      - .offset:         72
        .size:           4
        .value_kind:     by_value
      - .offset:         76
        .size:           4
        .value_kind:     by_value
      - .offset:         80
        .size:           4
        .value_kind:     by_value
      - .offset:         84
        .size:           4
        .value_kind:     by_value
      - .offset:         88
        .size:           4
        .value_kind:     by_value
      - .offset:         92
        .size:           12
        .value_kind:     by_value
      - .offset:         104
        .size:           4
        .value_kind:     by_value
      - .offset:         108
        .size:           4
        .value_kind:     by_value
      - .offset:         112
        .size:           4
        .value_kind:     by_value
      - .offset:         116
        .size:           4
        .value_kind:     by_value
      - .offset:         120
        .size:           4
        .value_kind:     by_value
      - .offset:         124
        .size:           4
        .value_kind:     by_value
      - .offset:         128
        .size:           4
        .value_kind:     by_value
      - .offset:         132
        .size:           4
        .value_kind:     by_value
      - .offset:         136
        .size:           4
        .value_kind:     by_value
      - .offset:         140
        .size:           4
        .value_kind:     by_value
      - .offset:         144
        .size:           4
        .value_kind:     by_value
      - .offset:         152
        .size:           8
        .value_kind:     by_value
      - .offset:         160
        .size:           4
        .value_kind:     by_value
      - .offset:         164
        .size:           4
        .value_kind:     by_value
      - .offset:         168
        .size:           8
        .value_kind:     by_value
      - .offset:         176
        .size:           4
        .value_kind:     by_value
      - .offset:         180
        .size:           4
        .value_kind:     by_value
      - .offset:         184
        .size:           4
        .value_kind:     by_value
      - .offset:         188
        .size:           4
        .value_kind:     by_value
      - .offset:         192
        .size:           4
        .value_kind:     by_value
      - .offset:         200
        .size:           8
        .value_kind:     by_value
      - .offset:         208
        .size:           4
        .value_kind:     hidden_block_count_x
      - .offset:         212
        .size:           4
        .value_kind:     hidden_block_count_y
      - .offset:         216
        .size:           4
        .value_kind:     hidden_block_count_z
      - .offset:         220
        .size:           2
        .value_kind:     hidden_group_size_x
      - .offset:         222
        .size:           2
        .value_kind:     hidden_group_size_y
      - .offset:         224
        .size:           2
        .value_kind:     hidden_group_size_z
      - .offset:         226
        .size:           2
        .value_kind:     hidden_remainder_x
      - .offset:         228
        .size:           2
        .value_kind:     hidden_remainder_y
      - .offset:         230
        .size:           2
        .value_kind:     hidden_remainder_z
      - .offset:         248
        .size:           8
        .value_kind:     hidden_global_offset_x
      - .offset:         256
        .size:           8
        .value_kind:     hidden_global_offset_y
      - .offset:         264
        .size:           8
        .value_kind:     hidden_global_offset_z
      - .offset:         272
        .size:           2
        .value_kind:     hidden_grid_dims
    .group_segment_fixed_size: 33792
    .kernarg_segment_align: 8
    .kernarg_segment_size: 464
    .language:       OpenCL C
    .language_version:
      - 2
      - 0
    .max_flat_workgroup_size: 256
    .name:           _ZL15flash_attn_tileILi128ELi128ELi8ELi8ELb1EEvPKcS1_S1_S1_S1_PKiPfP15HIP_vector_typeIfLj2EEffffjfiS5_IjLj3EEiiiiiiiiiiiliiliiiiil
    .private_segment_fixed_size: 0
    .sgpr_count:     42
    .sgpr_spill_count: 0
    .symbol:         _ZL15flash_attn_tileILi128ELi128ELi8ELi8ELb1EEvPKcS1_S1_S1_S1_PKiPfP15HIP_vector_typeIfLj2EEffffjfiS5_IjLj3EEiiiiiiiiiiiliiliiiiil.kd
    .uniform_work_group_size: 1
    .uses_dynamic_stack: false
    .vgpr_count:     162
    .vgpr_spill_count: 0
    .wavefront_size: 32
    .workgroup_processor_mode: 1
  - .args:
      - .address_space:  global
        .offset:         0
        .size:           8
        .value_kind:     global_buffer
      - .address_space:  global
        .offset:         8
        .size:           8
        .value_kind:     global_buffer
      - .address_space:  global
        .offset:         16
        .size:           8
        .value_kind:     global_buffer
      - .address_space:  global
        .offset:         24
        .size:           8
        .value_kind:     global_buffer
      - .address_space:  global
        .offset:         32
        .size:           8
        .value_kind:     global_buffer
      - .address_space:  global
        .offset:         40
        .size:           8
        .value_kind:     global_buffer
      - .address_space:  global
        .offset:         48
        .size:           8
        .value_kind:     global_buffer
      - .address_space:  global
        .offset:         56
        .size:           8
        .value_kind:     global_buffer
      - .offset:         64
        .size:           4
        .value_kind:     by_value
      - .offset:         68
        .size:           4
        .value_kind:     by_value
      - .offset:         72
        .size:           4
        .value_kind:     by_value
      - .offset:         76
        .size:           4
        .value_kind:     by_value
      - .offset:         80
        .size:           4
        .value_kind:     by_value
      - .offset:         84
        .size:           4
        .value_kind:     by_value
      - .offset:         88
        .size:           4
        .value_kind:     by_value
      - .offset:         92
        .size:           12
        .value_kind:     by_value
      - .offset:         104
        .size:           4
        .value_kind:     by_value
      - .offset:         108
        .size:           4
        .value_kind:     by_value
      - .offset:         112
        .size:           4
        .value_kind:     by_value
      - .offset:         116
        .size:           4
        .value_kind:     by_value
      - .offset:         120
        .size:           4
        .value_kind:     by_value
      - .offset:         124
        .size:           4
        .value_kind:     by_value
      - .offset:         128
        .size:           4
        .value_kind:     by_value
      - .offset:         132
        .size:           4
        .value_kind:     by_value
      - .offset:         136
        .size:           4
        .value_kind:     by_value
      - .offset:         140
        .size:           4
        .value_kind:     by_value
      - .offset:         144
        .size:           4
        .value_kind:     by_value
      - .offset:         152
        .size:           8
        .value_kind:     by_value
      - .offset:         160
        .size:           4
        .value_kind:     by_value
      - .offset:         164
        .size:           4
        .value_kind:     by_value
      - .offset:         168
        .size:           8
        .value_kind:     by_value
      - .offset:         176
        .size:           4
        .value_kind:     by_value
      - .offset:         180
        .size:           4
        .value_kind:     by_value
      - .offset:         184
        .size:           4
        .value_kind:     by_value
      - .offset:         188
        .size:           4
        .value_kind:     by_value
      - .offset:         192
        .size:           4
        .value_kind:     by_value
      - .offset:         200
        .size:           8
        .value_kind:     by_value
      - .offset:         208
        .size:           4
        .value_kind:     hidden_block_count_x
      - .offset:         212
        .size:           4
        .value_kind:     hidden_block_count_y
      - .offset:         216
        .size:           4
        .value_kind:     hidden_block_count_z
      - .offset:         220
        .size:           2
        .value_kind:     hidden_group_size_x
      - .offset:         222
        .size:           2
        .value_kind:     hidden_group_size_y
      - .offset:         224
        .size:           2
        .value_kind:     hidden_group_size_z
      - .offset:         226
        .size:           2
        .value_kind:     hidden_remainder_x
      - .offset:         228
        .size:           2
        .value_kind:     hidden_remainder_y
      - .offset:         230
        .size:           2
        .value_kind:     hidden_remainder_z
      - .offset:         248
        .size:           8
        .value_kind:     hidden_global_offset_x
      - .offset:         256
        .size:           8
        .value_kind:     hidden_global_offset_y
      - .offset:         264
        .size:           8
        .value_kind:     hidden_global_offset_z
      - .offset:         272
        .size:           2
        .value_kind:     hidden_grid_dims
    .group_segment_fixed_size: 34816
    .kernarg_segment_align: 8
    .kernarg_segment_size: 464
    .language:       OpenCL C
    .language_version:
      - 2
      - 0
    .max_flat_workgroup_size: 256
    .name:           _ZL15flash_attn_tileILi128ELi128ELi4ELi8ELb1EEvPKcS1_S1_S1_S1_PKiPfP15HIP_vector_typeIfLj2EEffffjfiS5_IjLj3EEiiiiiiiiiiiliiliiiiil
    .private_segment_fixed_size: 0
    .sgpr_count:     42
    .sgpr_spill_count: 0
    .symbol:         _ZL15flash_attn_tileILi128ELi128ELi4ELi8ELb1EEvPKcS1_S1_S1_S1_PKiPfP15HIP_vector_typeIfLj2EEffffjfiS5_IjLj3EEiiiiiiiiiiiliiliiiiil.kd
    .uniform_work_group_size: 1
    .uses_dynamic_stack: false
    .vgpr_count:     202
    .vgpr_spill_count: 0
    .wavefront_size: 32
    .workgroup_processor_mode: 1
  - .args:
      - .address_space:  global
        .offset:         0
        .size:           8
        .value_kind:     global_buffer
      - .address_space:  global
        .offset:         8
        .size:           8
        .value_kind:     global_buffer
      - .address_space:  global
        .offset:         16
        .size:           8
        .value_kind:     global_buffer
      - .address_space:  global
        .offset:         24
        .size:           8
        .value_kind:     global_buffer
      - .address_space:  global
        .offset:         32
        .size:           8
        .value_kind:     global_buffer
      - .address_space:  global
        .offset:         40
        .size:           8
        .value_kind:     global_buffer
      - .address_space:  global
        .offset:         48
        .size:           8
        .value_kind:     global_buffer
      - .address_space:  global
        .offset:         56
        .size:           8
        .value_kind:     global_buffer
      - .offset:         64
        .size:           4
        .value_kind:     by_value
      - .offset:         68
        .size:           4
        .value_kind:     by_value
      - .offset:         72
        .size:           4
        .value_kind:     by_value
      - .offset:         76
        .size:           4
        .value_kind:     by_value
      - .offset:         80
        .size:           4
        .value_kind:     by_value
      - .offset:         84
        .size:           4
        .value_kind:     by_value
      - .offset:         88
        .size:           4
        .value_kind:     by_value
      - .offset:         92
        .size:           12
        .value_kind:     by_value
      - .offset:         104
        .size:           4
        .value_kind:     by_value
      - .offset:         108
        .size:           4
        .value_kind:     by_value
      - .offset:         112
        .size:           4
        .value_kind:     by_value
      - .offset:         116
        .size:           4
        .value_kind:     by_value
      - .offset:         120
        .size:           4
        .value_kind:     by_value
      - .offset:         124
        .size:           4
        .value_kind:     by_value
      - .offset:         128
        .size:           4
        .value_kind:     by_value
      - .offset:         132
        .size:           4
        .value_kind:     by_value
      - .offset:         136
        .size:           4
        .value_kind:     by_value
      - .offset:         140
        .size:           4
        .value_kind:     by_value
      - .offset:         144
        .size:           4
        .value_kind:     by_value
      - .offset:         152
        .size:           8
        .value_kind:     by_value
      - .offset:         160
        .size:           4
        .value_kind:     by_value
      - .offset:         164
        .size:           4
        .value_kind:     by_value
      - .offset:         168
        .size:           8
        .value_kind:     by_value
      - .offset:         176
        .size:           4
        .value_kind:     by_value
      - .offset:         180
        .size:           4
        .value_kind:     by_value
      - .offset:         184
        .size:           4
        .value_kind:     by_value
      - .offset:         188
        .size:           4
        .value_kind:     by_value
      - .offset:         192
        .size:           4
        .value_kind:     by_value
      - .offset:         200
        .size:           8
        .value_kind:     by_value
      - .offset:         208
        .size:           4
        .value_kind:     hidden_block_count_x
      - .offset:         212
        .size:           4
        .value_kind:     hidden_block_count_y
      - .offset:         216
        .size:           4
        .value_kind:     hidden_block_count_z
      - .offset:         220
        .size:           2
        .value_kind:     hidden_group_size_x
      - .offset:         222
        .size:           2
        .value_kind:     hidden_group_size_y
      - .offset:         224
        .size:           2
        .value_kind:     hidden_group_size_z
      - .offset:         226
        .size:           2
        .value_kind:     hidden_remainder_x
      - .offset:         228
        .size:           2
        .value_kind:     hidden_remainder_y
      - .offset:         230
        .size:           2
        .value_kind:     hidden_remainder_z
      - .offset:         248
        .size:           8
        .value_kind:     hidden_global_offset_x
      - .offset:         256
        .size:           8
        .value_kind:     hidden_global_offset_y
      - .offset:         264
        .size:           8
        .value_kind:     hidden_global_offset_z
      - .offset:         272
        .size:           2
        .value_kind:     hidden_grid_dims
    .group_segment_fixed_size: 43008
    .kernarg_segment_align: 8
    .kernarg_segment_size: 464
    .language:       OpenCL C
    .language_version:
      - 2
      - 0
    .max_flat_workgroup_size: 256
    .name:           _ZL15flash_attn_tileILi128ELi128ELi2ELi8ELb1EEvPKcS1_S1_S1_S1_PKiPfP15HIP_vector_typeIfLj2EEffffjfiS5_IjLj3EEiiiiiiiiiiiliiliiiiil
    .private_segment_fixed_size: 0
    .sgpr_count:     42
    .sgpr_spill_count: 0
    .symbol:         _ZL15flash_attn_tileILi128ELi128ELi2ELi8ELb1EEvPKcS1_S1_S1_S1_PKiPfP15HIP_vector_typeIfLj2EEffffjfiS5_IjLj3EEiiiiiiiiiiiliiliiiiil.kd
    .uniform_work_group_size: 1
    .uses_dynamic_stack: false
    .vgpr_count:     236
    .vgpr_spill_count: 0
    .wavefront_size: 32
    .workgroup_processor_mode: 1
  - .args:
      - .address_space:  global
        .offset:         0
        .size:           8
        .value_kind:     global_buffer
      - .address_space:  global
        .offset:         8
        .size:           8
        .value_kind:     global_buffer
      - .address_space:  global
        .offset:         16
        .size:           8
        .value_kind:     global_buffer
      - .address_space:  global
        .offset:         24
        .size:           8
        .value_kind:     global_buffer
      - .address_space:  global
        .offset:         32
        .size:           8
        .value_kind:     global_buffer
      - .address_space:  global
        .offset:         40
        .size:           8
        .value_kind:     global_buffer
      - .address_space:  global
        .offset:         48
        .size:           8
        .value_kind:     global_buffer
      - .address_space:  global
        .offset:         56
        .size:           8
        .value_kind:     global_buffer
      - .offset:         64
        .size:           4
        .value_kind:     by_value
      - .offset:         68
        .size:           4
        .value_kind:     by_value
      - .offset:         72
        .size:           4
        .value_kind:     by_value
      - .offset:         76
        .size:           4
        .value_kind:     by_value
      - .offset:         80
        .size:           4
        .value_kind:     by_value
      - .offset:         84
        .size:           4
        .value_kind:     by_value
      - .offset:         88
        .size:           4
        .value_kind:     by_value
      - .offset:         92
        .size:           12
        .value_kind:     by_value
      - .offset:         104
        .size:           4
        .value_kind:     by_value
      - .offset:         108
        .size:           4
        .value_kind:     by_value
      - .offset:         112
        .size:           4
        .value_kind:     by_value
      - .offset:         116
        .size:           4
        .value_kind:     by_value
      - .offset:         120
        .size:           4
        .value_kind:     by_value
      - .offset:         124
        .size:           4
        .value_kind:     by_value
      - .offset:         128
        .size:           4
        .value_kind:     by_value
      - .offset:         132
        .size:           4
        .value_kind:     by_value
      - .offset:         136
        .size:           4
        .value_kind:     by_value
      - .offset:         140
        .size:           4
        .value_kind:     by_value
      - .offset:         144
        .size:           4
        .value_kind:     by_value
      - .offset:         152
        .size:           8
        .value_kind:     by_value
      - .offset:         160
        .size:           4
        .value_kind:     by_value
      - .offset:         164
        .size:           4
        .value_kind:     by_value
      - .offset:         168
        .size:           8
        .value_kind:     by_value
      - .offset:         176
        .size:           4
        .value_kind:     by_value
      - .offset:         180
        .size:           4
        .value_kind:     by_value
      - .offset:         184
        .size:           4
        .value_kind:     by_value
      - .offset:         188
        .size:           4
        .value_kind:     by_value
      - .offset:         192
        .size:           4
        .value_kind:     by_value
      - .offset:         200
        .size:           8
        .value_kind:     by_value
      - .offset:         208
        .size:           4
        .value_kind:     hidden_block_count_x
      - .offset:         212
        .size:           4
        .value_kind:     hidden_block_count_y
      - .offset:         216
        .size:           4
        .value_kind:     hidden_block_count_z
      - .offset:         220
        .size:           2
        .value_kind:     hidden_group_size_x
      - .offset:         222
        .size:           2
        .value_kind:     hidden_group_size_y
      - .offset:         224
        .size:           2
        .value_kind:     hidden_group_size_z
      - .offset:         226
        .size:           2
        .value_kind:     hidden_remainder_x
      - .offset:         228
        .size:           2
        .value_kind:     hidden_remainder_y
      - .offset:         230
        .size:           2
        .value_kind:     hidden_remainder_z
      - .offset:         248
        .size:           8
        .value_kind:     hidden_global_offset_x
      - .offset:         256
        .size:           8
        .value_kind:     hidden_global_offset_y
      - .offset:         264
        .size:           8
        .value_kind:     hidden_global_offset_z
      - .offset:         272
        .size:           2
        .value_kind:     hidden_grid_dims
    .group_segment_fixed_size: 12288
    .kernarg_segment_align: 8
    .kernarg_segment_size: 464
    .language:       OpenCL C
    .language_version:
      - 2
      - 0
    .max_flat_workgroup_size: 128
    .name:           _ZL15flash_attn_tileILi128ELi128ELi1ELi8ELb1EEvPKcS1_S1_S1_S1_PKiPfP15HIP_vector_typeIfLj2EEffffjfiS5_IjLj3EEiiiiiiiiiiiliiliiiiil
    .private_segment_fixed_size: 0
    .sgpr_count:     42
    .sgpr_spill_count: 0
    .symbol:         _ZL15flash_attn_tileILi128ELi128ELi1ELi8ELb1EEvPKcS1_S1_S1_S1_PKiPfP15HIP_vector_typeIfLj2EEffffjfiS5_IjLj3EEiiiiiiiiiiiliiliiiiil.kd
    .uniform_work_group_size: 1
    .uses_dynamic_stack: false
    .vgpr_count:     74
    .vgpr_spill_count: 0
    .wavefront_size: 32
    .workgroup_processor_mode: 1
  - .args:
      - .address_space:  global
        .offset:         0
        .size:           8
        .value_kind:     global_buffer
      - .address_space:  global
        .offset:         8
        .size:           8
        .value_kind:     global_buffer
      - .address_space:  global
        .offset:         16
        .size:           8
        .value_kind:     global_buffer
      - .address_space:  global
        .offset:         24
        .size:           8
        .value_kind:     global_buffer
      - .address_space:  global
        .offset:         32
        .size:           8
        .value_kind:     global_buffer
      - .address_space:  global
        .offset:         40
        .size:           8
        .value_kind:     global_buffer
      - .address_space:  global
        .offset:         48
        .size:           8
        .value_kind:     global_buffer
      - .address_space:  global
        .offset:         56
        .size:           8
        .value_kind:     global_buffer
      - .offset:         64
        .size:           4
        .value_kind:     by_value
      - .offset:         68
        .size:           4
        .value_kind:     by_value
      - .offset:         72
        .size:           4
        .value_kind:     by_value
      - .offset:         76
        .size:           4
        .value_kind:     by_value
      - .offset:         80
        .size:           4
        .value_kind:     by_value
      - .offset:         84
        .size:           4
        .value_kind:     by_value
      - .offset:         88
        .size:           4
        .value_kind:     by_value
      - .offset:         92
        .size:           12
        .value_kind:     by_value
      - .offset:         104
        .size:           4
        .value_kind:     by_value
      - .offset:         108
        .size:           4
        .value_kind:     by_value
      - .offset:         112
        .size:           4
        .value_kind:     by_value
      - .offset:         116
        .size:           4
        .value_kind:     by_value
      - .offset:         120
        .size:           4
        .value_kind:     by_value
      - .offset:         124
        .size:           4
        .value_kind:     by_value
      - .offset:         128
        .size:           4
        .value_kind:     by_value
      - .offset:         132
        .size:           4
        .value_kind:     by_value
      - .offset:         136
        .size:           4
        .value_kind:     by_value
      - .offset:         140
        .size:           4
        .value_kind:     by_value
      - .offset:         144
        .size:           4
        .value_kind:     by_value
      - .offset:         152
        .size:           8
        .value_kind:     by_value
      - .offset:         160
        .size:           4
        .value_kind:     by_value
      - .offset:         164
        .size:           4
        .value_kind:     by_value
      - .offset:         168
        .size:           8
        .value_kind:     by_value
      - .offset:         176
        .size:           4
        .value_kind:     by_value
      - .offset:         180
        .size:           4
        .value_kind:     by_value
      - .offset:         184
        .size:           4
        .value_kind:     by_value
      - .offset:         188
        .size:           4
        .value_kind:     by_value
      - .offset:         192
        .size:           4
        .value_kind:     by_value
      - .offset:         200
        .size:           8
        .value_kind:     by_value
      - .offset:         208
        .size:           4
        .value_kind:     hidden_block_count_x
      - .offset:         212
        .size:           4
        .value_kind:     hidden_block_count_y
      - .offset:         216
        .size:           4
        .value_kind:     hidden_block_count_z
      - .offset:         220
        .size:           2
        .value_kind:     hidden_group_size_x
      - .offset:         222
        .size:           2
        .value_kind:     hidden_group_size_y
      - .offset:         224
        .size:           2
        .value_kind:     hidden_group_size_z
      - .offset:         226
        .size:           2
        .value_kind:     hidden_remainder_x
      - .offset:         228
        .size:           2
        .value_kind:     hidden_remainder_y
      - .offset:         230
        .size:           2
        .value_kind:     hidden_remainder_z
      - .offset:         248
        .size:           8
        .value_kind:     hidden_global_offset_x
      - .offset:         256
        .size:           8
        .value_kind:     hidden_global_offset_y
      - .offset:         264
        .size:           8
        .value_kind:     hidden_global_offset_z
      - .offset:         272
        .size:           2
        .value_kind:     hidden_grid_dims
    .group_segment_fixed_size: 33792
    .kernarg_segment_align: 8
    .kernarg_segment_size: 464
    .language:       OpenCL C
    .language_version:
      - 2
      - 0
    .max_flat_workgroup_size: 256
    .name:           _ZL15flash_attn_tileILi128ELi128ELi16ELi4ELb1EEvPKcS1_S1_S1_S1_PKiPfP15HIP_vector_typeIfLj2EEffffjfiS5_IjLj3EEiiiiiiiiiiiliiliiiiil
    .private_segment_fixed_size: 0
    .sgpr_count:     45
    .sgpr_spill_count: 0
    .symbol:         _ZL15flash_attn_tileILi128ELi128ELi16ELi4ELb1EEvPKcS1_S1_S1_S1_PKiPfP15HIP_vector_typeIfLj2EEffffjfiS5_IjLj3EEiiiiiiiiiiiliiliiiiil.kd
    .uniform_work_group_size: 1
    .uses_dynamic_stack: false
    .vgpr_count:     172
    .vgpr_spill_count: 0
    .wavefront_size: 32
    .workgroup_processor_mode: 1
  - .args:
      - .address_space:  global
        .offset:         0
        .size:           8
        .value_kind:     global_buffer
      - .address_space:  global
        .offset:         8
        .size:           8
        .value_kind:     global_buffer
      - .address_space:  global
        .offset:         16
        .size:           8
        .value_kind:     global_buffer
      - .address_space:  global
        .offset:         24
        .size:           8
        .value_kind:     global_buffer
      - .address_space:  global
        .offset:         32
        .size:           8
        .value_kind:     global_buffer
      - .address_space:  global
        .offset:         40
        .size:           8
        .value_kind:     global_buffer
      - .address_space:  global
        .offset:         48
        .size:           8
        .value_kind:     global_buffer
      - .address_space:  global
        .offset:         56
        .size:           8
        .value_kind:     global_buffer
      - .offset:         64
        .size:           4
        .value_kind:     by_value
      - .offset:         68
        .size:           4
        .value_kind:     by_value
      - .offset:         72
        .size:           4
        .value_kind:     by_value
      - .offset:         76
        .size:           4
        .value_kind:     by_value
      - .offset:         80
        .size:           4
        .value_kind:     by_value
      - .offset:         84
        .size:           4
        .value_kind:     by_value
      - .offset:         88
        .size:           4
        .value_kind:     by_value
      - .offset:         92
        .size:           12
        .value_kind:     by_value
      - .offset:         104
        .size:           4
        .value_kind:     by_value
      - .offset:         108
        .size:           4
        .value_kind:     by_value
      - .offset:         112
        .size:           4
        .value_kind:     by_value
      - .offset:         116
        .size:           4
        .value_kind:     by_value
      - .offset:         120
        .size:           4
        .value_kind:     by_value
      - .offset:         124
        .size:           4
        .value_kind:     by_value
      - .offset:         128
        .size:           4
        .value_kind:     by_value
      - .offset:         132
        .size:           4
        .value_kind:     by_value
      - .offset:         136
        .size:           4
        .value_kind:     by_value
      - .offset:         140
        .size:           4
        .value_kind:     by_value
      - .offset:         144
        .size:           4
        .value_kind:     by_value
      - .offset:         152
        .size:           8
        .value_kind:     by_value
      - .offset:         160
        .size:           4
        .value_kind:     by_value
      - .offset:         164
        .size:           4
        .value_kind:     by_value
      - .offset:         168
        .size:           8
        .value_kind:     by_value
      - .offset:         176
        .size:           4
        .value_kind:     by_value
      - .offset:         180
        .size:           4
        .value_kind:     by_value
      - .offset:         184
        .size:           4
        .value_kind:     by_value
      - .offset:         188
        .size:           4
        .value_kind:     by_value
      - .offset:         192
        .size:           4
        .value_kind:     by_value
      - .offset:         200
        .size:           8
        .value_kind:     by_value
      - .offset:         208
        .size:           4
        .value_kind:     hidden_block_count_x
      - .offset:         212
        .size:           4
        .value_kind:     hidden_block_count_y
      - .offset:         216
        .size:           4
        .value_kind:     hidden_block_count_z
      - .offset:         220
        .size:           2
        .value_kind:     hidden_group_size_x
      - .offset:         222
        .size:           2
        .value_kind:     hidden_group_size_y
      - .offset:         224
        .size:           2
        .value_kind:     hidden_group_size_z
      - .offset:         226
        .size:           2
        .value_kind:     hidden_remainder_x
      - .offset:         228
        .size:           2
        .value_kind:     hidden_remainder_y
      - .offset:         230
        .size:           2
        .value_kind:     hidden_remainder_z
      - .offset:         248
        .size:           8
        .value_kind:     hidden_global_offset_x
      - .offset:         256
        .size:           8
        .value_kind:     hidden_global_offset_y
      - .offset:         264
        .size:           8
        .value_kind:     hidden_global_offset_z
      - .offset:         272
        .size:           2
        .value_kind:     hidden_grid_dims
    .group_segment_fixed_size: 34816
    .kernarg_segment_align: 8
    .kernarg_segment_size: 464
    .language:       OpenCL C
    .language_version:
      - 2
      - 0
    .max_flat_workgroup_size: 256
    .name:           _ZL15flash_attn_tileILi128ELi128ELi8ELi4ELb1EEvPKcS1_S1_S1_S1_PKiPfP15HIP_vector_typeIfLj2EEffffjfiS5_IjLj3EEiiiiiiiiiiiliiliiiiil
    .private_segment_fixed_size: 0
    .sgpr_count:     42
    .sgpr_spill_count: 0
    .symbol:         _ZL15flash_attn_tileILi128ELi128ELi8ELi4ELb1EEvPKcS1_S1_S1_S1_PKiPfP15HIP_vector_typeIfLj2EEffffjfiS5_IjLj3EEiiiiiiiiiiiliiliiiiil.kd
    .uniform_work_group_size: 1
    .uses_dynamic_stack: false
    .vgpr_count:     201
    .vgpr_spill_count: 0
    .wavefront_size: 32
    .workgroup_processor_mode: 1
  - .args:
      - .address_space:  global
        .offset:         0
        .size:           8
        .value_kind:     global_buffer
      - .address_space:  global
        .offset:         8
        .size:           8
        .value_kind:     global_buffer
      - .address_space:  global
        .offset:         16
        .size:           8
        .value_kind:     global_buffer
      - .address_space:  global
        .offset:         24
        .size:           8
        .value_kind:     global_buffer
      - .address_space:  global
        .offset:         32
        .size:           8
        .value_kind:     global_buffer
      - .address_space:  global
        .offset:         40
        .size:           8
        .value_kind:     global_buffer
      - .address_space:  global
        .offset:         48
        .size:           8
        .value_kind:     global_buffer
      - .address_space:  global
        .offset:         56
        .size:           8
        .value_kind:     global_buffer
      - .offset:         64
        .size:           4
        .value_kind:     by_value
      - .offset:         68
        .size:           4
        .value_kind:     by_value
      - .offset:         72
        .size:           4
        .value_kind:     by_value
      - .offset:         76
        .size:           4
        .value_kind:     by_value
      - .offset:         80
        .size:           4
        .value_kind:     by_value
      - .offset:         84
        .size:           4
        .value_kind:     by_value
      - .offset:         88
        .size:           4
        .value_kind:     by_value
      - .offset:         92
        .size:           12
        .value_kind:     by_value
      - .offset:         104
        .size:           4
        .value_kind:     by_value
      - .offset:         108
        .size:           4
        .value_kind:     by_value
      - .offset:         112
        .size:           4
        .value_kind:     by_value
      - .offset:         116
        .size:           4
        .value_kind:     by_value
      - .offset:         120
        .size:           4
        .value_kind:     by_value
      - .offset:         124
        .size:           4
        .value_kind:     by_value
      - .offset:         128
        .size:           4
        .value_kind:     by_value
      - .offset:         132
        .size:           4
        .value_kind:     by_value
      - .offset:         136
        .size:           4
        .value_kind:     by_value
      - .offset:         140
        .size:           4
        .value_kind:     by_value
      - .offset:         144
        .size:           4
        .value_kind:     by_value
      - .offset:         152
        .size:           8
        .value_kind:     by_value
      - .offset:         160
        .size:           4
        .value_kind:     by_value
      - .offset:         164
        .size:           4
        .value_kind:     by_value
      - .offset:         168
        .size:           8
        .value_kind:     by_value
      - .offset:         176
        .size:           4
        .value_kind:     by_value
      - .offset:         180
        .size:           4
        .value_kind:     by_value
      - .offset:         184
        .size:           4
        .value_kind:     by_value
      - .offset:         188
        .size:           4
        .value_kind:     by_value
      - .offset:         192
        .size:           4
        .value_kind:     by_value
      - .offset:         200
        .size:           8
        .value_kind:     by_value
      - .offset:         208
        .size:           4
        .value_kind:     hidden_block_count_x
      - .offset:         212
        .size:           4
        .value_kind:     hidden_block_count_y
      - .offset:         216
        .size:           4
        .value_kind:     hidden_block_count_z
      - .offset:         220
        .size:           2
        .value_kind:     hidden_group_size_x
      - .offset:         222
        .size:           2
        .value_kind:     hidden_group_size_y
      - .offset:         224
        .size:           2
        .value_kind:     hidden_group_size_z
      - .offset:         226
        .size:           2
        .value_kind:     hidden_remainder_x
      - .offset:         228
        .size:           2
        .value_kind:     hidden_remainder_y
      - .offset:         230
        .size:           2
        .value_kind:     hidden_remainder_z
      - .offset:         248
        .size:           8
        .value_kind:     hidden_global_offset_x
      - .offset:         256
        .size:           8
        .value_kind:     hidden_global_offset_y
      - .offset:         264
        .size:           8
        .value_kind:     hidden_global_offset_z
      - .offset:         272
        .size:           2
        .value_kind:     hidden_grid_dims
    .group_segment_fixed_size: 43008
    .kernarg_segment_align: 8
    .kernarg_segment_size: 464
    .language:       OpenCL C
    .language_version:
      - 2
      - 0
    .max_flat_workgroup_size: 256
    .name:           _ZL15flash_attn_tileILi128ELi128ELi4ELi4ELb1EEvPKcS1_S1_S1_S1_PKiPfP15HIP_vector_typeIfLj2EEffffjfiS5_IjLj3EEiiiiiiiiiiiliiliiiiil
    .private_segment_fixed_size: 0
    .sgpr_count:     42
    .sgpr_spill_count: 0
    .symbol:         _ZL15flash_attn_tileILi128ELi128ELi4ELi4ELb1EEvPKcS1_S1_S1_S1_PKiPfP15HIP_vector_typeIfLj2EEffffjfiS5_IjLj3EEiiiiiiiiiiiliiliiiiil.kd
    .uniform_work_group_size: 1
    .uses_dynamic_stack: false
    .vgpr_count:     236
    .vgpr_spill_count: 0
    .wavefront_size: 32
    .workgroup_processor_mode: 1
  - .args:
      - .address_space:  global
        .offset:         0
        .size:           8
        .value_kind:     global_buffer
      - .address_space:  global
        .offset:         8
        .size:           8
        .value_kind:     global_buffer
      - .address_space:  global
        .offset:         16
        .size:           8
        .value_kind:     global_buffer
      - .address_space:  global
        .offset:         24
        .size:           8
        .value_kind:     global_buffer
      - .address_space:  global
        .offset:         32
        .size:           8
        .value_kind:     global_buffer
      - .address_space:  global
        .offset:         40
        .size:           8
        .value_kind:     global_buffer
      - .address_space:  global
        .offset:         48
        .size:           8
        .value_kind:     global_buffer
      - .address_space:  global
        .offset:         56
        .size:           8
        .value_kind:     global_buffer
      - .offset:         64
        .size:           4
        .value_kind:     by_value
      - .offset:         68
        .size:           4
        .value_kind:     by_value
      - .offset:         72
        .size:           4
        .value_kind:     by_value
      - .offset:         76
        .size:           4
        .value_kind:     by_value
      - .offset:         80
        .size:           4
        .value_kind:     by_value
      - .offset:         84
        .size:           4
        .value_kind:     by_value
      - .offset:         88
        .size:           4
        .value_kind:     by_value
      - .offset:         92
        .size:           12
        .value_kind:     by_value
      - .offset:         104
        .size:           4
        .value_kind:     by_value
      - .offset:         108
        .size:           4
        .value_kind:     by_value
      - .offset:         112
        .size:           4
        .value_kind:     by_value
      - .offset:         116
        .size:           4
        .value_kind:     by_value
      - .offset:         120
        .size:           4
        .value_kind:     by_value
      - .offset:         124
        .size:           4
        .value_kind:     by_value
      - .offset:         128
        .size:           4
        .value_kind:     by_value
      - .offset:         132
        .size:           4
        .value_kind:     by_value
      - .offset:         136
        .size:           4
        .value_kind:     by_value
      - .offset:         140
        .size:           4
        .value_kind:     by_value
      - .offset:         144
        .size:           4
        .value_kind:     by_value
      - .offset:         152
        .size:           8
        .value_kind:     by_value
      - .offset:         160
        .size:           4
        .value_kind:     by_value
      - .offset:         164
        .size:           4
        .value_kind:     by_value
      - .offset:         168
        .size:           8
        .value_kind:     by_value
      - .offset:         176
        .size:           4
        .value_kind:     by_value
      - .offset:         180
        .size:           4
        .value_kind:     by_value
      - .offset:         184
        .size:           4
        .value_kind:     by_value
      - .offset:         188
        .size:           4
        .value_kind:     by_value
      - .offset:         192
        .size:           4
        .value_kind:     by_value
      - .offset:         200
        .size:           8
        .value_kind:     by_value
      - .offset:         208
        .size:           4
        .value_kind:     hidden_block_count_x
      - .offset:         212
        .size:           4
        .value_kind:     hidden_block_count_y
      - .offset:         216
        .size:           4
        .value_kind:     hidden_block_count_z
      - .offset:         220
        .size:           2
        .value_kind:     hidden_group_size_x
      - .offset:         222
        .size:           2
        .value_kind:     hidden_group_size_y
      - .offset:         224
        .size:           2
        .value_kind:     hidden_group_size_z
      - .offset:         226
        .size:           2
        .value_kind:     hidden_remainder_x
      - .offset:         228
        .size:           2
        .value_kind:     hidden_remainder_y
      - .offset:         230
        .size:           2
        .value_kind:     hidden_remainder_z
      - .offset:         248
        .size:           8
        .value_kind:     hidden_global_offset_x
      - .offset:         256
        .size:           8
        .value_kind:     hidden_global_offset_y
      - .offset:         264
        .size:           8
        .value_kind:     hidden_global_offset_z
      - .offset:         272
        .size:           2
        .value_kind:     hidden_grid_dims
    .group_segment_fixed_size: 12288
    .kernarg_segment_align: 8
    .kernarg_segment_size: 464
    .language:       OpenCL C
    .language_version:
      - 2
      - 0
    .max_flat_workgroup_size: 128
    .name:           _ZL15flash_attn_tileILi128ELi128ELi2ELi4ELb1EEvPKcS1_S1_S1_S1_PKiPfP15HIP_vector_typeIfLj2EEffffjfiS5_IjLj3EEiiiiiiiiiiiliiliiiiil
    .private_segment_fixed_size: 0
    .sgpr_count:     42
    .sgpr_spill_count: 0
    .symbol:         _ZL15flash_attn_tileILi128ELi128ELi2ELi4ELb1EEvPKcS1_S1_S1_S1_PKiPfP15HIP_vector_typeIfLj2EEffffjfiS5_IjLj3EEiiiiiiiiiiiliiliiiiil.kd
    .uniform_work_group_size: 1
    .uses_dynamic_stack: false
    .vgpr_count:     74
    .vgpr_spill_count: 0
    .wavefront_size: 32
    .workgroup_processor_mode: 1
  - .args:
      - .address_space:  global
        .offset:         0
        .size:           8
        .value_kind:     global_buffer
      - .address_space:  global
        .offset:         8
        .size:           8
        .value_kind:     global_buffer
      - .address_space:  global
        .offset:         16
        .size:           8
        .value_kind:     global_buffer
      - .address_space:  global
        .offset:         24
        .size:           8
        .value_kind:     global_buffer
      - .address_space:  global
        .offset:         32
        .size:           8
        .value_kind:     global_buffer
      - .address_space:  global
        .offset:         40
        .size:           8
        .value_kind:     global_buffer
      - .address_space:  global
        .offset:         48
        .size:           8
        .value_kind:     global_buffer
      - .address_space:  global
        .offset:         56
        .size:           8
        .value_kind:     global_buffer
      - .offset:         64
        .size:           4
        .value_kind:     by_value
      - .offset:         68
        .size:           4
        .value_kind:     by_value
      - .offset:         72
        .size:           4
        .value_kind:     by_value
      - .offset:         76
        .size:           4
        .value_kind:     by_value
      - .offset:         80
        .size:           4
        .value_kind:     by_value
      - .offset:         84
        .size:           4
        .value_kind:     by_value
      - .offset:         88
        .size:           4
        .value_kind:     by_value
      - .offset:         92
        .size:           12
        .value_kind:     by_value
      - .offset:         104
        .size:           4
        .value_kind:     by_value
      - .offset:         108
        .size:           4
        .value_kind:     by_value
      - .offset:         112
        .size:           4
        .value_kind:     by_value
      - .offset:         116
        .size:           4
        .value_kind:     by_value
      - .offset:         120
        .size:           4
        .value_kind:     by_value
      - .offset:         124
        .size:           4
        .value_kind:     by_value
      - .offset:         128
        .size:           4
        .value_kind:     by_value
      - .offset:         132
        .size:           4
        .value_kind:     by_value
      - .offset:         136
        .size:           4
        .value_kind:     by_value
      - .offset:         140
        .size:           4
        .value_kind:     by_value
      - .offset:         144
        .size:           4
        .value_kind:     by_value
      - .offset:         152
        .size:           8
        .value_kind:     by_value
      - .offset:         160
        .size:           4
        .value_kind:     by_value
      - .offset:         164
        .size:           4
        .value_kind:     by_value
      - .offset:         168
        .size:           8
        .value_kind:     by_value
      - .offset:         176
        .size:           4
        .value_kind:     by_value
      - .offset:         180
        .size:           4
        .value_kind:     by_value
      - .offset:         184
        .size:           4
        .value_kind:     by_value
      - .offset:         188
        .size:           4
        .value_kind:     by_value
      - .offset:         192
        .size:           4
        .value_kind:     by_value
      - .offset:         200
        .size:           8
        .value_kind:     by_value
      - .offset:         208
        .size:           4
        .value_kind:     hidden_block_count_x
      - .offset:         212
        .size:           4
        .value_kind:     hidden_block_count_y
      - .offset:         216
        .size:           4
        .value_kind:     hidden_block_count_z
      - .offset:         220
        .size:           2
        .value_kind:     hidden_group_size_x
      - .offset:         222
        .size:           2
        .value_kind:     hidden_group_size_y
      - .offset:         224
        .size:           2
        .value_kind:     hidden_group_size_z
      - .offset:         226
        .size:           2
        .value_kind:     hidden_remainder_x
      - .offset:         228
        .size:           2
        .value_kind:     hidden_remainder_y
      - .offset:         230
        .size:           2
        .value_kind:     hidden_remainder_z
      - .offset:         248
        .size:           8
        .value_kind:     hidden_global_offset_x
      - .offset:         256
        .size:           8
        .value_kind:     hidden_global_offset_y
      - .offset:         264
        .size:           8
        .value_kind:     hidden_global_offset_z
      - .offset:         272
        .size:           2
        .value_kind:     hidden_grid_dims
    .group_segment_fixed_size: 10752
    .kernarg_segment_align: 8
    .kernarg_segment_size: 464
    .language:       OpenCL C
    .language_version:
      - 2
      - 0
    .max_flat_workgroup_size: 128
    .name:           _ZL15flash_attn_tileILi128ELi128ELi1ELi4ELb1EEvPKcS1_S1_S1_S1_PKiPfP15HIP_vector_typeIfLj2EEffffjfiS5_IjLj3EEiiiiiiiiiiiliiliiiiil
    .private_segment_fixed_size: 0
    .sgpr_count:     42
    .sgpr_spill_count: 0
    .symbol:         _ZL15flash_attn_tileILi128ELi128ELi1ELi4ELb1EEvPKcS1_S1_S1_S1_PKiPfP15HIP_vector_typeIfLj2EEffffjfiS5_IjLj3EEiiiiiiiiiiiliiliiiiil.kd
    .uniform_work_group_size: 1
    .uses_dynamic_stack: false
    .vgpr_count:     128
    .vgpr_spill_count: 0
    .wavefront_size: 32
    .workgroup_processor_mode: 1
  - .args:
      - .address_space:  global
        .offset:         0
        .size:           8
        .value_kind:     global_buffer
      - .address_space:  global
        .offset:         8
        .size:           8
        .value_kind:     global_buffer
      - .address_space:  global
        .offset:         16
        .size:           8
        .value_kind:     global_buffer
      - .address_space:  global
        .offset:         24
        .size:           8
        .value_kind:     global_buffer
      - .address_space:  global
        .offset:         32
        .size:           8
        .value_kind:     global_buffer
      - .address_space:  global
        .offset:         40
        .size:           8
        .value_kind:     global_buffer
      - .address_space:  global
        .offset:         48
        .size:           8
        .value_kind:     global_buffer
      - .address_space:  global
        .offset:         56
        .size:           8
        .value_kind:     global_buffer
      - .offset:         64
        .size:           4
        .value_kind:     by_value
      - .offset:         68
        .size:           4
        .value_kind:     by_value
      - .offset:         72
        .size:           4
        .value_kind:     by_value
      - .offset:         76
        .size:           4
        .value_kind:     by_value
      - .offset:         80
        .size:           4
        .value_kind:     by_value
      - .offset:         84
        .size:           4
        .value_kind:     by_value
      - .offset:         88
        .size:           4
        .value_kind:     by_value
      - .offset:         92
        .size:           12
        .value_kind:     by_value
      - .offset:         104
        .size:           4
        .value_kind:     by_value
      - .offset:         108
        .size:           4
        .value_kind:     by_value
      - .offset:         112
        .size:           4
        .value_kind:     by_value
      - .offset:         116
        .size:           4
        .value_kind:     by_value
      - .offset:         120
        .size:           4
        .value_kind:     by_value
      - .offset:         124
        .size:           4
        .value_kind:     by_value
      - .offset:         128
        .size:           4
        .value_kind:     by_value
      - .offset:         132
        .size:           4
        .value_kind:     by_value
      - .offset:         136
        .size:           4
        .value_kind:     by_value
      - .offset:         140
        .size:           4
        .value_kind:     by_value
      - .offset:         144
        .size:           4
        .value_kind:     by_value
      - .offset:         152
        .size:           8
        .value_kind:     by_value
      - .offset:         160
        .size:           4
        .value_kind:     by_value
      - .offset:         164
        .size:           4
        .value_kind:     by_value
      - .offset:         168
        .size:           8
        .value_kind:     by_value
      - .offset:         176
        .size:           4
        .value_kind:     by_value
      - .offset:         180
        .size:           4
        .value_kind:     by_value
      - .offset:         184
        .size:           4
        .value_kind:     by_value
      - .offset:         188
        .size:           4
        .value_kind:     by_value
      - .offset:         192
        .size:           4
        .value_kind:     by_value
      - .offset:         200
        .size:           8
        .value_kind:     by_value
      - .offset:         208
        .size:           4
        .value_kind:     hidden_block_count_x
      - .offset:         212
        .size:           4
        .value_kind:     hidden_block_count_y
      - .offset:         216
        .size:           4
        .value_kind:     hidden_block_count_z
      - .offset:         220
        .size:           2
        .value_kind:     hidden_group_size_x
      - .offset:         222
        .size:           2
        .value_kind:     hidden_group_size_y
      - .offset:         224
        .size:           2
        .value_kind:     hidden_group_size_z
      - .offset:         226
        .size:           2
        .value_kind:     hidden_remainder_x
      - .offset:         228
        .size:           2
        .value_kind:     hidden_remainder_y
      - .offset:         230
        .size:           2
        .value_kind:     hidden_remainder_z
      - .offset:         248
        .size:           8
        .value_kind:     hidden_global_offset_x
      - .offset:         256
        .size:           8
        .value_kind:     hidden_global_offset_y
      - .offset:         264
        .size:           8
        .value_kind:     hidden_global_offset_z
      - .offset:         272
        .size:           2
        .value_kind:     hidden_grid_dims
    .group_segment_fixed_size: 33792
    .kernarg_segment_align: 8
    .kernarg_segment_size: 464
    .language:       OpenCL C
    .language_version:
      - 2
      - 0
    .max_flat_workgroup_size: 256
    .name:           _ZL15flash_attn_tileILi128ELi128ELi32ELi2ELb1EEvPKcS1_S1_S1_S1_PKiPfP15HIP_vector_typeIfLj2EEffffjfiS5_IjLj3EEiiiiiiiiiiiliiliiiiil
    .private_segment_fixed_size: 0
    .sgpr_count:     45
    .sgpr_spill_count: 0
    .symbol:         _ZL15flash_attn_tileILi128ELi128ELi32ELi2ELb1EEvPKcS1_S1_S1_S1_PKiPfP15HIP_vector_typeIfLj2EEffffjfiS5_IjLj3EEiiiiiiiiiiiliiliiiiil.kd
    .uniform_work_group_size: 1
    .uses_dynamic_stack: false
    .vgpr_count:     178
    .vgpr_spill_count: 0
    .wavefront_size: 32
    .workgroup_processor_mode: 1
  - .args:
      - .address_space:  global
        .offset:         0
        .size:           8
        .value_kind:     global_buffer
      - .address_space:  global
        .offset:         8
        .size:           8
        .value_kind:     global_buffer
      - .address_space:  global
        .offset:         16
        .size:           8
        .value_kind:     global_buffer
      - .address_space:  global
        .offset:         24
        .size:           8
        .value_kind:     global_buffer
      - .address_space:  global
        .offset:         32
        .size:           8
        .value_kind:     global_buffer
      - .address_space:  global
        .offset:         40
        .size:           8
        .value_kind:     global_buffer
      - .address_space:  global
        .offset:         48
        .size:           8
        .value_kind:     global_buffer
      - .address_space:  global
        .offset:         56
        .size:           8
        .value_kind:     global_buffer
      - .offset:         64
        .size:           4
        .value_kind:     by_value
      - .offset:         68
        .size:           4
        .value_kind:     by_value
      - .offset:         72
        .size:           4
        .value_kind:     by_value
      - .offset:         76
        .size:           4
        .value_kind:     by_value
      - .offset:         80
        .size:           4
        .value_kind:     by_value
      - .offset:         84
        .size:           4
        .value_kind:     by_value
      - .offset:         88
        .size:           4
        .value_kind:     by_value
      - .offset:         92
        .size:           12
        .value_kind:     by_value
      - .offset:         104
        .size:           4
        .value_kind:     by_value
      - .offset:         108
        .size:           4
        .value_kind:     by_value
      - .offset:         112
        .size:           4
        .value_kind:     by_value
      - .offset:         116
        .size:           4
        .value_kind:     by_value
      - .offset:         120
        .size:           4
        .value_kind:     by_value
      - .offset:         124
        .size:           4
        .value_kind:     by_value
      - .offset:         128
        .size:           4
        .value_kind:     by_value
      - .offset:         132
        .size:           4
        .value_kind:     by_value
      - .offset:         136
        .size:           4
        .value_kind:     by_value
      - .offset:         140
        .size:           4
        .value_kind:     by_value
      - .offset:         144
        .size:           4
        .value_kind:     by_value
      - .offset:         152
        .size:           8
        .value_kind:     by_value
      - .offset:         160
        .size:           4
        .value_kind:     by_value
      - .offset:         164
        .size:           4
        .value_kind:     by_value
      - .offset:         168
        .size:           8
        .value_kind:     by_value
      - .offset:         176
        .size:           4
        .value_kind:     by_value
      - .offset:         180
        .size:           4
        .value_kind:     by_value
      - .offset:         184
        .size:           4
        .value_kind:     by_value
      - .offset:         188
        .size:           4
        .value_kind:     by_value
      - .offset:         192
        .size:           4
        .value_kind:     by_value
      - .offset:         200
        .size:           8
        .value_kind:     by_value
      - .offset:         208
        .size:           4
        .value_kind:     hidden_block_count_x
      - .offset:         212
        .size:           4
        .value_kind:     hidden_block_count_y
      - .offset:         216
        .size:           4
        .value_kind:     hidden_block_count_z
      - .offset:         220
        .size:           2
        .value_kind:     hidden_group_size_x
      - .offset:         222
        .size:           2
        .value_kind:     hidden_group_size_y
      - .offset:         224
        .size:           2
        .value_kind:     hidden_group_size_z
      - .offset:         226
        .size:           2
        .value_kind:     hidden_remainder_x
      - .offset:         228
        .size:           2
        .value_kind:     hidden_remainder_y
      - .offset:         230
        .size:           2
        .value_kind:     hidden_remainder_z
      - .offset:         248
        .size:           8
        .value_kind:     hidden_global_offset_x
      - .offset:         256
        .size:           8
        .value_kind:     hidden_global_offset_y
      - .offset:         264
        .size:           8
        .value_kind:     hidden_global_offset_z
      - .offset:         272
        .size:           2
        .value_kind:     hidden_grid_dims
    .group_segment_fixed_size: 34816
    .kernarg_segment_align: 8
    .kernarg_segment_size: 464
    .language:       OpenCL C
    .language_version:
      - 2
      - 0
    .max_flat_workgroup_size: 256
    .name:           _ZL15flash_attn_tileILi128ELi128ELi16ELi2ELb1EEvPKcS1_S1_S1_S1_PKiPfP15HIP_vector_typeIfLj2EEffffjfiS5_IjLj3EEiiiiiiiiiiiliiliiiiil
    .private_segment_fixed_size: 0
    .sgpr_count:     45
    .sgpr_spill_count: 0
    .symbol:         _ZL15flash_attn_tileILi128ELi128ELi16ELi2ELb1EEvPKcS1_S1_S1_S1_PKiPfP15HIP_vector_typeIfLj2EEffffjfiS5_IjLj3EEiiiiiiiiiiiliiliiiiil.kd
    .uniform_work_group_size: 1
    .uses_dynamic_stack: false
    .vgpr_count:     207
    .vgpr_spill_count: 0
    .wavefront_size: 32
    .workgroup_processor_mode: 1
  - .args:
      - .address_space:  global
        .offset:         0
        .size:           8
        .value_kind:     global_buffer
      - .address_space:  global
        .offset:         8
        .size:           8
        .value_kind:     global_buffer
      - .address_space:  global
        .offset:         16
        .size:           8
        .value_kind:     global_buffer
      - .address_space:  global
        .offset:         24
        .size:           8
        .value_kind:     global_buffer
      - .address_space:  global
        .offset:         32
        .size:           8
        .value_kind:     global_buffer
      - .address_space:  global
        .offset:         40
        .size:           8
        .value_kind:     global_buffer
      - .address_space:  global
        .offset:         48
        .size:           8
        .value_kind:     global_buffer
      - .address_space:  global
        .offset:         56
        .size:           8
        .value_kind:     global_buffer
      - .offset:         64
        .size:           4
        .value_kind:     by_value
      - .offset:         68
        .size:           4
        .value_kind:     by_value
      - .offset:         72
        .size:           4
        .value_kind:     by_value
      - .offset:         76
        .size:           4
        .value_kind:     by_value
      - .offset:         80
        .size:           4
        .value_kind:     by_value
      - .offset:         84
        .size:           4
        .value_kind:     by_value
      - .offset:         88
        .size:           4
        .value_kind:     by_value
      - .offset:         92
        .size:           12
        .value_kind:     by_value
      - .offset:         104
        .size:           4
        .value_kind:     by_value
      - .offset:         108
        .size:           4
        .value_kind:     by_value
      - .offset:         112
        .size:           4
        .value_kind:     by_value
      - .offset:         116
        .size:           4
        .value_kind:     by_value
      - .offset:         120
        .size:           4
        .value_kind:     by_value
      - .offset:         124
        .size:           4
        .value_kind:     by_value
      - .offset:         128
        .size:           4
        .value_kind:     by_value
      - .offset:         132
        .size:           4
        .value_kind:     by_value
      - .offset:         136
        .size:           4
        .value_kind:     by_value
      - .offset:         140
        .size:           4
        .value_kind:     by_value
      - .offset:         144
        .size:           4
        .value_kind:     by_value
      - .offset:         152
        .size:           8
        .value_kind:     by_value
      - .offset:         160
        .size:           4
        .value_kind:     by_value
      - .offset:         164
        .size:           4
        .value_kind:     by_value
      - .offset:         168
        .size:           8
        .value_kind:     by_value
      - .offset:         176
        .size:           4
        .value_kind:     by_value
      - .offset:         180
        .size:           4
        .value_kind:     by_value
      - .offset:         184
        .size:           4
        .value_kind:     by_value
      - .offset:         188
        .size:           4
        .value_kind:     by_value
      - .offset:         192
        .size:           4
        .value_kind:     by_value
      - .offset:         200
        .size:           8
        .value_kind:     by_value
      - .offset:         208
        .size:           4
        .value_kind:     hidden_block_count_x
      - .offset:         212
        .size:           4
        .value_kind:     hidden_block_count_y
      - .offset:         216
        .size:           4
        .value_kind:     hidden_block_count_z
      - .offset:         220
        .size:           2
        .value_kind:     hidden_group_size_x
      - .offset:         222
        .size:           2
        .value_kind:     hidden_group_size_y
      - .offset:         224
        .size:           2
        .value_kind:     hidden_group_size_z
      - .offset:         226
        .size:           2
        .value_kind:     hidden_remainder_x
      - .offset:         228
        .size:           2
        .value_kind:     hidden_remainder_y
      - .offset:         230
        .size:           2
        .value_kind:     hidden_remainder_z
      - .offset:         248
        .size:           8
        .value_kind:     hidden_global_offset_x
      - .offset:         256
        .size:           8
        .value_kind:     hidden_global_offset_y
      - .offset:         264
        .size:           8
        .value_kind:     hidden_global_offset_z
      - .offset:         272
        .size:           2
        .value_kind:     hidden_grid_dims
    .group_segment_fixed_size: 43008
    .kernarg_segment_align: 8
    .kernarg_segment_size: 464
    .language:       OpenCL C
    .language_version:
      - 2
      - 0
    .max_flat_workgroup_size: 256
    .name:           _ZL15flash_attn_tileILi128ELi128ELi8ELi2ELb1EEvPKcS1_S1_S1_S1_PKiPfP15HIP_vector_typeIfLj2EEffffjfiS5_IjLj3EEiiiiiiiiiiiliiliiiiil
    .private_segment_fixed_size: 0
    .sgpr_count:     42
    .sgpr_spill_count: 0
    .symbol:         _ZL15flash_attn_tileILi128ELi128ELi8ELi2ELb1EEvPKcS1_S1_S1_S1_PKiPfP15HIP_vector_typeIfLj2EEffffjfiS5_IjLj3EEiiiiiiiiiiiliiliiiiil.kd
    .uniform_work_group_size: 1
    .uses_dynamic_stack: false
    .vgpr_count:     235
    .vgpr_spill_count: 0
    .wavefront_size: 32
    .workgroup_processor_mode: 1
  - .args:
      - .address_space:  global
        .offset:         0
        .size:           8
        .value_kind:     global_buffer
      - .address_space:  global
        .offset:         8
        .size:           8
        .value_kind:     global_buffer
      - .address_space:  global
        .offset:         16
        .size:           8
        .value_kind:     global_buffer
      - .address_space:  global
        .offset:         24
        .size:           8
        .value_kind:     global_buffer
      - .address_space:  global
        .offset:         32
        .size:           8
        .value_kind:     global_buffer
      - .address_space:  global
        .offset:         40
        .size:           8
        .value_kind:     global_buffer
      - .address_space:  global
        .offset:         48
        .size:           8
        .value_kind:     global_buffer
      - .address_space:  global
        .offset:         56
        .size:           8
        .value_kind:     global_buffer
      - .offset:         64
        .size:           4
        .value_kind:     by_value
      - .offset:         68
        .size:           4
        .value_kind:     by_value
      - .offset:         72
        .size:           4
        .value_kind:     by_value
      - .offset:         76
        .size:           4
        .value_kind:     by_value
      - .offset:         80
        .size:           4
        .value_kind:     by_value
      - .offset:         84
        .size:           4
        .value_kind:     by_value
      - .offset:         88
        .size:           4
        .value_kind:     by_value
      - .offset:         92
        .size:           12
        .value_kind:     by_value
      - .offset:         104
        .size:           4
        .value_kind:     by_value
      - .offset:         108
        .size:           4
        .value_kind:     by_value
      - .offset:         112
        .size:           4
        .value_kind:     by_value
      - .offset:         116
        .size:           4
        .value_kind:     by_value
      - .offset:         120
        .size:           4
        .value_kind:     by_value
      - .offset:         124
        .size:           4
        .value_kind:     by_value
      - .offset:         128
        .size:           4
        .value_kind:     by_value
      - .offset:         132
        .size:           4
        .value_kind:     by_value
      - .offset:         136
        .size:           4
        .value_kind:     by_value
      - .offset:         140
        .size:           4
        .value_kind:     by_value
      - .offset:         144
        .size:           4
        .value_kind:     by_value
      - .offset:         152
        .size:           8
        .value_kind:     by_value
      - .offset:         160
        .size:           4
        .value_kind:     by_value
      - .offset:         164
        .size:           4
        .value_kind:     by_value
      - .offset:         168
        .size:           8
        .value_kind:     by_value
      - .offset:         176
        .size:           4
        .value_kind:     by_value
      - .offset:         180
        .size:           4
        .value_kind:     by_value
      - .offset:         184
        .size:           4
        .value_kind:     by_value
      - .offset:         188
        .size:           4
        .value_kind:     by_value
      - .offset:         192
        .size:           4
        .value_kind:     by_value
      - .offset:         200
        .size:           8
        .value_kind:     by_value
      - .offset:         208
        .size:           4
        .value_kind:     hidden_block_count_x
      - .offset:         212
        .size:           4
        .value_kind:     hidden_block_count_y
      - .offset:         216
        .size:           4
        .value_kind:     hidden_block_count_z
      - .offset:         220
        .size:           2
        .value_kind:     hidden_group_size_x
      - .offset:         222
        .size:           2
        .value_kind:     hidden_group_size_y
      - .offset:         224
        .size:           2
        .value_kind:     hidden_group_size_z
      - .offset:         226
        .size:           2
        .value_kind:     hidden_remainder_x
      - .offset:         228
        .size:           2
        .value_kind:     hidden_remainder_y
      - .offset:         230
        .size:           2
        .value_kind:     hidden_remainder_z
      - .offset:         248
        .size:           8
        .value_kind:     hidden_global_offset_x
      - .offset:         256
        .size:           8
        .value_kind:     hidden_global_offset_y
      - .offset:         264
        .size:           8
        .value_kind:     hidden_global_offset_z
      - .offset:         272
        .size:           2
        .value_kind:     hidden_grid_dims
    .group_segment_fixed_size: 12288
    .kernarg_segment_align: 8
    .kernarg_segment_size: 464
    .language:       OpenCL C
    .language_version:
      - 2
      - 0
    .max_flat_workgroup_size: 128
    .name:           _ZL15flash_attn_tileILi128ELi128ELi4ELi2ELb1EEvPKcS1_S1_S1_S1_PKiPfP15HIP_vector_typeIfLj2EEffffjfiS5_IjLj3EEiiiiiiiiiiiliiliiiiil
    .private_segment_fixed_size: 32
    .sgpr_count:     46
    .sgpr_spill_count: 0
    .symbol:         _ZL15flash_attn_tileILi128ELi128ELi4ELi2ELb1EEvPKcS1_S1_S1_S1_PKiPfP15HIP_vector_typeIfLj2EEffffjfiS5_IjLj3EEiiiiiiiiiiiliiliiiiil.kd
    .uniform_work_group_size: 1
    .uses_dynamic_stack: false
    .vgpr_count:     128
    .vgpr_spill_count: 8
    .wavefront_size: 32
    .workgroup_processor_mode: 1
  - .args:
      - .address_space:  global
        .offset:         0
        .size:           8
        .value_kind:     global_buffer
      - .address_space:  global
        .offset:         8
        .size:           8
        .value_kind:     global_buffer
      - .address_space:  global
        .offset:         16
        .size:           8
        .value_kind:     global_buffer
      - .address_space:  global
        .offset:         24
        .size:           8
        .value_kind:     global_buffer
      - .address_space:  global
        .offset:         32
        .size:           8
        .value_kind:     global_buffer
      - .address_space:  global
        .offset:         40
        .size:           8
        .value_kind:     global_buffer
      - .address_space:  global
        .offset:         48
        .size:           8
        .value_kind:     global_buffer
      - .address_space:  global
        .offset:         56
        .size:           8
        .value_kind:     global_buffer
      - .offset:         64
        .size:           4
        .value_kind:     by_value
      - .offset:         68
        .size:           4
        .value_kind:     by_value
      - .offset:         72
        .size:           4
        .value_kind:     by_value
      - .offset:         76
        .size:           4
        .value_kind:     by_value
      - .offset:         80
        .size:           4
        .value_kind:     by_value
      - .offset:         84
        .size:           4
        .value_kind:     by_value
      - .offset:         88
        .size:           4
        .value_kind:     by_value
      - .offset:         92
        .size:           12
        .value_kind:     by_value
      - .offset:         104
        .size:           4
        .value_kind:     by_value
      - .offset:         108
        .size:           4
        .value_kind:     by_value
      - .offset:         112
        .size:           4
        .value_kind:     by_value
      - .offset:         116
        .size:           4
        .value_kind:     by_value
      - .offset:         120
        .size:           4
        .value_kind:     by_value
      - .offset:         124
        .size:           4
        .value_kind:     by_value
      - .offset:         128
        .size:           4
        .value_kind:     by_value
      - .offset:         132
        .size:           4
        .value_kind:     by_value
      - .offset:         136
        .size:           4
        .value_kind:     by_value
      - .offset:         140
        .size:           4
        .value_kind:     by_value
      - .offset:         144
        .size:           4
        .value_kind:     by_value
      - .offset:         152
        .size:           8
        .value_kind:     by_value
      - .offset:         160
        .size:           4
        .value_kind:     by_value
      - .offset:         164
        .size:           4
        .value_kind:     by_value
      - .offset:         168
        .size:           8
        .value_kind:     by_value
      - .offset:         176
        .size:           4
        .value_kind:     by_value
      - .offset:         180
        .size:           4
        .value_kind:     by_value
      - .offset:         184
        .size:           4
        .value_kind:     by_value
      - .offset:         188
        .size:           4
        .value_kind:     by_value
      - .offset:         192
        .size:           4
        .value_kind:     by_value
      - .offset:         200
        .size:           8
        .value_kind:     by_value
      - .offset:         208
        .size:           4
        .value_kind:     hidden_block_count_x
      - .offset:         212
        .size:           4
        .value_kind:     hidden_block_count_y
      - .offset:         216
        .size:           4
        .value_kind:     hidden_block_count_z
      - .offset:         220
        .size:           2
        .value_kind:     hidden_group_size_x
      - .offset:         222
        .size:           2
        .value_kind:     hidden_group_size_y
      - .offset:         224
        .size:           2
        .value_kind:     hidden_group_size_z
      - .offset:         226
        .size:           2
        .value_kind:     hidden_remainder_x
      - .offset:         228
        .size:           2
        .value_kind:     hidden_remainder_y
      - .offset:         230
        .size:           2
        .value_kind:     hidden_remainder_z
      - .offset:         248
        .size:           8
        .value_kind:     hidden_global_offset_x
      - .offset:         256
        .size:           8
        .value_kind:     hidden_global_offset_y
      - .offset:         264
        .size:           8
        .value_kind:     hidden_global_offset_z
      - .offset:         272
        .size:           2
        .value_kind:     hidden_grid_dims
    .group_segment_fixed_size: 10752
    .kernarg_segment_align: 8
    .kernarg_segment_size: 464
    .language:       OpenCL C
    .language_version:
      - 2
      - 0
    .max_flat_workgroup_size: 128
    .name:           _ZL15flash_attn_tileILi128ELi128ELi2ELi2ELb1EEvPKcS1_S1_S1_S1_PKiPfP15HIP_vector_typeIfLj2EEffffjfiS5_IjLj3EEiiiiiiiiiiiliiliiiiil
    .private_segment_fixed_size: 0
    .sgpr_count:     42
    .sgpr_spill_count: 0
    .symbol:         _ZL15flash_attn_tileILi128ELi128ELi2ELi2ELb1EEvPKcS1_S1_S1_S1_PKiPfP15HIP_vector_typeIfLj2EEffffjfiS5_IjLj3EEiiiiiiiiiiiliiliiiiil.kd
    .uniform_work_group_size: 1
    .uses_dynamic_stack: false
    .vgpr_count:     128
    .vgpr_spill_count: 0
    .wavefront_size: 32
    .workgroup_processor_mode: 1
  - .args:
      - .address_space:  global
        .offset:         0
        .size:           8
        .value_kind:     global_buffer
      - .address_space:  global
        .offset:         8
        .size:           8
        .value_kind:     global_buffer
      - .address_space:  global
        .offset:         16
        .size:           8
        .value_kind:     global_buffer
      - .address_space:  global
        .offset:         24
        .size:           8
        .value_kind:     global_buffer
      - .address_space:  global
        .offset:         32
        .size:           8
        .value_kind:     global_buffer
      - .address_space:  global
        .offset:         40
        .size:           8
        .value_kind:     global_buffer
      - .address_space:  global
        .offset:         48
        .size:           8
        .value_kind:     global_buffer
      - .address_space:  global
        .offset:         56
        .size:           8
        .value_kind:     global_buffer
      - .offset:         64
        .size:           4
        .value_kind:     by_value
      - .offset:         68
        .size:           4
        .value_kind:     by_value
      - .offset:         72
        .size:           4
        .value_kind:     by_value
      - .offset:         76
        .size:           4
        .value_kind:     by_value
      - .offset:         80
        .size:           4
        .value_kind:     by_value
      - .offset:         84
        .size:           4
        .value_kind:     by_value
      - .offset:         88
        .size:           4
        .value_kind:     by_value
      - .offset:         92
        .size:           12
        .value_kind:     by_value
      - .offset:         104
        .size:           4
        .value_kind:     by_value
      - .offset:         108
        .size:           4
        .value_kind:     by_value
      - .offset:         112
        .size:           4
        .value_kind:     by_value
      - .offset:         116
        .size:           4
        .value_kind:     by_value
      - .offset:         120
        .size:           4
        .value_kind:     by_value
      - .offset:         124
        .size:           4
        .value_kind:     by_value
      - .offset:         128
        .size:           4
        .value_kind:     by_value
      - .offset:         132
        .size:           4
        .value_kind:     by_value
      - .offset:         136
        .size:           4
        .value_kind:     by_value
      - .offset:         140
        .size:           4
        .value_kind:     by_value
      - .offset:         144
        .size:           4
        .value_kind:     by_value
      - .offset:         152
        .size:           8
        .value_kind:     by_value
      - .offset:         160
        .size:           4
        .value_kind:     by_value
      - .offset:         164
        .size:           4
        .value_kind:     by_value
      - .offset:         168
        .size:           8
        .value_kind:     by_value
      - .offset:         176
        .size:           4
        .value_kind:     by_value
      - .offset:         180
        .size:           4
        .value_kind:     by_value
      - .offset:         184
        .size:           4
        .value_kind:     by_value
      - .offset:         188
        .size:           4
        .value_kind:     by_value
      - .offset:         192
        .size:           4
        .value_kind:     by_value
      - .offset:         200
        .size:           8
        .value_kind:     by_value
      - .offset:         208
        .size:           4
        .value_kind:     hidden_block_count_x
      - .offset:         212
        .size:           4
        .value_kind:     hidden_block_count_y
      - .offset:         216
        .size:           4
        .value_kind:     hidden_block_count_z
      - .offset:         220
        .size:           2
        .value_kind:     hidden_group_size_x
      - .offset:         222
        .size:           2
        .value_kind:     hidden_group_size_y
      - .offset:         224
        .size:           2
        .value_kind:     hidden_group_size_z
      - .offset:         226
        .size:           2
        .value_kind:     hidden_remainder_x
      - .offset:         228
        .size:           2
        .value_kind:     hidden_remainder_y
      - .offset:         230
        .size:           2
        .value_kind:     hidden_remainder_z
      - .offset:         248
        .size:           8
        .value_kind:     hidden_global_offset_x
      - .offset:         256
        .size:           8
        .value_kind:     hidden_global_offset_y
      - .offset:         264
        .size:           8
        .value_kind:     hidden_global_offset_z
      - .offset:         272
        .size:           2
        .value_kind:     hidden_grid_dims
    .group_segment_fixed_size: 5248
    .kernarg_segment_align: 8
    .kernarg_segment_size: 464
    .language:       OpenCL C
    .language_version:
      - 2
      - 0
    .max_flat_workgroup_size: 64
    .name:           _ZL15flash_attn_tileILi128ELi128ELi1ELi2ELb1EEvPKcS1_S1_S1_S1_PKiPfP15HIP_vector_typeIfLj2EEffffjfiS5_IjLj3EEiiiiiiiiiiiliiliiiiil
    .private_segment_fixed_size: 0
    .sgpr_count:     43
    .sgpr_spill_count: 0
    .symbol:         _ZL15flash_attn_tileILi128ELi128ELi1ELi2ELb1EEvPKcS1_S1_S1_S1_PKiPfP15HIP_vector_typeIfLj2EEffffjfiS5_IjLj3EEiiiiiiiiiiiliiliiiiil.kd
    .uniform_work_group_size: 1
    .uses_dynamic_stack: false
    .vgpr_count:     110
    .vgpr_spill_count: 0
    .wavefront_size: 32
    .workgroup_processor_mode: 1
  - .args:
      - .address_space:  global
        .offset:         0
        .size:           8
        .value_kind:     global_buffer
      - .address_space:  global
        .offset:         8
        .size:           8
        .value_kind:     global_buffer
      - .address_space:  global
        .offset:         16
        .size:           8
        .value_kind:     global_buffer
      - .address_space:  global
        .offset:         24
        .size:           8
        .value_kind:     global_buffer
      - .address_space:  global
        .offset:         32
        .size:           8
        .value_kind:     global_buffer
      - .address_space:  global
        .offset:         40
        .size:           8
        .value_kind:     global_buffer
      - .address_space:  global
        .offset:         48
        .size:           8
        .value_kind:     global_buffer
      - .address_space:  global
        .offset:         56
        .size:           8
        .value_kind:     global_buffer
      - .offset:         64
        .size:           4
        .value_kind:     by_value
      - .offset:         68
        .size:           4
        .value_kind:     by_value
      - .offset:         72
        .size:           4
        .value_kind:     by_value
      - .offset:         76
        .size:           4
        .value_kind:     by_value
      - .offset:         80
        .size:           4
        .value_kind:     by_value
      - .offset:         84
        .size:           4
        .value_kind:     by_value
      - .offset:         88
        .size:           4
        .value_kind:     by_value
      - .offset:         92
        .size:           12
        .value_kind:     by_value
      - .offset:         104
        .size:           4
        .value_kind:     by_value
      - .offset:         108
        .size:           4
        .value_kind:     by_value
      - .offset:         112
        .size:           4
        .value_kind:     by_value
      - .offset:         116
        .size:           4
        .value_kind:     by_value
      - .offset:         120
        .size:           4
        .value_kind:     by_value
      - .offset:         124
        .size:           4
        .value_kind:     by_value
      - .offset:         128
        .size:           4
        .value_kind:     by_value
      - .offset:         132
        .size:           4
        .value_kind:     by_value
      - .offset:         136
        .size:           4
        .value_kind:     by_value
      - .offset:         140
        .size:           4
        .value_kind:     by_value
      - .offset:         144
        .size:           4
        .value_kind:     by_value
      - .offset:         152
        .size:           8
        .value_kind:     by_value
      - .offset:         160
        .size:           4
        .value_kind:     by_value
      - .offset:         164
        .size:           4
        .value_kind:     by_value
      - .offset:         168
        .size:           8
        .value_kind:     by_value
      - .offset:         176
        .size:           4
        .value_kind:     by_value
      - .offset:         180
        .size:           4
        .value_kind:     by_value
      - .offset:         184
        .size:           4
        .value_kind:     by_value
      - .offset:         188
        .size:           4
        .value_kind:     by_value
      - .offset:         192
        .size:           4
        .value_kind:     by_value
      - .offset:         200
        .size:           8
        .value_kind:     by_value
      - .offset:         208
        .size:           4
        .value_kind:     hidden_block_count_x
      - .offset:         212
        .size:           4
        .value_kind:     hidden_block_count_y
      - .offset:         216
        .size:           4
        .value_kind:     hidden_block_count_z
      - .offset:         220
        .size:           2
        .value_kind:     hidden_group_size_x
      - .offset:         222
        .size:           2
        .value_kind:     hidden_group_size_y
      - .offset:         224
        .size:           2
        .value_kind:     hidden_group_size_z
      - .offset:         226
        .size:           2
        .value_kind:     hidden_remainder_x
      - .offset:         228
        .size:           2
        .value_kind:     hidden_remainder_y
      - .offset:         230
        .size:           2
        .value_kind:     hidden_remainder_z
      - .offset:         248
        .size:           8
        .value_kind:     hidden_global_offset_x
      - .offset:         256
        .size:           8
        .value_kind:     hidden_global_offset_y
      - .offset:         264
        .size:           8
        .value_kind:     hidden_global_offset_z
      - .offset:         272
        .size:           2
        .value_kind:     hidden_grid_dims
    .group_segment_fixed_size: 33792
    .kernarg_segment_align: 8
    .kernarg_segment_size: 464
    .language:       OpenCL C
    .language_version:
      - 2
      - 0
    .max_flat_workgroup_size: 256
    .name:           _ZL15flash_attn_tileILi128ELi128ELi64ELi1ELb1EEvPKcS1_S1_S1_S1_PKiPfP15HIP_vector_typeIfLj2EEffffjfiS5_IjLj3EEiiiiiiiiiiiliiliiiiil
    .private_segment_fixed_size: 32
    .sgpr_count:     54
    .sgpr_spill_count: 0
    .symbol:         _ZL15flash_attn_tileILi128ELi128ELi64ELi1ELb1EEvPKcS1_S1_S1_S1_PKiPfP15HIP_vector_typeIfLj2EEffffjfiS5_IjLj3EEiiiiiiiiiiiliiliiiiil.kd
    .uniform_work_group_size: 1
    .uses_dynamic_stack: false
    .vgpr_count:     155
    .vgpr_spill_count: 0
    .wavefront_size: 32
    .workgroup_processor_mode: 1
  - .args:
      - .address_space:  global
        .offset:         0
        .size:           8
        .value_kind:     global_buffer
      - .address_space:  global
        .offset:         8
        .size:           8
        .value_kind:     global_buffer
      - .address_space:  global
        .offset:         16
        .size:           8
        .value_kind:     global_buffer
      - .address_space:  global
        .offset:         24
        .size:           8
        .value_kind:     global_buffer
      - .address_space:  global
        .offset:         32
        .size:           8
        .value_kind:     global_buffer
      - .address_space:  global
        .offset:         40
        .size:           8
        .value_kind:     global_buffer
      - .address_space:  global
        .offset:         48
        .size:           8
        .value_kind:     global_buffer
      - .address_space:  global
        .offset:         56
        .size:           8
        .value_kind:     global_buffer
      - .offset:         64
        .size:           4
        .value_kind:     by_value
      - .offset:         68
        .size:           4
        .value_kind:     by_value
      - .offset:         72
        .size:           4
        .value_kind:     by_value
      - .offset:         76
        .size:           4
        .value_kind:     by_value
      - .offset:         80
        .size:           4
        .value_kind:     by_value
      - .offset:         84
        .size:           4
        .value_kind:     by_value
      - .offset:         88
        .size:           4
        .value_kind:     by_value
      - .offset:         92
        .size:           12
        .value_kind:     by_value
      - .offset:         104
        .size:           4
        .value_kind:     by_value
      - .offset:         108
        .size:           4
        .value_kind:     by_value
      - .offset:         112
        .size:           4
        .value_kind:     by_value
      - .offset:         116
        .size:           4
        .value_kind:     by_value
      - .offset:         120
        .size:           4
        .value_kind:     by_value
      - .offset:         124
        .size:           4
        .value_kind:     by_value
      - .offset:         128
        .size:           4
        .value_kind:     by_value
      - .offset:         132
        .size:           4
        .value_kind:     by_value
      - .offset:         136
        .size:           4
        .value_kind:     by_value
      - .offset:         140
        .size:           4
        .value_kind:     by_value
      - .offset:         144
        .size:           4
        .value_kind:     by_value
      - .offset:         152
        .size:           8
        .value_kind:     by_value
      - .offset:         160
        .size:           4
        .value_kind:     by_value
      - .offset:         164
        .size:           4
        .value_kind:     by_value
      - .offset:         168
        .size:           8
        .value_kind:     by_value
      - .offset:         176
        .size:           4
        .value_kind:     by_value
      - .offset:         180
        .size:           4
        .value_kind:     by_value
      - .offset:         184
        .size:           4
        .value_kind:     by_value
      - .offset:         188
        .size:           4
        .value_kind:     by_value
      - .offset:         192
        .size:           4
        .value_kind:     by_value
      - .offset:         200
        .size:           8
        .value_kind:     by_value
      - .offset:         208
        .size:           4
        .value_kind:     hidden_block_count_x
      - .offset:         212
        .size:           4
        .value_kind:     hidden_block_count_y
      - .offset:         216
        .size:           4
        .value_kind:     hidden_block_count_z
      - .offset:         220
        .size:           2
        .value_kind:     hidden_group_size_x
      - .offset:         222
        .size:           2
        .value_kind:     hidden_group_size_y
      - .offset:         224
        .size:           2
        .value_kind:     hidden_group_size_z
      - .offset:         226
        .size:           2
        .value_kind:     hidden_remainder_x
      - .offset:         228
        .size:           2
        .value_kind:     hidden_remainder_y
      - .offset:         230
        .size:           2
        .value_kind:     hidden_remainder_z
      - .offset:         248
        .size:           8
        .value_kind:     hidden_global_offset_x
      - .offset:         256
        .size:           8
        .value_kind:     hidden_global_offset_y
      - .offset:         264
        .size:           8
        .value_kind:     hidden_global_offset_z
      - .offset:         272
        .size:           2
        .value_kind:     hidden_grid_dims
    .group_segment_fixed_size: 34816
    .kernarg_segment_align: 8
    .kernarg_segment_size: 464
    .language:       OpenCL C
    .language_version:
      - 2
      - 0
    .max_flat_workgroup_size: 256
    .name:           _ZL15flash_attn_tileILi128ELi128ELi32ELi1ELb1EEvPKcS1_S1_S1_S1_PKiPfP15HIP_vector_typeIfLj2EEffffjfiS5_IjLj3EEiiiiiiiiiiiliiliiiiil
    .private_segment_fixed_size: 32
    .sgpr_count:     55
    .sgpr_spill_count: 0
    .symbol:         _ZL15flash_attn_tileILi128ELi128ELi32ELi1ELb1EEvPKcS1_S1_S1_S1_PKiPfP15HIP_vector_typeIfLj2EEffffjfiS5_IjLj3EEiiiiiiiiiiiliiliiiiil.kd
    .uniform_work_group_size: 1
    .uses_dynamic_stack: false
    .vgpr_count:     130
    .vgpr_spill_count: 0
    .wavefront_size: 32
    .workgroup_processor_mode: 1
  - .args:
      - .address_space:  global
        .offset:         0
        .size:           8
        .value_kind:     global_buffer
      - .address_space:  global
        .offset:         8
        .size:           8
        .value_kind:     global_buffer
      - .address_space:  global
        .offset:         16
        .size:           8
        .value_kind:     global_buffer
      - .address_space:  global
        .offset:         24
        .size:           8
        .value_kind:     global_buffer
      - .address_space:  global
        .offset:         32
        .size:           8
        .value_kind:     global_buffer
      - .address_space:  global
        .offset:         40
        .size:           8
        .value_kind:     global_buffer
      - .address_space:  global
        .offset:         48
        .size:           8
        .value_kind:     global_buffer
      - .address_space:  global
        .offset:         56
        .size:           8
        .value_kind:     global_buffer
      - .offset:         64
        .size:           4
        .value_kind:     by_value
      - .offset:         68
        .size:           4
        .value_kind:     by_value
      - .offset:         72
        .size:           4
        .value_kind:     by_value
      - .offset:         76
        .size:           4
        .value_kind:     by_value
      - .offset:         80
        .size:           4
        .value_kind:     by_value
      - .offset:         84
        .size:           4
        .value_kind:     by_value
      - .offset:         88
        .size:           4
        .value_kind:     by_value
      - .offset:         92
        .size:           12
        .value_kind:     by_value
      - .offset:         104
        .size:           4
        .value_kind:     by_value
      - .offset:         108
        .size:           4
        .value_kind:     by_value
      - .offset:         112
        .size:           4
        .value_kind:     by_value
      - .offset:         116
        .size:           4
        .value_kind:     by_value
      - .offset:         120
        .size:           4
        .value_kind:     by_value
      - .offset:         124
        .size:           4
        .value_kind:     by_value
      - .offset:         128
        .size:           4
        .value_kind:     by_value
      - .offset:         132
        .size:           4
        .value_kind:     by_value
      - .offset:         136
        .size:           4
        .value_kind:     by_value
      - .offset:         140
        .size:           4
        .value_kind:     by_value
      - .offset:         144
        .size:           4
        .value_kind:     by_value
      - .offset:         152
        .size:           8
        .value_kind:     by_value
      - .offset:         160
        .size:           4
        .value_kind:     by_value
      - .offset:         164
        .size:           4
        .value_kind:     by_value
      - .offset:         168
        .size:           8
        .value_kind:     by_value
      - .offset:         176
        .size:           4
        .value_kind:     by_value
      - .offset:         180
        .size:           4
        .value_kind:     by_value
      - .offset:         184
        .size:           4
        .value_kind:     by_value
      - .offset:         188
        .size:           4
        .value_kind:     by_value
      - .offset:         192
        .size:           4
        .value_kind:     by_value
      - .offset:         200
        .size:           8
        .value_kind:     by_value
      - .offset:         208
        .size:           4
        .value_kind:     hidden_block_count_x
      - .offset:         212
        .size:           4
        .value_kind:     hidden_block_count_y
      - .offset:         216
        .size:           4
        .value_kind:     hidden_block_count_z
      - .offset:         220
        .size:           2
        .value_kind:     hidden_group_size_x
      - .offset:         222
        .size:           2
        .value_kind:     hidden_group_size_y
      - .offset:         224
        .size:           2
        .value_kind:     hidden_group_size_z
      - .offset:         226
        .size:           2
        .value_kind:     hidden_remainder_x
      - .offset:         228
        .size:           2
        .value_kind:     hidden_remainder_y
      - .offset:         230
        .size:           2
        .value_kind:     hidden_remainder_z
      - .offset:         248
        .size:           8
        .value_kind:     hidden_global_offset_x
      - .offset:         256
        .size:           8
        .value_kind:     hidden_global_offset_y
      - .offset:         264
        .size:           8
        .value_kind:     hidden_global_offset_z
      - .offset:         272
        .size:           2
        .value_kind:     hidden_grid_dims
    .group_segment_fixed_size: 43008
    .kernarg_segment_align: 8
    .kernarg_segment_size: 464
    .language:       OpenCL C
    .language_version:
      - 2
      - 0
    .max_flat_workgroup_size: 256
    .name:           _ZL15flash_attn_tileILi128ELi128ELi16ELi1ELb1EEvPKcS1_S1_S1_S1_PKiPfP15HIP_vector_typeIfLj2EEffffjfiS5_IjLj3EEiiiiiiiiiiiliiliiiiil
    .private_segment_fixed_size: 32
    .sgpr_count:     55
    .sgpr_spill_count: 0
    .symbol:         _ZL15flash_attn_tileILi128ELi128ELi16ELi1ELb1EEvPKcS1_S1_S1_S1_PKiPfP15HIP_vector_typeIfLj2EEffffjfiS5_IjLj3EEiiiiiiiiiiiliiliiiiil.kd
    .uniform_work_group_size: 1
    .uses_dynamic_stack: false
    .vgpr_count:     242
    .vgpr_spill_count: 0
    .wavefront_size: 32
    .workgroup_processor_mode: 1
  - .args:
      - .address_space:  global
        .offset:         0
        .size:           8
        .value_kind:     global_buffer
      - .address_space:  global
        .offset:         8
        .size:           8
        .value_kind:     global_buffer
      - .address_space:  global
        .offset:         16
        .size:           8
        .value_kind:     global_buffer
      - .address_space:  global
        .offset:         24
        .size:           8
        .value_kind:     global_buffer
      - .address_space:  global
        .offset:         32
        .size:           8
        .value_kind:     global_buffer
      - .address_space:  global
        .offset:         40
        .size:           8
        .value_kind:     global_buffer
      - .address_space:  global
        .offset:         48
        .size:           8
        .value_kind:     global_buffer
      - .address_space:  global
        .offset:         56
        .size:           8
        .value_kind:     global_buffer
      - .offset:         64
        .size:           4
        .value_kind:     by_value
      - .offset:         68
        .size:           4
        .value_kind:     by_value
      - .offset:         72
        .size:           4
        .value_kind:     by_value
      - .offset:         76
        .size:           4
        .value_kind:     by_value
      - .offset:         80
        .size:           4
        .value_kind:     by_value
      - .offset:         84
        .size:           4
        .value_kind:     by_value
      - .offset:         88
        .size:           4
        .value_kind:     by_value
      - .offset:         92
        .size:           12
        .value_kind:     by_value
      - .offset:         104
        .size:           4
        .value_kind:     by_value
      - .offset:         108
        .size:           4
        .value_kind:     by_value
      - .offset:         112
        .size:           4
        .value_kind:     by_value
      - .offset:         116
        .size:           4
        .value_kind:     by_value
      - .offset:         120
        .size:           4
        .value_kind:     by_value
      - .offset:         124
        .size:           4
        .value_kind:     by_value
      - .offset:         128
        .size:           4
        .value_kind:     by_value
      - .offset:         132
        .size:           4
        .value_kind:     by_value
      - .offset:         136
        .size:           4
        .value_kind:     by_value
      - .offset:         140
        .size:           4
        .value_kind:     by_value
      - .offset:         144
        .size:           4
        .value_kind:     by_value
      - .offset:         152
        .size:           8
        .value_kind:     by_value
      - .offset:         160
        .size:           4
        .value_kind:     by_value
      - .offset:         164
        .size:           4
        .value_kind:     by_value
      - .offset:         168
        .size:           8
        .value_kind:     by_value
      - .offset:         176
        .size:           4
        .value_kind:     by_value
      - .offset:         180
        .size:           4
        .value_kind:     by_value
      - .offset:         184
        .size:           4
        .value_kind:     by_value
      - .offset:         188
        .size:           4
        .value_kind:     by_value
      - .offset:         192
        .size:           4
        .value_kind:     by_value
      - .offset:         200
        .size:           8
        .value_kind:     by_value
      - .offset:         208
        .size:           4
        .value_kind:     hidden_block_count_x
      - .offset:         212
        .size:           4
        .value_kind:     hidden_block_count_y
      - .offset:         216
        .size:           4
        .value_kind:     hidden_block_count_z
      - .offset:         220
        .size:           2
        .value_kind:     hidden_group_size_x
      - .offset:         222
        .size:           2
        .value_kind:     hidden_group_size_y
      - .offset:         224
        .size:           2
        .value_kind:     hidden_group_size_z
      - .offset:         226
        .size:           2
        .value_kind:     hidden_remainder_x
      - .offset:         228
        .size:           2
        .value_kind:     hidden_remainder_y
      - .offset:         230
        .size:           2
        .value_kind:     hidden_remainder_z
      - .offset:         248
        .size:           8
        .value_kind:     hidden_global_offset_x
      - .offset:         256
        .size:           8
        .value_kind:     hidden_global_offset_y
      - .offset:         264
        .size:           8
        .value_kind:     hidden_global_offset_z
      - .offset:         272
        .size:           2
        .value_kind:     hidden_grid_dims
    .group_segment_fixed_size: 12288
    .kernarg_segment_align: 8
    .kernarg_segment_size: 464
    .language:       OpenCL C
    .language_version:
      - 2
      - 0
    .max_flat_workgroup_size: 128
    .name:           _ZL15flash_attn_tileILi128ELi128ELi8ELi1ELb1EEvPKcS1_S1_S1_S1_PKiPfP15HIP_vector_typeIfLj2EEffffjfiS5_IjLj3EEiiiiiiiiiiiliiliiiiil
    .private_segment_fixed_size: 32
    .sgpr_count:     55
    .sgpr_spill_count: 0
    .symbol:         _ZL15flash_attn_tileILi128ELi128ELi8ELi1ELb1EEvPKcS1_S1_S1_S1_PKiPfP15HIP_vector_typeIfLj2EEffffjfiS5_IjLj3EEiiiiiiiiiiiliiliiiiil.kd
    .uniform_work_group_size: 1
    .uses_dynamic_stack: false
    .vgpr_count:     128
    .vgpr_spill_count: 1
    .wavefront_size: 32
    .workgroup_processor_mode: 1
  - .args:
      - .address_space:  global
        .offset:         0
        .size:           8
        .value_kind:     global_buffer
      - .address_space:  global
        .offset:         8
        .size:           8
        .value_kind:     global_buffer
      - .address_space:  global
        .offset:         16
        .size:           8
        .value_kind:     global_buffer
      - .address_space:  global
        .offset:         24
        .size:           8
        .value_kind:     global_buffer
      - .address_space:  global
        .offset:         32
        .size:           8
        .value_kind:     global_buffer
      - .address_space:  global
        .offset:         40
        .size:           8
        .value_kind:     global_buffer
      - .address_space:  global
        .offset:         48
        .size:           8
        .value_kind:     global_buffer
      - .address_space:  global
        .offset:         56
        .size:           8
        .value_kind:     global_buffer
      - .offset:         64
        .size:           4
        .value_kind:     by_value
      - .offset:         68
        .size:           4
        .value_kind:     by_value
      - .offset:         72
        .size:           4
        .value_kind:     by_value
      - .offset:         76
        .size:           4
        .value_kind:     by_value
      - .offset:         80
        .size:           4
        .value_kind:     by_value
      - .offset:         84
        .size:           4
        .value_kind:     by_value
      - .offset:         88
        .size:           4
        .value_kind:     by_value
      - .offset:         92
        .size:           12
        .value_kind:     by_value
      - .offset:         104
        .size:           4
        .value_kind:     by_value
      - .offset:         108
        .size:           4
        .value_kind:     by_value
      - .offset:         112
        .size:           4
        .value_kind:     by_value
      - .offset:         116
        .size:           4
        .value_kind:     by_value
      - .offset:         120
        .size:           4
        .value_kind:     by_value
      - .offset:         124
        .size:           4
        .value_kind:     by_value
      - .offset:         128
        .size:           4
        .value_kind:     by_value
      - .offset:         132
        .size:           4
        .value_kind:     by_value
      - .offset:         136
        .size:           4
        .value_kind:     by_value
      - .offset:         140
        .size:           4
        .value_kind:     by_value
      - .offset:         144
        .size:           4
        .value_kind:     by_value
      - .offset:         152
        .size:           8
        .value_kind:     by_value
      - .offset:         160
        .size:           4
        .value_kind:     by_value
      - .offset:         164
        .size:           4
        .value_kind:     by_value
      - .offset:         168
        .size:           8
        .value_kind:     by_value
      - .offset:         176
        .size:           4
        .value_kind:     by_value
      - .offset:         180
        .size:           4
        .value_kind:     by_value
      - .offset:         184
        .size:           4
        .value_kind:     by_value
      - .offset:         188
        .size:           4
        .value_kind:     by_value
      - .offset:         192
        .size:           4
        .value_kind:     by_value
      - .offset:         200
        .size:           8
        .value_kind:     by_value
      - .offset:         208
        .size:           4
        .value_kind:     hidden_block_count_x
      - .offset:         212
        .size:           4
        .value_kind:     hidden_block_count_y
      - .offset:         216
        .size:           4
        .value_kind:     hidden_block_count_z
      - .offset:         220
        .size:           2
        .value_kind:     hidden_group_size_x
      - .offset:         222
        .size:           2
        .value_kind:     hidden_group_size_y
      - .offset:         224
        .size:           2
        .value_kind:     hidden_group_size_z
      - .offset:         226
        .size:           2
        .value_kind:     hidden_remainder_x
      - .offset:         228
        .size:           2
        .value_kind:     hidden_remainder_y
      - .offset:         230
        .size:           2
        .value_kind:     hidden_remainder_z
      - .offset:         248
        .size:           8
        .value_kind:     hidden_global_offset_x
      - .offset:         256
        .size:           8
        .value_kind:     hidden_global_offset_y
      - .offset:         264
        .size:           8
        .value_kind:     hidden_global_offset_z
      - .offset:         272
        .size:           2
        .value_kind:     hidden_grid_dims
    .group_segment_fixed_size: 10752
    .kernarg_segment_align: 8
    .kernarg_segment_size: 464
    .language:       OpenCL C
    .language_version:
      - 2
      - 0
    .max_flat_workgroup_size: 128
    .name:           _ZL15flash_attn_tileILi128ELi128ELi4ELi1ELb1EEvPKcS1_S1_S1_S1_PKiPfP15HIP_vector_typeIfLj2EEffffjfiS5_IjLj3EEiiiiiiiiiiiliiliiiiil
    .private_segment_fixed_size: 32
    .sgpr_count:     54
    .sgpr_spill_count: 0
    .symbol:         _ZL15flash_attn_tileILi128ELi128ELi4ELi1ELb1EEvPKcS1_S1_S1_S1_PKiPfP15HIP_vector_typeIfLj2EEffffjfiS5_IjLj3EEiiiiiiiiiiiliiliiiiil.kd
    .uniform_work_group_size: 1
    .uses_dynamic_stack: false
    .vgpr_count:     123
    .vgpr_spill_count: 0
    .wavefront_size: 32
    .workgroup_processor_mode: 1
  - .args:
      - .address_space:  global
        .offset:         0
        .size:           8
        .value_kind:     global_buffer
      - .address_space:  global
        .offset:         8
        .size:           8
        .value_kind:     global_buffer
      - .address_space:  global
        .offset:         16
        .size:           8
        .value_kind:     global_buffer
      - .address_space:  global
        .offset:         24
        .size:           8
        .value_kind:     global_buffer
      - .address_space:  global
        .offset:         32
        .size:           8
        .value_kind:     global_buffer
      - .address_space:  global
        .offset:         40
        .size:           8
        .value_kind:     global_buffer
      - .address_space:  global
        .offset:         48
        .size:           8
        .value_kind:     global_buffer
      - .address_space:  global
        .offset:         56
        .size:           8
        .value_kind:     global_buffer
      - .offset:         64
        .size:           4
        .value_kind:     by_value
      - .offset:         68
        .size:           4
        .value_kind:     by_value
      - .offset:         72
        .size:           4
        .value_kind:     by_value
      - .offset:         76
        .size:           4
        .value_kind:     by_value
      - .offset:         80
        .size:           4
        .value_kind:     by_value
      - .offset:         84
        .size:           4
        .value_kind:     by_value
      - .offset:         88
        .size:           4
        .value_kind:     by_value
      - .offset:         92
        .size:           12
        .value_kind:     by_value
      - .offset:         104
        .size:           4
        .value_kind:     by_value
      - .offset:         108
        .size:           4
        .value_kind:     by_value
      - .offset:         112
        .size:           4
        .value_kind:     by_value
      - .offset:         116
        .size:           4
        .value_kind:     by_value
      - .offset:         120
        .size:           4
        .value_kind:     by_value
      - .offset:         124
        .size:           4
        .value_kind:     by_value
      - .offset:         128
        .size:           4
        .value_kind:     by_value
      - .offset:         132
        .size:           4
        .value_kind:     by_value
      - .offset:         136
        .size:           4
        .value_kind:     by_value
      - .offset:         140
        .size:           4
        .value_kind:     by_value
      - .offset:         144
        .size:           4
        .value_kind:     by_value
      - .offset:         152
        .size:           8
        .value_kind:     by_value
      - .offset:         160
        .size:           4
        .value_kind:     by_value
      - .offset:         164
        .size:           4
        .value_kind:     by_value
      - .offset:         168
        .size:           8
        .value_kind:     by_value
      - .offset:         176
        .size:           4
        .value_kind:     by_value
      - .offset:         180
        .size:           4
        .value_kind:     by_value
      - .offset:         184
        .size:           4
        .value_kind:     by_value
      - .offset:         188
        .size:           4
        .value_kind:     by_value
      - .offset:         192
        .size:           4
        .value_kind:     by_value
      - .offset:         200
        .size:           8
        .value_kind:     by_value
      - .offset:         208
        .size:           4
        .value_kind:     hidden_block_count_x
      - .offset:         212
        .size:           4
        .value_kind:     hidden_block_count_y
      - .offset:         216
        .size:           4
        .value_kind:     hidden_block_count_z
      - .offset:         220
        .size:           2
        .value_kind:     hidden_group_size_x
      - .offset:         222
        .size:           2
        .value_kind:     hidden_group_size_y
      - .offset:         224
        .size:           2
        .value_kind:     hidden_group_size_z
      - .offset:         226
        .size:           2
        .value_kind:     hidden_remainder_x
      - .offset:         228
        .size:           2
        .value_kind:     hidden_remainder_y
      - .offset:         230
        .size:           2
        .value_kind:     hidden_remainder_z
      - .offset:         248
        .size:           8
        .value_kind:     hidden_global_offset_x
      - .offset:         256
        .size:           8
        .value_kind:     hidden_global_offset_y
      - .offset:         264
        .size:           8
        .value_kind:     hidden_global_offset_z
      - .offset:         272
        .size:           2
        .value_kind:     hidden_grid_dims
    .group_segment_fixed_size: 5248
    .kernarg_segment_align: 8
    .kernarg_segment_size: 464
    .language:       OpenCL C
    .language_version:
      - 2
      - 0
    .max_flat_workgroup_size: 64
    .name:           _ZL15flash_attn_tileILi128ELi128ELi2ELi1ELb1EEvPKcS1_S1_S1_S1_PKiPfP15HIP_vector_typeIfLj2EEffffjfiS5_IjLj3EEiiiiiiiiiiiliiliiiiil
    .private_segment_fixed_size: 32
    .sgpr_count:     54
    .sgpr_spill_count: 0
    .symbol:         _ZL15flash_attn_tileILi128ELi128ELi2ELi1ELb1EEvPKcS1_S1_S1_S1_PKiPfP15HIP_vector_typeIfLj2EEffffjfiS5_IjLj3EEiiiiiiiiiiiliiliiiiil.kd
    .uniform_work_group_size: 1
    .uses_dynamic_stack: false
    .vgpr_count:     111
    .vgpr_spill_count: 0
    .wavefront_size: 32
    .workgroup_processor_mode: 1
amdhsa.target:   amdgcn-amd-amdhsa--gfx1030
amdhsa.version:
  - 1
  - 2
...

	.end_amdgpu_metadata
